;; amdgpu-corpus repo=ROCm/rocBLAS kind=compiled arch=gfx1201 opt=O3
	.amdgcn_target "amdgcn-amd-amdhsa--gfx1201"
	.amdhsa_code_object_version 6
	.section	.text._ZL23rocblas_set_matrix_trsmILi128ELi8EfPKPfEvlliT2_llT1_li,"axG",@progbits,_ZL23rocblas_set_matrix_trsmILi128ELi8EfPKPfEvlliT2_llT1_li,comdat
	.globl	_ZL23rocblas_set_matrix_trsmILi128ELi8EfPKPfEvlliT2_llT1_li ; -- Begin function _ZL23rocblas_set_matrix_trsmILi128ELi8EfPKPfEvlliT2_llT1_li
	.p2align	8
	.type	_ZL23rocblas_set_matrix_trsmILi128ELi8EfPKPfEvlliT2_llT1_li,@function
_ZL23rocblas_set_matrix_trsmILi128ELi8EfPKPfEvlliT2_llT1_li: ; @_ZL23rocblas_set_matrix_trsmILi128ELi8EfPKPfEvlliT2_llT1_li
; %bb.0:
	s_load_b32 s8, s[0:1], 0x40
	s_lshr_b32 s2, ttmp7, 16
	s_wait_kmcnt 0x0
	s_cmp_ge_u32 s2, s8
	s_cbranch_scc1 .LBB0_5
; %bb.1:
	s_clause 0x1
	s_load_b128 s[4:7], s[0:1], 0x18
	s_load_b128 s[12:15], s[0:1], 0x0
	v_bfe_u32 v1, v0, 10, 10
	s_and_b32 s3, ttmp7, 0xffff
	s_load_b64 s[10:11], s[0:1], 0x38
	v_and_b32_e32 v0, 0x3ff, v0
	s_delay_alu instid0(VALU_DEP_2) | instskip(SKIP_1) | instid1(VALU_DEP_2)
	v_lshl_add_u32 v2, s3, 3, v1
	s_mov_b32 s3, 0
	v_lshl_add_u32 v0, ttmp9, 7, v0
	s_wait_kmcnt 0x0
	s_delay_alu instid0(VALU_DEP_2) | instskip(NEXT) | instid1(VALU_DEP_1)
	v_mad_co_u64_u32 v[4:5], null, s6, v2, 0
	v_mov_b32_e32 v1, v5
	s_delay_alu instid0(VALU_DEP_1) | instskip(SKIP_1) | instid1(VALU_DEP_1)
	v_mad_co_u64_u32 v[5:6], null, s7, v2, v[1:2]
	v_mov_b32_e32 v1, 0
	v_mov_b32_e32 v3, v1
	v_cmp_gt_u64_e32 vcc_lo, s[12:13], v[0:1]
	s_delay_alu instid0(VALU_DEP_2)
	v_cmp_gt_u64_e64 s0, s[14:15], v[2:3]
	v_lshlrev_b64_e32 v[2:3], 2, v[4:5]
	v_lshlrev_b64_e32 v[4:5], 2, v[0:1]
	s_and_b32 s6, vcc_lo, s0
	s_lshl_b64 s[0:1], s[10:11], 2
	s_branch .LBB0_3
.LBB0_2:                                ;   in Loop: Header=BB0_3 Depth=1
	s_wait_alu 0xfffe
	s_or_b32 exec_lo, exec_lo, s7
	s_add_co_i32 s2, s2, 0x10000
	s_wait_alu 0xfffe
	s_cmp_lt_u32 s2, s8
	s_cbranch_scc0 .LBB0_5
.LBB0_3:                                ; =>This Inner Loop Header: Depth=1
	s_wait_alu 0xfffe
	s_and_saveexec_b32 s7, s6
	s_cbranch_execz .LBB0_2
; %bb.4:                                ;   in Loop: Header=BB0_3 Depth=1
	s_lshl_b64 s[10:11], s[2:3], 3
	s_wait_alu 0xfffe
	s_add_nc_u64 s[10:11], s[4:5], s[10:11]
	s_load_b64 s[10:11], s[10:11], 0x0
	s_wait_kmcnt 0x0
	s_add_nc_u64 s[10:11], s[10:11], s[0:1]
	s_wait_alu 0xfffe
	v_add_co_u32 v0, vcc_lo, s10, v2
	s_wait_alu 0xfffd
	v_add_co_ci_u32_e64 v7, null, s11, v3, vcc_lo
	s_delay_alu instid0(VALU_DEP_2) | instskip(SKIP_1) | instid1(VALU_DEP_2)
	v_add_co_u32 v6, vcc_lo, v0, v4
	s_wait_alu 0xfffd
	v_add_co_ci_u32_e64 v7, null, v7, v5, vcc_lo
	flat_store_b32 v[6:7], v1
	s_branch .LBB0_2
.LBB0_5:
	s_endpgm
	.section	.rodata,"a",@progbits
	.p2align	6, 0x0
	.amdhsa_kernel _ZL23rocblas_set_matrix_trsmILi128ELi8EfPKPfEvlliT2_llT1_li
		.amdhsa_group_segment_fixed_size 0
		.amdhsa_private_segment_fixed_size 0
		.amdhsa_kernarg_size 68
		.amdhsa_user_sgpr_count 2
		.amdhsa_user_sgpr_dispatch_ptr 0
		.amdhsa_user_sgpr_queue_ptr 0
		.amdhsa_user_sgpr_kernarg_segment_ptr 1
		.amdhsa_user_sgpr_dispatch_id 0
		.amdhsa_user_sgpr_private_segment_size 0
		.amdhsa_wavefront_size32 1
		.amdhsa_uses_dynamic_stack 0
		.amdhsa_enable_private_segment 0
		.amdhsa_system_sgpr_workgroup_id_x 1
		.amdhsa_system_sgpr_workgroup_id_y 1
		.amdhsa_system_sgpr_workgroup_id_z 1
		.amdhsa_system_sgpr_workgroup_info 0
		.amdhsa_system_vgpr_workitem_id 1
		.amdhsa_next_free_vgpr 8
		.amdhsa_next_free_sgpr 16
		.amdhsa_reserve_vcc 1
		.amdhsa_float_round_mode_32 0
		.amdhsa_float_round_mode_16_64 0
		.amdhsa_float_denorm_mode_32 3
		.amdhsa_float_denorm_mode_16_64 3
		.amdhsa_fp16_overflow 0
		.amdhsa_workgroup_processor_mode 1
		.amdhsa_memory_ordered 1
		.amdhsa_forward_progress 1
		.amdhsa_inst_pref_size 3
		.amdhsa_round_robin_scheduling 0
		.amdhsa_exception_fp_ieee_invalid_op 0
		.amdhsa_exception_fp_denorm_src 0
		.amdhsa_exception_fp_ieee_div_zero 0
		.amdhsa_exception_fp_ieee_overflow 0
		.amdhsa_exception_fp_ieee_underflow 0
		.amdhsa_exception_fp_ieee_inexact 0
		.amdhsa_exception_int_div_zero 0
	.end_amdhsa_kernel
	.section	.text._ZL23rocblas_set_matrix_trsmILi128ELi8EfPKPfEvlliT2_llT1_li,"axG",@progbits,_ZL23rocblas_set_matrix_trsmILi128ELi8EfPKPfEvlliT2_llT1_li,comdat
.Lfunc_end0:
	.size	_ZL23rocblas_set_matrix_trsmILi128ELi8EfPKPfEvlliT2_llT1_li, .Lfunc_end0-_ZL23rocblas_set_matrix_trsmILi128ELi8EfPKPfEvlliT2_llT1_li
                                        ; -- End function
	.set _ZL23rocblas_set_matrix_trsmILi128ELi8EfPKPfEvlliT2_llT1_li.num_vgpr, 8
	.set _ZL23rocblas_set_matrix_trsmILi128ELi8EfPKPfEvlliT2_llT1_li.num_agpr, 0
	.set _ZL23rocblas_set_matrix_trsmILi128ELi8EfPKPfEvlliT2_llT1_li.numbered_sgpr, 16
	.set _ZL23rocblas_set_matrix_trsmILi128ELi8EfPKPfEvlliT2_llT1_li.num_named_barrier, 0
	.set _ZL23rocblas_set_matrix_trsmILi128ELi8EfPKPfEvlliT2_llT1_li.private_seg_size, 0
	.set _ZL23rocblas_set_matrix_trsmILi128ELi8EfPKPfEvlliT2_llT1_li.uses_vcc, 1
	.set _ZL23rocblas_set_matrix_trsmILi128ELi8EfPKPfEvlliT2_llT1_li.uses_flat_scratch, 0
	.set _ZL23rocblas_set_matrix_trsmILi128ELi8EfPKPfEvlliT2_llT1_li.has_dyn_sized_stack, 0
	.set _ZL23rocblas_set_matrix_trsmILi128ELi8EfPKPfEvlliT2_llT1_li.has_recursion, 0
	.set _ZL23rocblas_set_matrix_trsmILi128ELi8EfPKPfEvlliT2_llT1_li.has_indirect_call, 0
	.section	.AMDGPU.csdata,"",@progbits
; Kernel info:
; codeLenInByte = 312
; TotalNumSgprs: 18
; NumVgprs: 8
; ScratchSize: 0
; MemoryBound: 0
; FloatMode: 240
; IeeeMode: 1
; LDSByteSize: 0 bytes/workgroup (compile time only)
; SGPRBlocks: 0
; VGPRBlocks: 0
; NumSGPRsForWavesPerEU: 18
; NumVGPRsForWavesPerEU: 8
; Occupancy: 16
; WaveLimiterHint : 1
; COMPUTE_PGM_RSRC2:SCRATCH_EN: 0
; COMPUTE_PGM_RSRC2:USER_SGPR: 2
; COMPUTE_PGM_RSRC2:TRAP_HANDLER: 0
; COMPUTE_PGM_RSRC2:TGID_X_EN: 1
; COMPUTE_PGM_RSRC2:TGID_Y_EN: 1
; COMPUTE_PGM_RSRC2:TGID_Z_EN: 1
; COMPUTE_PGM_RSRC2:TIDIG_COMP_CNT: 1
	.section	.text._ZL38rocblas_trsm_small_left_device_sharedBILi4ELi4ELb0EffPKPKfPKPfEv13rocblas_fill_18rocblas_operation_17rocblas_diagonal_iiT3_T4_lilT5_lili,"axG",@progbits,_ZL38rocblas_trsm_small_left_device_sharedBILi4ELi4ELb0EffPKPKfPKPfEv13rocblas_fill_18rocblas_operation_17rocblas_diagonal_iiT3_T4_lilT5_lili,comdat
	.globl	_ZL38rocblas_trsm_small_left_device_sharedBILi4ELi4ELb0EffPKPKfPKPfEv13rocblas_fill_18rocblas_operation_17rocblas_diagonal_iiT3_T4_lilT5_lili ; -- Begin function _ZL38rocblas_trsm_small_left_device_sharedBILi4ELi4ELb0EffPKPKfPKPfEv13rocblas_fill_18rocblas_operation_17rocblas_diagonal_iiT3_T4_lilT5_lili
	.p2align	8
	.type	_ZL38rocblas_trsm_small_left_device_sharedBILi4ELi4ELb0EffPKPKfPKPfEv13rocblas_fill_18rocblas_operation_17rocblas_diagonal_iiT3_T4_lilT5_lili,@function
_ZL38rocblas_trsm_small_left_device_sharedBILi4ELi4ELb0EffPKPKfPKPfEv13rocblas_fill_18rocblas_operation_17rocblas_diagonal_iiT3_T4_lilT5_lili: ; @_ZL38rocblas_trsm_small_left_device_sharedBILi4ELi4ELb0EffPKPKfPKPfEv13rocblas_fill_18rocblas_operation_17rocblas_diagonal_iiT3_T4_lilT5_lili
; %bb.0:
	s_load_b32 s24, s[0:1], 0x58
	s_lshr_b32 s16, ttmp7, 16
	s_wait_kmcnt 0x0
	s_cmp_ge_u32 s16, s24
	s_cbranch_scc1 .LBB1_58
; %bb.1:
	s_clause 0x6
	s_load_b32 s2, s[0:1], 0x28
	s_load_b32 s20, s[0:1], 0x48
	s_load_b128 s[12:15], s[0:1], 0x4
	s_load_b32 s17, s[0:1], 0x60
	s_load_b128 s[4:7], s[0:1], 0x18
	s_load_b128 s[8:11], s[0:1], 0x38
	s_load_b32 s25, s[0:1], 0x14
	v_dual_mov_b32 v1, 0 :: v_dual_lshlrev_b32 v12, 2, v0
	s_lshl_b32 s22, ttmp9, 2
	v_lshlrev_b32_e32 v7, 4, v0
	s_mov_b32 s19, 0
	s_delay_alu instid0(VALU_DEP_2)
	v_or_b32_e32 v13, 64, v12
	v_dual_mov_b32 v3, v1 :: v_dual_mov_b32 v4, v1
	v_mov_b32_e32 v2, v1
	s_wait_kmcnt 0x0
	s_ashr_i32 s3, s2, 31
	s_ashr_i32 s21, s20, 31
	s_min_i32 s26, s14, 4
	s_add_co_i32 s17, s17, -1
	s_sub_co_i32 s0, s15, s22
	s_add_co_i32 s27, s26, -1
	v_mad_co_i64_i32 v[5:6], null, s20, v0, 0
	s_cmp_ge_u32 ttmp9, s17
	s_cselect_b32 s1, s0, 4
	s_ashr_i32 s23, s22, 31
	s_cmp_lg_u32 s13, 0x84
	v_cmp_gt_i32_e32 vcc_lo, s1, v0
	s_cselect_b32 s28, -1, 0
	s_cmp_gt_i32 s14, 0
	v_cmp_gt_i32_e64 s0, s26, v0
	s_cselect_b32 s1, -1, 0
	s_cmp_lg_u32 s12, 0x6f
	v_lshlrev_b32_e32 v0, 2, v0
	v_lshlrev_b64_e32 v[10:11], 2, v[5:6]
	v_mov_b32_e32 v5, v4
	v_mov_b32_e32 v4, v3
	v_dual_mov_b32 v3, v2 :: v_dual_add_nc_u32 v14, v12, v7
	v_mov_b32_e32 v2, v1
	s_mul_u64 s[14:15], s[20:21], s[22:23]
	s_cselect_b32 s29, -1, 0
	s_lshl_b32 s31, s26, 4
	s_wait_alu 0xfffe
	s_and_b32 s30, vcc_lo, s1
	s_lshl_b64 s[12:13], s[2:3], 2
	s_add_co_i32 s31, s31, -16
	s_lshl_b64 s[6:7], s[6:7], 2
	s_lshl_b64 s[10:11], s[10:11], 2
	;; [unrolled: 1-line block ×3, first 2 shown]
	s_branch .LBB1_3
.LBB1_2:                                ;   in Loop: Header=BB1_3 Depth=1
	s_wait_alu 0xfffe
	s_or_b32 exec_lo, exec_lo, s1
	v_dual_mov_b32 v2, v6 :: v_dual_mov_b32 v3, v7
	v_dual_mov_b32 v4, v8 :: v_dual_mov_b32 v5, v9
	s_add_co_i32 s16, s16, 0x10000
	s_wait_alu 0xfffe
	s_cmp_lt_u32 s16, s24
	s_cbranch_scc0 .LBB1_58
.LBB1_3:                                ; =>This Loop Header: Depth=1
                                        ;     Child Loop BB1_5 Depth 2
                                        ;     Child Loop BB1_11 Depth 2
	;; [unrolled: 1-line block ×3, first 2 shown]
                                        ;       Child Loop BB1_17 Depth 3
                                        ;         Child Loop BB1_18 Depth 4
                                        ;         Child Loop BB1_21 Depth 4
                                        ;           Child Loop BB1_22 Depth 5
                                        ;         Child Loop BB1_27 Depth 4
                                        ;           Child Loop BB1_29 Depth 5
                                        ;     Child Loop BB1_36 Depth 2
                                        ;       Child Loop BB1_39 Depth 3
                                        ;         Child Loop BB1_40 Depth 4
                                        ;         Child Loop BB1_42 Depth 4
                                        ;           Child Loop BB1_43 Depth 5
                                        ;         Child Loop BB1_48 Depth 4
                                        ;           Child Loop BB1_50 Depth 5
                                        ;     Child Loop BB1_57 Depth 2
	s_mov_b32 s17, s19
	s_wait_alu 0xfffe
	s_lshl_b64 s[2:3], s[16:17], 3
	s_wait_alu 0xfffe
	s_add_nc_u64 s[20:21], s[8:9], s[2:3]
	global_load_b64 v[6:7], v1, s[20:21]
	s_and_saveexec_b32 s1, s0
	s_cbranch_execz .LBB1_9
; %bb.4:                                ;   in Loop: Header=BB1_3 Depth=1
	s_add_nc_u64 s[2:3], s[4:5], s[2:3]
	v_mov_b32_e32 v15, v12
	global_load_b64 v[8:9], v1, s[2:3]
	s_mov_b32 s2, s26
	s_wait_loadcnt 0x0
	v_add_co_u32 v8, vcc_lo, v8, s6
	s_wait_alu 0xfffd
	v_add_co_ci_u32_e64 v9, null, s7, v9, vcc_lo
	s_delay_alu instid0(VALU_DEP_2) | instskip(SKIP_1) | instid1(VALU_DEP_2)
	v_add_co_u32 v8, vcc_lo, v8, v0
	s_wait_alu 0xfffd
	v_add_co_ci_u32_e64 v9, null, 0, v9, vcc_lo
.LBB1_5:                                ;   Parent Loop BB1_3 Depth=1
                                        ; =>  This Inner Loop Header: Depth=2
	flat_load_b32 v16, v[8:9]
	v_add_co_u32 v8, vcc_lo, v8, s12
	s_wait_alu 0xfffd
	v_add_co_ci_u32_e64 v9, null, s13, v9, vcc_lo
	s_wait_alu 0xfffe
	s_add_co_i32 s2, s2, -1
	s_wait_alu 0xfffe
	s_cmp_eq_u32 s2, 0
	s_wait_loadcnt_dscnt 0x0
	ds_store_b32 v15, v16
	v_add_nc_u32_e32 v15, 16, v15
	s_cbranch_scc0 .LBB1_5
; %bb.6:                                ;   in Loop: Header=BB1_3 Depth=1
	v_mov_b32_e32 v8, 1.0
	s_and_b32 vcc_lo, exec_lo, s28
	s_wait_alu 0xfffe
	s_cbranch_vccz .LBB1_8
; %bb.7:                                ;   in Loop: Header=BB1_3 Depth=1
	ds_load_b32 v8, v14
	s_wait_dscnt 0x0
	v_div_scale_f32 v9, null, v8, v8, 1.0
	s_delay_alu instid0(VALU_DEP_1) | instskip(NEXT) | instid1(TRANS32_DEP_1)
	v_rcp_f32_e32 v15, v9
	v_fma_f32 v16, -v9, v15, 1.0
	s_delay_alu instid0(VALU_DEP_1) | instskip(SKIP_1) | instid1(VALU_DEP_1)
	v_fmac_f32_e32 v15, v16, v15
	v_div_scale_f32 v16, vcc_lo, 1.0, v8, 1.0
	v_mul_f32_e32 v17, v16, v15
	s_delay_alu instid0(VALU_DEP_1) | instskip(NEXT) | instid1(VALU_DEP_1)
	v_fma_f32 v18, -v9, v17, v16
	v_fmac_f32_e32 v17, v18, v15
	s_delay_alu instid0(VALU_DEP_1) | instskip(SKIP_1) | instid1(VALU_DEP_1)
	v_fma_f32 v9, -v9, v17, v16
	s_wait_alu 0xfffd
	v_div_fmas_f32 v9, v9, v15, v17
	s_delay_alu instid0(VALU_DEP_1)
	v_div_fixup_f32 v8, v9, v8, 1.0
.LBB1_8:                                ;   in Loop: Header=BB1_3 Depth=1
	ds_store_b32 v14, v8
.LBB1_9:                                ;   in Loop: Header=BB1_3 Depth=1
	s_wait_alu 0xfffe
	s_or_b32 exec_lo, exec_lo, s1
	s_wait_loadcnt 0x0
	v_add_co_u32 v6, vcc_lo, v6, s10
	s_wait_alu 0xfffd
	v_add_co_ci_u32_e64 v7, null, s11, v7, vcc_lo
	s_delay_alu instid0(VALU_DEP_2) | instskip(SKIP_1) | instid1(VALU_DEP_2)
	v_add_co_u32 v15, vcc_lo, v6, s14
	s_wait_alu 0xfffd
	v_add_co_ci_u32_e64 v16, null, s15, v7, vcc_lo
	s_and_saveexec_b32 s1, s30
	s_cbranch_execz .LBB1_12
; %bb.10:                               ;   in Loop: Header=BB1_3 Depth=1
	v_add_co_u32 v6, vcc_lo, v15, v10
	s_wait_alu 0xfffd
	v_add_co_ci_u32_e64 v7, null, v16, v11, vcc_lo
	v_mov_b32_e32 v8, v13
	s_mov_b32 s2, s26
.LBB1_11:                               ;   Parent Loop BB1_3 Depth=1
                                        ; =>  This Inner Loop Header: Depth=2
	flat_load_b32 v9, v[6:7]
	v_add_co_u32 v6, vcc_lo, v6, 4
	s_wait_alu 0xfffd
	v_add_co_ci_u32_e64 v7, null, 0, v7, vcc_lo
	s_wait_alu 0xfffe
	s_add_co_i32 s2, s2, -1
	s_wait_alu 0xfffe
	s_cmp_lg_u32 s2, 0
	s_wait_loadcnt_dscnt 0x0
	v_mul_f32_e32 v9, s25, v9
	ds_store_b32 v8, v9
	v_add_nc_u32_e32 v8, 16, v8
	s_cbranch_scc1 .LBB1_11
.LBB1_12:                               ;   in Loop: Header=BB1_3 Depth=1
	s_wait_alu 0xfffe
	s_or_b32 exec_lo, exec_lo, s1
	s_delay_alu instid0(SALU_CYCLE_1)
	s_and_not1_b32 vcc_lo, exec_lo, s29
	s_mov_b32 s1, -1
	s_wait_dscnt 0x0
	; wave barrier
	global_inv scope:SCOPE_SE
                                        ; implicit-def: $vgpr6_vgpr7_vgpr8_vgpr9
	s_wait_alu 0xfffe
	s_cbranch_vccnz .LBB1_34
; %bb.13:                               ;   in Loop: Header=BB1_3 Depth=1
	v_dual_mov_b32 v9, v5 :: v_dual_mov_b32 v8, v4
	v_dual_mov_b32 v7, v3 :: v_dual_mov_b32 v6, v2
	s_mov_b32 s18, 0
	s_delay_alu instid0(SALU_CYCLE_1)
	s_mov_b32 s17, s18
.LBB1_14:                               ;   Parent Loop BB1_3 Depth=1
                                        ; =>  This Loop Header: Depth=2
                                        ;       Child Loop BB1_17 Depth 3
                                        ;         Child Loop BB1_18 Depth 4
                                        ;         Child Loop BB1_21 Depth 4
                                        ;           Child Loop BB1_22 Depth 5
                                        ;         Child Loop BB1_27 Depth 4
                                        ;           Child Loop BB1_29 Depth 5
	s_getpc_b64 s[2:3]
	s_wait_alu 0xfffe
	s_sext_i32_i16 s3, s3
	s_add_co_u32 s2, s2, __const._ZL38rocblas_trsm_small_left_device_sharedBILi4ELi4ELb0EffPKPKfPKPfEv13rocblas_fill_18rocblas_operation_17rocblas_diagonal_iiT3_T4_lilT5_lili.step_sizes@rel32@lo+12
	s_wait_alu 0xfffe
	s_add_co_ci_u32 s3, s3, __const._ZL38rocblas_trsm_small_left_device_sharedBILi4ELi4ELb0EffPKPKfPKPfEv13rocblas_fill_18rocblas_operation_17rocblas_diagonal_iiT3_T4_lilT5_lili.step_sizes@rel32@hi+24
	s_lshl_b64 s[20:21], s[18:19], 2
	s_wait_alu 0xfffe
	s_add_nc_u64 s[2:3], s[2:3], s[20:21]
	s_load_b32 s33, s[2:3], 0x0
	s_wait_kmcnt 0x0
	s_add_co_i32 s34, s33, -1
	s_wait_alu 0xfffe
	s_add_co_i32 s1, s34, s17
	s_wait_alu 0xfffe
	s_cmp_ge_i32 s1, s26
	s_cbranch_scc1 .LBB1_31
; %bb.15:                               ;   in Loop: Header=BB1_14 Depth=2
	s_lshl_b32 s35, s17, 4
	s_max_i32 s36, s33, 1
	s_wait_alu 0xfffe
	v_add_nc_u32_e32 v17, s35, v13
	s_lshl_b32 s37, s33, 4
	s_mul_i32 s38, s17, 20
	s_mul_i32 s39, s33, 20
	s_branch .LBB1_17
.LBB1_16:                               ;   in Loop: Header=BB1_17 Depth=3
	s_add_co_i32 s17, s17, s33
	v_add_nc_u32_e32 v17, s37, v17
	s_wait_alu 0xfffe
	s_add_co_i32 s1, s34, s17
	s_add_co_i32 s35, s35, s37
	;; [unrolled: 1-line block ×3, first 2 shown]
	s_wait_alu 0xfffe
	s_cmp_ge_i32 s1, s26
	s_cbranch_scc1 .LBB1_31
.LBB1_17:                               ;   Parent Loop BB1_3 Depth=1
                                        ;     Parent Loop BB1_14 Depth=2
                                        ; =>    This Loop Header: Depth=3
                                        ;         Child Loop BB1_18 Depth 4
                                        ;         Child Loop BB1_21 Depth 4
                                        ;           Child Loop BB1_22 Depth 5
                                        ;         Child Loop BB1_27 Depth 4
                                        ;           Child Loop BB1_29 Depth 5
	v_mov_b32_e32 v18, v17
	s_mov_b64 s[20:21], 0
.LBB1_18:                               ;   Parent Loop BB1_3 Depth=1
                                        ;     Parent Loop BB1_14 Depth=2
                                        ;       Parent Loop BB1_17 Depth=3
                                        ; =>      This Inner Loop Header: Depth=4
	ds_load_b32 v19, v18
	s_wait_alu 0xfffe
	s_cmp_eq_u32 s20, 3
	s_cselect_b32 vcc_lo, -1, 0
	s_cmp_eq_u32 s20, 2
	v_add_nc_u32_e32 v18, 16, v18
	s_cselect_b32 s1, -1, 0
	s_cmp_eq_u32 s20, 1
	s_cselect_b32 s2, -1, 0
	s_cmp_eq_u32 s20, 0
	s_add_nc_u64 s[20:21], s[20:21], 1
	s_cselect_b32 s3, -1, 0
	s_wait_alu 0xfffe
	s_cmp_eq_u32 s36, s20
	s_wait_dscnt 0x0
	v_cndmask_b32_e32 v9, v9, v19, vcc_lo
	v_cndmask_b32_e64 v8, v8, v19, s1
	v_cndmask_b32_e64 v7, v7, v19, s2
	;; [unrolled: 1-line block ×3, first 2 shown]
	s_cbranch_scc0 .LBB1_18
; %bb.19:                               ;   in Loop: Header=BB1_17 Depth=3
	s_cmp_lt_i32 s17, 1
	s_cbranch_scc1 .LBB1_24
; %bb.20:                               ;   in Loop: Header=BB1_17 Depth=3
	s_mov_b32 s22, 0
	s_mov_b32 s23, s35
.LBB1_21:                               ;   Parent Loop BB1_3 Depth=1
                                        ;     Parent Loop BB1_14 Depth=2
                                        ;       Parent Loop BB1_17 Depth=3
                                        ; =>      This Loop Header: Depth=4
                                        ;           Child Loop BB1_22 Depth 5
	s_wait_alu 0xfffe
	v_lshl_add_u32 v18, s22, 4, v13
	s_mov_b64 s[20:21], 0
	s_mov_b32 s40, s23
	ds_load_b32 v18, v18
.LBB1_22:                               ;   Parent Loop BB1_3 Depth=1
                                        ;     Parent Loop BB1_14 Depth=2
                                        ;       Parent Loop BB1_17 Depth=3
                                        ;         Parent Loop BB1_21 Depth=4
                                        ; =>        This Inner Loop Header: Depth=5
	s_wait_alu 0xfffe
	s_cmp_eq_u32 s20, 1
	s_cselect_b32 vcc_lo, -1, 0
	s_wait_alu 0xfffe
	v_dual_mov_b32 v19, s40 :: v_dual_cndmask_b32 v20, v6, v7
	s_cmp_eq_u32 s20, 2
	s_cselect_b32 s1, -1, 0
	ds_load_b32 v19, v19
	s_wait_alu 0xfffe
	v_cndmask_b32_e64 v20, v20, v8, s1
	s_cmp_eq_u32 s20, 3
	s_cselect_b32 s2, -1, 0
	s_cmp_eq_u32 s20, 0
	s_wait_alu 0xfffe
	v_cndmask_b32_e64 v20, v20, v9, s2
	s_cselect_b32 s3, -1, 0
	s_add_nc_u64 s[20:21], s[20:21], 1
	s_add_co_i32 s40, s40, 16
	s_wait_alu 0xfffe
	s_cmp_eq_u32 s36, s20
	s_wait_dscnt 0x0
	v_fma_f32 v19, -v18, v19, v20
	s_delay_alu instid0(VALU_DEP_1)
	v_cndmask_b32_e64 v9, v9, v19, s2
	v_cndmask_b32_e64 v8, v8, v19, s1
	v_cndmask_b32_e32 v7, v7, v19, vcc_lo
	v_cndmask_b32_e64 v6, v6, v19, s3
	s_cbranch_scc0 .LBB1_22
; %bb.23:                               ;   in Loop: Header=BB1_21 Depth=4
	s_add_co_i32 s22, s22, 1
	s_add_co_i32 s23, s23, 4
	s_wait_alu 0xfffe
	s_cmp_eq_u32 s22, s17
	s_cbranch_scc0 .LBB1_21
.LBB1_24:                               ;   in Loop: Header=BB1_17 Depth=3
	s_lshl_b32 s40, s17, 4
	s_mov_b64 s[20:21], 0
	s_mov_b32 s41, s38
	s_branch .LBB1_27
.LBB1_25:                               ;   in Loop: Header=BB1_27 Depth=4
	s_mov_b32 s43, s17
	s_mov_b64 s[22:23], 0
	s_mov_b32 s42, s40
.LBB1_26:                               ;   in Loop: Header=BB1_27 Depth=4
	s_wait_alu 0xfffe
	s_mul_i32 s1, s43, 20
	s_cmp_eq_u32 s22, 1
	s_add_nc_u64 s[20:21], s[20:21], 1
	s_cselect_b32 vcc_lo, -1, 0
	s_wait_alu 0xfffe
	v_dual_mov_b32 v18, s1 :: v_dual_cndmask_b32 v19, v6, v7
	s_cmp_eq_u32 s22, 2
	s_cselect_b32 s1, -1, 0
	ds_load_b32 v18, v18
	s_wait_alu 0xfffe
	v_cndmask_b32_e64 v19, v19, v8, s1
	s_cmp_eq_u32 s22, 3
	s_cselect_b32 s2, -1, 0
	s_cmp_eq_u32 s22, 0
	s_wait_alu 0xfffe
	v_cndmask_b32_e64 v19, v19, v9, s2
	s_wait_dscnt 0x0
	s_delay_alu instid0(VALU_DEP_1) | instskip(NEXT) | instid1(VALU_DEP_1)
	v_dual_mul_f32 v18, v19, v18 :: v_dual_add_nc_u32 v19, s42, v13
	v_cndmask_b32_e32 v7, v7, v18, vcc_lo
	s_cselect_b32 vcc_lo, -1, 0
	v_cndmask_b32_e64 v9, v9, v18, s2
	v_cndmask_b32_e64 v8, v8, v18, s1
	s_wait_alu 0xfffe
	v_cndmask_b32_e32 v6, v6, v18, vcc_lo
	s_add_co_i32 s41, s41, 16
	s_cmp_eq_u32 s20, s36
	ds_store_b32 v19, v18
	s_cbranch_scc1 .LBB1_16
.LBB1_27:                               ;   Parent Loop BB1_3 Depth=1
                                        ;     Parent Loop BB1_14 Depth=2
                                        ;       Parent Loop BB1_17 Depth=3
                                        ; =>      This Loop Header: Depth=4
                                        ;           Child Loop BB1_29 Depth 5
	s_wait_alu 0xfffe
	s_cmp_eq_u32 s20, 0
	s_cbranch_scc1 .LBB1_25
; %bb.28:                               ;   in Loop: Header=BB1_27 Depth=4
	s_add_co_i32 s43, s20, s17
	s_mov_b64 s[22:23], 0
	s_wait_alu 0xfffe
	s_lshl_b32 s42, s43, 4
	s_mov_b32 s44, s41
.LBB1_29:                               ;   Parent Loop BB1_3 Depth=1
                                        ;     Parent Loop BB1_14 Depth=2
                                        ;       Parent Loop BB1_17 Depth=3
                                        ;         Parent Loop BB1_27 Depth=4
                                        ; =>        This Inner Loop Header: Depth=5
	s_cmp_eq_u32 s22, 1
	s_cselect_b32 vcc_lo, -1, 0
	s_wait_alu 0xfffe
	v_dual_mov_b32 v18, s44 :: v_dual_cndmask_b32 v19, v6, v7
	s_cmp_eq_u32 s22, 2
	s_cselect_b32 vcc_lo, -1, 0
	s_cmp_eq_u32 s22, 3
	ds_load_b32 v18, v18
	s_wait_alu 0xfffe
	v_cndmask_b32_e32 v19, v19, v8, vcc_lo
	s_cselect_b32 vcc_lo, -1, 0
	s_cmp_eq_u32 s20, 1
	s_add_nc_u64 s[22:23], s[22:23], 1
	s_cselect_b32 s1, -1, 0
	s_cmp_eq_u32 s20, 2
	s_wait_alu 0xfffe
	v_cndmask_b32_e64 v20, v6, v7, s1
	s_cselect_b32 s2, -1, 0
	s_cmp_eq_u32 s20, 3
	v_cndmask_b32_e32 v19, v19, v9, vcc_lo
	s_cselect_b32 vcc_lo, -1, 0
	s_wait_alu 0xfffe
	v_cndmask_b32_e64 v20, v20, v8, s2
	s_cmp_eq_u32 s20, 0
	s_cselect_b32 s3, -1, 0
	s_add_co_i32 s44, s44, 4
	s_delay_alu instid0(VALU_DEP_1) | instskip(SKIP_2) | instid1(VALU_DEP_1)
	v_cndmask_b32_e32 v20, v20, v9, vcc_lo
	s_cmp_eq_u32 s20, s22
	s_wait_dscnt 0x0
	v_fma_f32 v18, -v19, v18, v20
	s_delay_alu instid0(VALU_DEP_1)
	v_cndmask_b32_e32 v9, v9, v18, vcc_lo
	v_cndmask_b32_e64 v8, v8, v18, s2
	v_cndmask_b32_e64 v7, v7, v18, s1
	s_wait_alu 0xfffe
	v_cndmask_b32_e64 v6, v6, v18, s3
	s_cbranch_scc0 .LBB1_29
; %bb.30:                               ;   in Loop: Header=BB1_27 Depth=4
	s_mov_b64 s[22:23], s[20:21]
	s_branch .LBB1_26
.LBB1_31:                               ;   in Loop: Header=BB1_14 Depth=2
	s_cmp_lt_i32 s17, s26
	s_cselect_b32 s2, -1, 0
	s_add_co_i32 s1, s18, 1
	s_cmp_lt_u32 s18, 2
	s_cselect_b32 s3, -1, 0
	s_wait_alu 0xfffe
	s_and_b32 s2, s2, s3
	s_wait_alu 0xfffe
	s_and_b32 vcc_lo, exec_lo, s2
	s_wait_alu 0xfffe
	s_cbranch_vccz .LBB1_33
; %bb.32:                               ;   in Loop: Header=BB1_14 Depth=2
	s_mov_b32 s18, s1
	s_branch .LBB1_14
.LBB1_33:                               ;   in Loop: Header=BB1_3 Depth=1
	s_mov_b32 s1, 0
.LBB1_34:                               ;   in Loop: Header=BB1_3 Depth=1
	s_wait_alu 0xfffe
	s_and_b32 vcc_lo, exec_lo, s1
	s_wait_alu 0xfffe
	s_cbranch_vccz .LBB1_55
; %bb.35:                               ;   in Loop: Header=BB1_3 Depth=1
	s_mov_b32 s18, 0
	s_mov_b32 s17, s27
.LBB1_36:                               ;   Parent Loop BB1_3 Depth=1
                                        ; =>  This Loop Header: Depth=2
                                        ;       Child Loop BB1_39 Depth 3
                                        ;         Child Loop BB1_40 Depth 4
                                        ;         Child Loop BB1_42 Depth 4
                                        ;           Child Loop BB1_43 Depth 5
                                        ;         Child Loop BB1_48 Depth 4
                                        ;           Child Loop BB1_50 Depth 5
	s_getpc_b64 s[2:3]
	s_wait_alu 0xfffe
	s_sext_i32_i16 s3, s3
	s_add_co_u32 s2, s2, __const._ZL38rocblas_trsm_small_left_device_sharedBILi4ELi4ELb0EffPKPKfPKPfEv13rocblas_fill_18rocblas_operation_17rocblas_diagonal_iiT3_T4_lilT5_lili.step_sizes@rel32@lo+12
	s_wait_alu 0xfffe
	s_add_co_ci_u32 s3, s3, __const._ZL38rocblas_trsm_small_left_device_sharedBILi4ELi4ELb0EffPKPKfPKPfEv13rocblas_fill_18rocblas_operation_17rocblas_diagonal_iiT3_T4_lilT5_lili.step_sizes@rel32@hi+24
	s_lshl_b64 s[20:21], s[18:19], 2
	s_wait_alu 0xfffe
	s_add_nc_u64 s[2:3], s[2:3], s[20:21]
	s_load_b32 s33, s[2:3], 0x0
	s_wait_kmcnt 0x0
	s_add_co_i32 s34, s33, -1
	s_wait_alu 0xfffe
	s_cmp_lt_i32 s17, s34
	s_cbranch_scc1 .LBB1_52
; %bb.37:                               ;   in Loop: Header=BB1_36 Depth=2
	s_lshl_b32 s1, s33, 4
	v_lshl_add_u32 v6, s17, 4, v13
	s_wait_alu 0xfffe
	s_sub_co_i32 s36, 0, s1
	s_lshl_b32 s1, s17, 2
	s_lshl_b32 s2, s33, 2
	s_max_i32 s35, s33, 1
	s_wait_alu 0xfffe
	s_add_co_i32 s37, s31, s1
	s_sub_co_i32 s38, 0, s2
	s_mul_i32 s39, s17, 20
	s_mul_i32 s40, s33, 0xffffffec
	s_branch .LBB1_39
.LBB1_38:                               ;   in Loop: Header=BB1_39 Depth=3
	v_add_nc_u32_e32 v6, s36, v6
	s_sub_co_i32 s17, s17, s33
	s_add_co_i32 s37, s37, s38
	s_add_co_i32 s39, s39, s40
	s_wait_alu 0xfffe
	s_cmp_lt_i32 s17, s34
	s_cbranch_scc1 .LBB1_52
.LBB1_39:                               ;   Parent Loop BB1_3 Depth=1
                                        ;     Parent Loop BB1_36 Depth=2
                                        ; =>    This Loop Header: Depth=3
                                        ;         Child Loop BB1_40 Depth 4
                                        ;         Child Loop BB1_42 Depth 4
                                        ;           Child Loop BB1_43 Depth 5
                                        ;         Child Loop BB1_48 Depth 4
                                        ;           Child Loop BB1_50 Depth 5
	v_mov_b32_e32 v7, v6
	s_mov_b64 s[20:21], 0
.LBB1_40:                               ;   Parent Loop BB1_3 Depth=1
                                        ;     Parent Loop BB1_36 Depth=2
                                        ;       Parent Loop BB1_39 Depth=3
                                        ; =>      This Inner Loop Header: Depth=4
	ds_load_b32 v8, v7
	s_wait_alu 0xfffe
	s_cmp_eq_u32 s20, 3
	v_add_nc_u32_e32 v7, -16, v7
	s_cselect_b32 vcc_lo, -1, 0
	s_cmp_eq_u32 s20, 2
	s_cselect_b32 s1, -1, 0
	s_cmp_eq_u32 s20, 1
	s_cselect_b32 s2, -1, 0
	s_cmp_eq_u32 s20, 0
	s_add_nc_u64 s[20:21], s[20:21], 1
	s_cselect_b32 s3, -1, 0
	s_wait_alu 0xfffe
	s_cmp_eq_u32 s35, s20
	s_wait_dscnt 0x0
	v_cndmask_b32_e32 v5, v5, v8, vcc_lo
	v_cndmask_b32_e64 v4, v4, v8, s1
	v_cndmask_b32_e64 v3, v3, v8, s2
	v_cndmask_b32_e64 v2, v2, v8, s3
	s_cbranch_scc0 .LBB1_40
; %bb.41:                               ;   in Loop: Header=BB1_39 Depth=3
	s_cmp_le_i32 s27, s17
	s_mov_b32 s22, s37
	s_mov_b32 s23, s27
	s_cbranch_scc1 .LBB1_45
.LBB1_42:                               ;   Parent Loop BB1_3 Depth=1
                                        ;     Parent Loop BB1_36 Depth=2
                                        ;       Parent Loop BB1_39 Depth=3
                                        ; =>      This Loop Header: Depth=4
                                        ;           Child Loop BB1_43 Depth 5
	s_wait_alu 0xfffe
	v_lshl_add_u32 v7, s23, 4, v13
	s_mov_b64 s[20:21], 0
	s_mov_b32 s41, s22
	ds_load_b32 v7, v7
.LBB1_43:                               ;   Parent Loop BB1_3 Depth=1
                                        ;     Parent Loop BB1_36 Depth=2
                                        ;       Parent Loop BB1_39 Depth=3
                                        ;         Parent Loop BB1_42 Depth=4
                                        ; =>        This Inner Loop Header: Depth=5
	s_wait_alu 0xfffe
	s_cmp_eq_u32 s20, 1
	s_cselect_b32 vcc_lo, -1, 0
	s_wait_alu 0xfffe
	v_dual_mov_b32 v8, s41 :: v_dual_cndmask_b32 v9, v2, v3
	s_cmp_eq_u32 s20, 2
	s_cselect_b32 s1, -1, 0
	ds_load_b32 v8, v8
	s_wait_alu 0xfffe
	v_cndmask_b32_e64 v9, v9, v4, s1
	s_cmp_eq_u32 s20, 3
	s_cselect_b32 s2, -1, 0
	s_cmp_eq_u32 s20, 0
	s_wait_alu 0xfffe
	v_cndmask_b32_e64 v9, v9, v5, s2
	s_cselect_b32 s3, -1, 0
	s_add_nc_u64 s[20:21], s[20:21], 1
	s_add_co_i32 s41, s41, -4
	s_wait_alu 0xfffe
	s_cmp_eq_u32 s35, s20
	s_wait_dscnt 0x0
	v_fma_f32 v8, -v7, v8, v9
	s_delay_alu instid0(VALU_DEP_1)
	v_cndmask_b32_e64 v5, v5, v8, s2
	v_cndmask_b32_e64 v4, v4, v8, s1
	v_cndmask_b32_e32 v3, v3, v8, vcc_lo
	v_cndmask_b32_e64 v2, v2, v8, s3
	s_cbranch_scc0 .LBB1_43
; %bb.44:                               ;   in Loop: Header=BB1_42 Depth=4
	s_add_co_i32 s23, s23, -1
	s_add_co_i32 s22, s22, -16
	s_wait_alu 0xfffe
	s_cmp_le_i32 s23, s17
	s_cbranch_scc0 .LBB1_42
.LBB1_45:                               ;   in Loop: Header=BB1_39 Depth=3
	s_mov_b64 s[20:21], 0
	s_mov_b32 s41, s39
	s_branch .LBB1_48
.LBB1_46:                               ;   in Loop: Header=BB1_48 Depth=4
	s_mov_b32 s42, s17
	s_mov_b64 s[22:23], 0
.LBB1_47:                               ;   in Loop: Header=BB1_48 Depth=4
	s_wait_alu 0xfffe
	s_mul_i32 s1, s42, 20
	s_cmp_eq_u32 s22, 1
	s_add_nc_u64 s[20:21], s[20:21], 1
	s_cselect_b32 vcc_lo, -1, 0
	s_wait_alu 0xfffe
	v_dual_mov_b32 v7, s1 :: v_dual_cndmask_b32 v8, v2, v3
	s_cmp_eq_u32 s22, 2
	s_cselect_b32 s1, -1, 0
	ds_load_b32 v7, v7
	s_wait_alu 0xfffe
	v_cndmask_b32_e64 v8, v8, v4, s1
	s_cmp_eq_u32 s22, 3
	s_cselect_b32 s2, -1, 0
	s_cmp_eq_u32 s22, 0
	s_wait_alu 0xfffe
	v_cndmask_b32_e64 v8, v8, v5, s2
	s_wait_dscnt 0x0
	s_delay_alu instid0(VALU_DEP_1) | instskip(SKIP_1) | instid1(VALU_DEP_2)
	v_mul_f32_e32 v7, v8, v7
	v_lshl_add_u32 v8, s42, 4, v13
	v_cndmask_b32_e32 v3, v3, v7, vcc_lo
	s_cselect_b32 vcc_lo, -1, 0
	v_cndmask_b32_e64 v5, v5, v7, s2
	v_cndmask_b32_e64 v4, v4, v7, s1
	s_wait_alu 0xfffe
	v_cndmask_b32_e32 v2, v2, v7, vcc_lo
	s_add_co_i32 s41, s41, -4
	s_cmp_eq_u32 s20, s35
	ds_store_b32 v8, v7
	s_cbranch_scc1 .LBB1_38
.LBB1_48:                               ;   Parent Loop BB1_3 Depth=1
                                        ;     Parent Loop BB1_36 Depth=2
                                        ;       Parent Loop BB1_39 Depth=3
                                        ; =>      This Loop Header: Depth=4
                                        ;           Child Loop BB1_50 Depth 5
	s_wait_alu 0xfffe
	s_cmp_eq_u32 s20, 0
	s_cbranch_scc1 .LBB1_46
; %bb.49:                               ;   in Loop: Header=BB1_48 Depth=4
	s_sub_co_i32 s42, s17, s20
	s_mov_b64 s[22:23], 0
	s_mov_b32 s43, s41
.LBB1_50:                               ;   Parent Loop BB1_3 Depth=1
                                        ;     Parent Loop BB1_36 Depth=2
                                        ;       Parent Loop BB1_39 Depth=3
                                        ;         Parent Loop BB1_48 Depth=4
                                        ; =>        This Inner Loop Header: Depth=5
	s_wait_alu 0xfffe
	s_cmp_eq_u32 s22, 1
	s_cselect_b32 vcc_lo, -1, 0
	s_wait_alu 0xfffe
	v_dual_mov_b32 v7, s43 :: v_dual_cndmask_b32 v8, v2, v3
	s_cmp_eq_u32 s22, 2
	s_cselect_b32 vcc_lo, -1, 0
	s_cmp_eq_u32 s22, 3
	ds_load_b32 v7, v7
	s_wait_alu 0xfffe
	v_cndmask_b32_e32 v8, v8, v4, vcc_lo
	s_cselect_b32 vcc_lo, -1, 0
	s_cmp_eq_u32 s20, 1
	s_add_nc_u64 s[22:23], s[22:23], 1
	s_cselect_b32 s1, -1, 0
	s_cmp_eq_u32 s20, 2
	s_wait_alu 0xfffe
	v_cndmask_b32_e64 v9, v2, v3, s1
	s_cselect_b32 s2, -1, 0
	s_cmp_eq_u32 s20, 3
	v_cndmask_b32_e32 v8, v8, v5, vcc_lo
	s_cselect_b32 vcc_lo, -1, 0
	s_wait_alu 0xfffe
	v_cndmask_b32_e64 v9, v9, v4, s2
	s_cmp_eq_u32 s20, 0
	s_cselect_b32 s3, -1, 0
	s_add_co_i32 s43, s43, -16
	s_delay_alu instid0(VALU_DEP_1) | instskip(SKIP_2) | instid1(VALU_DEP_1)
	v_cndmask_b32_e32 v9, v9, v5, vcc_lo
	s_cmp_eq_u32 s20, s22
	s_wait_dscnt 0x0
	v_fma_f32 v7, -v8, v7, v9
	s_delay_alu instid0(VALU_DEP_1)
	v_cndmask_b32_e32 v5, v5, v7, vcc_lo
	v_cndmask_b32_e64 v4, v4, v7, s2
	v_cndmask_b32_e64 v3, v3, v7, s1
	s_wait_alu 0xfffe
	v_cndmask_b32_e64 v2, v2, v7, s3
	s_cbranch_scc0 .LBB1_50
; %bb.51:                               ;   in Loop: Header=BB1_48 Depth=4
	s_mov_b64 s[22:23], s[20:21]
	s_branch .LBB1_47
.LBB1_52:                               ;   in Loop: Header=BB1_36 Depth=2
	s_cmp_gt_i32 s17, -1
	s_cselect_b32 s2, -1, 0
	s_add_co_i32 s1, s18, 1
	s_cmp_lt_u32 s18, 2
	s_cselect_b32 s3, -1, 0
	s_wait_alu 0xfffe
	s_and_b32 s2, s2, s3
	s_wait_alu 0xfffe
	s_and_not1_b32 vcc_lo, exec_lo, s2
	s_wait_alu 0xfffe
	s_cbranch_vccnz .LBB1_54
; %bb.53:                               ;   in Loop: Header=BB1_36 Depth=2
	s_mov_b32 s18, s1
	s_branch .LBB1_36
.LBB1_54:                               ;   in Loop: Header=BB1_3 Depth=1
	v_dual_mov_b32 v9, v5 :: v_dual_mov_b32 v8, v4
	v_dual_mov_b32 v7, v3 :: v_dual_mov_b32 v6, v2
.LBB1_55:                               ;   in Loop: Header=BB1_3 Depth=1
	; wave barrier
	s_wait_loadcnt_dscnt 0x0
	global_inv scope:SCOPE_SE
	s_and_saveexec_b32 s1, s30
	s_cbranch_execz .LBB1_2
; %bb.56:                               ;   in Loop: Header=BB1_3 Depth=1
	v_add_co_u32 v2, vcc_lo, v15, v10
	s_wait_alu 0xfffd
	v_add_co_ci_u32_e64 v3, null, v16, v11, vcc_lo
	v_mov_b32_e32 v4, v13
	s_mov_b32 s2, s26
.LBB1_57:                               ;   Parent Loop BB1_3 Depth=1
                                        ; =>  This Inner Loop Header: Depth=2
	ds_load_b32 v5, v4
	v_add_nc_u32_e32 v4, 16, v4
	s_wait_alu 0xfffe
	s_add_co_i32 s2, s2, -1
	s_wait_alu 0xfffe
	s_cmp_lg_u32 s2, 0
	s_wait_dscnt 0x0
	flat_store_b32 v[2:3], v5
	v_add_co_u32 v2, vcc_lo, v2, 4
	s_wait_alu 0xfffd
	v_add_co_ci_u32_e64 v3, null, 0, v3, vcc_lo
	s_cbranch_scc1 .LBB1_57
	s_branch .LBB1_2
.LBB1_58:
	s_endpgm
	.section	.rodata,"a",@progbits
	.p2align	6, 0x0
	.amdhsa_kernel _ZL38rocblas_trsm_small_left_device_sharedBILi4ELi4ELb0EffPKPKfPKPfEv13rocblas_fill_18rocblas_operation_17rocblas_diagonal_iiT3_T4_lilT5_lili
		.amdhsa_group_segment_fixed_size 128
		.amdhsa_private_segment_fixed_size 0
		.amdhsa_kernarg_size 352
		.amdhsa_user_sgpr_count 2
		.amdhsa_user_sgpr_dispatch_ptr 0
		.amdhsa_user_sgpr_queue_ptr 0
		.amdhsa_user_sgpr_kernarg_segment_ptr 1
		.amdhsa_user_sgpr_dispatch_id 0
		.amdhsa_user_sgpr_private_segment_size 0
		.amdhsa_wavefront_size32 1
		.amdhsa_uses_dynamic_stack 0
		.amdhsa_enable_private_segment 0
		.amdhsa_system_sgpr_workgroup_id_x 1
		.amdhsa_system_sgpr_workgroup_id_y 0
		.amdhsa_system_sgpr_workgroup_id_z 1
		.amdhsa_system_sgpr_workgroup_info 0
		.amdhsa_system_vgpr_workitem_id 0
		.amdhsa_next_free_vgpr 21
		.amdhsa_next_free_sgpr 45
		.amdhsa_reserve_vcc 1
		.amdhsa_float_round_mode_32 0
		.amdhsa_float_round_mode_16_64 0
		.amdhsa_float_denorm_mode_32 3
		.amdhsa_float_denorm_mode_16_64 3
		.amdhsa_fp16_overflow 0
		.amdhsa_workgroup_processor_mode 1
		.amdhsa_memory_ordered 1
		.amdhsa_forward_progress 1
		.amdhsa_inst_pref_size 23
		.amdhsa_round_robin_scheduling 0
		.amdhsa_exception_fp_ieee_invalid_op 0
		.amdhsa_exception_fp_denorm_src 0
		.amdhsa_exception_fp_ieee_div_zero 0
		.amdhsa_exception_fp_ieee_overflow 0
		.amdhsa_exception_fp_ieee_underflow 0
		.amdhsa_exception_fp_ieee_inexact 0
		.amdhsa_exception_int_div_zero 0
	.end_amdhsa_kernel
	.section	.text._ZL38rocblas_trsm_small_left_device_sharedBILi4ELi4ELb0EffPKPKfPKPfEv13rocblas_fill_18rocblas_operation_17rocblas_diagonal_iiT3_T4_lilT5_lili,"axG",@progbits,_ZL38rocblas_trsm_small_left_device_sharedBILi4ELi4ELb0EffPKPKfPKPfEv13rocblas_fill_18rocblas_operation_17rocblas_diagonal_iiT3_T4_lilT5_lili,comdat
.Lfunc_end1:
	.size	_ZL38rocblas_trsm_small_left_device_sharedBILi4ELi4ELb0EffPKPKfPKPfEv13rocblas_fill_18rocblas_operation_17rocblas_diagonal_iiT3_T4_lilT5_lili, .Lfunc_end1-_ZL38rocblas_trsm_small_left_device_sharedBILi4ELi4ELb0EffPKPKfPKPfEv13rocblas_fill_18rocblas_operation_17rocblas_diagonal_iiT3_T4_lilT5_lili
                                        ; -- End function
	.set _ZL38rocblas_trsm_small_left_device_sharedBILi4ELi4ELb0EffPKPKfPKPfEv13rocblas_fill_18rocblas_operation_17rocblas_diagonal_iiT3_T4_lilT5_lili.num_vgpr, 21
	.set _ZL38rocblas_trsm_small_left_device_sharedBILi4ELi4ELb0EffPKPKfPKPfEv13rocblas_fill_18rocblas_operation_17rocblas_diagonal_iiT3_T4_lilT5_lili.num_agpr, 0
	.set _ZL38rocblas_trsm_small_left_device_sharedBILi4ELi4ELb0EffPKPKfPKPfEv13rocblas_fill_18rocblas_operation_17rocblas_diagonal_iiT3_T4_lilT5_lili.numbered_sgpr, 45
	.set _ZL38rocblas_trsm_small_left_device_sharedBILi4ELi4ELb0EffPKPKfPKPfEv13rocblas_fill_18rocblas_operation_17rocblas_diagonal_iiT3_T4_lilT5_lili.num_named_barrier, 0
	.set _ZL38rocblas_trsm_small_left_device_sharedBILi4ELi4ELb0EffPKPKfPKPfEv13rocblas_fill_18rocblas_operation_17rocblas_diagonal_iiT3_T4_lilT5_lili.private_seg_size, 0
	.set _ZL38rocblas_trsm_small_left_device_sharedBILi4ELi4ELb0EffPKPKfPKPfEv13rocblas_fill_18rocblas_operation_17rocblas_diagonal_iiT3_T4_lilT5_lili.uses_vcc, 1
	.set _ZL38rocblas_trsm_small_left_device_sharedBILi4ELi4ELb0EffPKPKfPKPfEv13rocblas_fill_18rocblas_operation_17rocblas_diagonal_iiT3_T4_lilT5_lili.uses_flat_scratch, 0
	.set _ZL38rocblas_trsm_small_left_device_sharedBILi4ELi4ELb0EffPKPKfPKPfEv13rocblas_fill_18rocblas_operation_17rocblas_diagonal_iiT3_T4_lilT5_lili.has_dyn_sized_stack, 0
	.set _ZL38rocblas_trsm_small_left_device_sharedBILi4ELi4ELb0EffPKPKfPKPfEv13rocblas_fill_18rocblas_operation_17rocblas_diagonal_iiT3_T4_lilT5_lili.has_recursion, 0
	.set _ZL38rocblas_trsm_small_left_device_sharedBILi4ELi4ELb0EffPKPKfPKPfEv13rocblas_fill_18rocblas_operation_17rocblas_diagonal_iiT3_T4_lilT5_lili.has_indirect_call, 0
	.section	.AMDGPU.csdata,"",@progbits
; Kernel info:
; codeLenInByte = 2884
; TotalNumSgprs: 47
; NumVgprs: 21
; ScratchSize: 0
; MemoryBound: 0
; FloatMode: 240
; IeeeMode: 1
; LDSByteSize: 128 bytes/workgroup (compile time only)
; SGPRBlocks: 0
; VGPRBlocks: 2
; NumSGPRsForWavesPerEU: 47
; NumVGPRsForWavesPerEU: 21
; Occupancy: 16
; WaveLimiterHint : 0
; COMPUTE_PGM_RSRC2:SCRATCH_EN: 0
; COMPUTE_PGM_RSRC2:USER_SGPR: 2
; COMPUTE_PGM_RSRC2:TRAP_HANDLER: 0
; COMPUTE_PGM_RSRC2:TGID_X_EN: 1
; COMPUTE_PGM_RSRC2:TGID_Y_EN: 0
; COMPUTE_PGM_RSRC2:TGID_Z_EN: 1
; COMPUTE_PGM_RSRC2:TIDIG_COMP_CNT: 0
	.section	.text._ZL30rocblas_trsm_small_left_deviceILi4ELi4ELb0EffPKPKfPKPfEv13rocblas_fill_18rocblas_operation_17rocblas_diagonal_iiT3_T4_lilT5_lili,"axG",@progbits,_ZL30rocblas_trsm_small_left_deviceILi4ELi4ELb0EffPKPKfPKPfEv13rocblas_fill_18rocblas_operation_17rocblas_diagonal_iiT3_T4_lilT5_lili,comdat
	.globl	_ZL30rocblas_trsm_small_left_deviceILi4ELi4ELb0EffPKPKfPKPfEv13rocblas_fill_18rocblas_operation_17rocblas_diagonal_iiT3_T4_lilT5_lili ; -- Begin function _ZL30rocblas_trsm_small_left_deviceILi4ELi4ELb0EffPKPKfPKPfEv13rocblas_fill_18rocblas_operation_17rocblas_diagonal_iiT3_T4_lilT5_lili
	.p2align	8
	.type	_ZL30rocblas_trsm_small_left_deviceILi4ELi4ELb0EffPKPKfPKPfEv13rocblas_fill_18rocblas_operation_17rocblas_diagonal_iiT3_T4_lilT5_lili,@function
_ZL30rocblas_trsm_small_left_deviceILi4ELi4ELb0EffPKPKfPKPfEv13rocblas_fill_18rocblas_operation_17rocblas_diagonal_iiT3_T4_lilT5_lili: ; @_ZL30rocblas_trsm_small_left_deviceILi4ELi4ELb0EffPKPKfPKPfEv13rocblas_fill_18rocblas_operation_17rocblas_diagonal_iiT3_T4_lilT5_lili
; %bb.0:
	s_load_b32 s33, s[0:1], 0x58
	s_lshr_b32 s6, ttmp7, 16
	s_wait_kmcnt 0x0
	s_cmp_ge_u32 s6, s33
	s_cbranch_scc1 .LBB2_54
; %bb.1:
	s_clause 0x6
	s_load_b32 s2, s[0:1], 0x28
	s_load_b128 s[16:19], s[0:1], 0x4
	s_load_b32 s4, s[0:1], 0x60
	s_load_b32 s5, s[0:1], 0x48
	s_load_b128 s[8:11], s[0:1], 0x18
	s_load_b128 s[12:15], s[0:1], 0x38
	s_load_b32 s36, s[0:1], 0x14
	s_lshl_b32 s0, ttmp9, 2
	v_dual_mov_b32 v1, 0 :: v_dual_lshlrev_b32 v18, 2, v0
	v_or_b32_e32 v2, s0, v0
	v_lshlrev_b32_e32 v5, 4, v0
	s_mov_b32 s42, 0
	s_delay_alu instid0(VALU_DEP_3)
	v_mov_b32_e32 v4, v1
	s_wait_kmcnt 0x0
	s_ashr_i32 s3, s2, 31
	s_min_i32 s37, s18, 4
	s_add_co_i32 s4, s4, -1
	v_mad_co_i64_i32 v[2:3], null, s5, v2, 0
	s_sub_co_i32 s0, s19, s0
	s_add_co_i32 s38, s37, -1
	s_wait_alu 0xfffe
	s_cmp_ge_u32 ttmp9, s4
	s_mov_b32 s19, 0
	s_cselect_b32 s1, s0, 4
	s_cmp_lg_u32 s17, 0x84
	v_lshlrev_b64_e32 v[10:11], 2, v[2:3]
	s_cselect_b32 s39, -1, 0
	s_cmp_lg_u32 s16, 0x6f
	v_mov_b32_e32 v3, v1
	s_cselect_b32 s40, -1, 0
	s_lshl_b64 s[14:15], s[14:15], 2
	v_mov_b32_e32 v2, v1
	v_add_co_u32 v19, vcc_lo, v10, s14
	v_cmp_gt_i32_e64 s0, s37, v0
	s_wait_alu 0xfffe
	v_cmp_gt_i32_e64 s1, s1, v0
	v_lshlrev_b32_e32 v0, 2, v0
	v_add_nc_u32_e32 v21, v18, v5
	v_mov_b32_e32 v5, v4
	v_add_co_ci_u32_e64 v20, null, s15, v11, vcc_lo
	v_mov_b32_e32 v4, v3
	v_mov_b32_e32 v3, v2
	;; [unrolled: 1-line block ×3, first 2 shown]
	s_lshl_b32 s41, s37, 4
	s_lshl_b64 s[16:17], s[2:3], 2
	s_add_co_i32 s41, s41, -16
	s_lshl_b64 s[10:11], s[10:11], 2
	s_branch .LBB2_5
.LBB2_2:                                ;   in Loop: Header=BB2_5 Depth=1
	v_dual_mov_b32 v9, v5 :: v_dual_mov_b32 v8, v4
	v_dual_mov_b32 v7, v3 :: v_dual_mov_b32 v6, v2
.LBB2_3:                                ;   in Loop: Header=BB2_5 Depth=1
	s_add_co_i32 s6, s6, 0x10000
	s_delay_alu instid0(SALU_CYCLE_1)
	s_cmp_ge_u32 s6, s33
	s_cselect_b32 s2, -1, 0
	s_wait_alu 0xfffe
	s_or_not1_b32 s2, s2, exec_lo
.LBB2_4:                                ;   in Loop: Header=BB2_5 Depth=1
	s_or_b32 exec_lo, exec_lo, s7
	v_dual_mov_b32 v2, v6 :: v_dual_mov_b32 v3, v7
	v_dual_mov_b32 v4, v8 :: v_dual_mov_b32 v5, v9
	s_wait_alu 0xfffe
	s_and_b32 s2, exec_lo, s2
	s_wait_alu 0xfffe
	s_or_b32 s42, s2, s42
	s_delay_alu instid0(SALU_CYCLE_1)
	s_and_not1_b32 exec_lo, exec_lo, s42
	s_cbranch_execz .LBB2_54
.LBB2_5:                                ; =>This Loop Header: Depth=1
                                        ;     Child Loop BB2_7 Depth 2
                                        ;     Child Loop BB2_14 Depth 2
                                        ;       Child Loop BB2_17 Depth 3
                                        ;         Child Loop BB2_18 Depth 4
                                        ;         Child Loop BB2_21 Depth 4
                                        ;           Child Loop BB2_22 Depth 5
                                        ;         Child Loop BB2_27 Depth 4
                                        ;           Child Loop BB2_29 Depth 5
                                        ;     Child Loop BB2_36 Depth 2
                                        ;       Child Loop BB2_39 Depth 3
                                        ;         Child Loop BB2_40 Depth 4
                                        ;         Child Loop BB2_42 Depth 4
                                        ;           Child Loop BB2_43 Depth 5
                                        ;         Child Loop BB2_48 Depth 4
                                        ;           Child Loop BB2_50 Depth 5
	s_mov_b32 s7, s19
	s_delay_alu instid0(SALU_CYCLE_1)
	s_lshl_b64 s[2:3], s[6:7], 3
	s_wait_alu 0xfffe
	s_add_nc_u64 s[4:5], s[12:13], s[2:3]
	global_load_b64 v[12:13], v1, s[4:5]
	s_and_saveexec_b32 s4, s0
	s_cbranch_execz .LBB2_11
; %bb.6:                                ;   in Loop: Header=BB2_5 Depth=1
	s_add_nc_u64 s[2:3], s[8:9], s[2:3]
	v_mov_b32_e32 v8, v18
	global_load_b64 v[6:7], v1, s[2:3]
	s_mov_b32 s2, s37
	s_wait_loadcnt 0x0
	v_add_co_u32 v6, vcc_lo, v6, s10
	s_wait_alu 0xfffd
	v_add_co_ci_u32_e64 v7, null, s11, v7, vcc_lo
	s_delay_alu instid0(VALU_DEP_2) | instskip(SKIP_1) | instid1(VALU_DEP_2)
	v_add_co_u32 v6, vcc_lo, v6, v0
	s_wait_alu 0xfffd
	v_add_co_ci_u32_e64 v7, null, 0, v7, vcc_lo
.LBB2_7:                                ;   Parent Loop BB2_5 Depth=1
                                        ; =>  This Inner Loop Header: Depth=2
	flat_load_b32 v9, v[6:7]
	v_add_co_u32 v6, vcc_lo, v6, s16
	s_wait_alu 0xfffd
	v_add_co_ci_u32_e64 v7, null, s17, v7, vcc_lo
	s_wait_alu 0xfffe
	s_add_co_i32 s2, s2, -1
	s_wait_alu 0xfffe
	s_cmp_eq_u32 s2, 0
	s_wait_loadcnt_dscnt 0x0
	ds_store_b32 v8, v9
	v_add_nc_u32_e32 v8, 16, v8
	s_cbranch_scc0 .LBB2_7
; %bb.8:                                ;   in Loop: Header=BB2_5 Depth=1
	v_mov_b32_e32 v6, 1.0
	s_and_b32 vcc_lo, exec_lo, s39
	s_wait_alu 0xfffe
	s_cbranch_vccz .LBB2_10
; %bb.9:                                ;   in Loop: Header=BB2_5 Depth=1
	ds_load_b32 v6, v21
	s_wait_dscnt 0x0
	v_div_scale_f32 v7, null, v6, v6, 1.0
	s_delay_alu instid0(VALU_DEP_1) | instskip(NEXT) | instid1(TRANS32_DEP_1)
	v_rcp_f32_e32 v8, v7
	v_fma_f32 v9, -v7, v8, 1.0
	s_delay_alu instid0(VALU_DEP_1) | instskip(SKIP_1) | instid1(VALU_DEP_1)
	v_fmac_f32_e32 v8, v9, v8
	v_div_scale_f32 v9, vcc_lo, 1.0, v6, 1.0
	v_mul_f32_e32 v14, v9, v8
	s_delay_alu instid0(VALU_DEP_1) | instskip(NEXT) | instid1(VALU_DEP_1)
	v_fma_f32 v15, -v7, v14, v9
	v_fmac_f32_e32 v14, v15, v8
	s_delay_alu instid0(VALU_DEP_1) | instskip(SKIP_1) | instid1(VALU_DEP_1)
	v_fma_f32 v7, -v7, v14, v9
	s_wait_alu 0xfffd
	v_div_fmas_f32 v7, v7, v8, v14
	s_delay_alu instid0(VALU_DEP_1)
	v_div_fixup_f32 v6, v7, v6, 1.0
.LBB2_10:                               ;   in Loop: Header=BB2_5 Depth=1
	ds_store_b32 v21, v6
.LBB2_11:                               ;   in Loop: Header=BB2_5 Depth=1
	s_wait_alu 0xfffe
	s_or_b32 exec_lo, exec_lo, s4
	s_mov_b32 s2, -1
	; wave barrier
	s_wait_loadcnt_dscnt 0x0
	global_inv scope:SCOPE_SE
                                        ; implicit-def: $vgpr6_vgpr7_vgpr8_vgpr9
	s_and_saveexec_b32 s7, s1
	s_cbranch_execz .LBB2_4
; %bb.12:                               ;   in Loop: Header=BB2_5 Depth=1
	v_add_co_u32 v6, vcc_lo, v12, s14
	s_wait_alu 0xfffd
	v_add_co_ci_u32_e64 v7, null, s15, v13, vcc_lo
	s_delay_alu instid0(VALU_DEP_2) | instskip(SKIP_1) | instid1(VALU_DEP_2)
	v_add_co_u32 v22, vcc_lo, v6, v10
	s_wait_alu 0xfffd
	v_add_co_ci_u32_e64 v23, null, v7, v11, vcc_lo
	s_and_not1_b32 vcc_lo, exec_lo, s40
                                        ; implicit-def: $vgpr6_vgpr7_vgpr8_vgpr9
	s_wait_alu 0xfffe
	s_cbranch_vccnz .LBB2_34
; %bb.13:                               ;   in Loop: Header=BB2_5 Depth=1
	v_add_co_u32 v24, vcc_lo, v12, v19
	v_dual_mov_b32 v9, v5 :: v_dual_mov_b32 v8, v4
	s_wait_alu 0xfffd
	v_add_co_ci_u32_e64 v25, null, v13, v20, vcc_lo
	v_dual_mov_b32 v7, v3 :: v_dual_mov_b32 v6, v2
	s_mov_b32 s22, 0
	s_mov_b32 s20, 0
.LBB2_14:                               ;   Parent Loop BB2_5 Depth=1
                                        ; =>  This Loop Header: Depth=2
                                        ;       Child Loop BB2_17 Depth 3
                                        ;         Child Loop BB2_18 Depth 4
                                        ;         Child Loop BB2_21 Depth 4
                                        ;           Child Loop BB2_22 Depth 5
                                        ;         Child Loop BB2_27 Depth 4
                                        ;           Child Loop BB2_29 Depth 5
	s_mov_b32 s23, s19
	s_getpc_b64 s[2:3]
	s_wait_alu 0xfffe
	s_sext_i32_i16 s3, s3
	s_add_co_u32 s2, s2, __const._ZL30rocblas_trsm_small_left_deviceILi4ELi4ELb0EffPKPKfPKPfEv13rocblas_fill_18rocblas_operation_17rocblas_diagonal_iiT3_T4_lilT5_lili.step_sizes@rel32@lo+12
	s_wait_alu 0xfffe
	s_add_co_ci_u32 s3, s3, __const._ZL30rocblas_trsm_small_left_deviceILi4ELi4ELb0EffPKPKfPKPfEv13rocblas_fill_18rocblas_operation_17rocblas_diagonal_iiT3_T4_lilT5_lili.step_sizes@rel32@hi+24
	s_lshl_b64 s[4:5], s[22:23], 2
	s_wait_alu 0xfffe
	s_add_nc_u64 s[2:3], s[2:3], s[4:5]
	s_load_b32 s24, s[2:3], 0x0
	s_wait_kmcnt 0x0
	s_add_co_i32 s23, s24, -1
	s_wait_alu 0xfffe
	s_add_co_i32 s2, s23, s20
	s_wait_alu 0xfffe
	s_cmp_ge_i32 s2, s37
	s_cbranch_scc1 .LBB2_31
; %bb.15:                               ;   in Loop: Header=BB2_14 Depth=2
	s_ashr_i32 s21, s20, 31
	s_ashr_i32 s25, s24, 31
	s_lshl_b64 s[2:3], s[20:21], 2
	s_max_i32 s43, s24, 1
	s_wait_alu 0xfffe
	v_add_co_u32 v14, vcc_lo, v24, s2
	s_wait_alu 0xfffd
	v_add_co_ci_u32_e64 v15, null, s3, v25, vcc_lo
	s_lshl_b64 s[26:27], s[24:25], 2
	s_lshl_b32 s21, s20, 4
	s_lshl_b32 s25, s24, 4
	s_mul_i32 s44, s20, 20
	s_mul_i32 s45, s24, 20
	s_branch .LBB2_17
.LBB2_16:                               ;   in Loop: Header=BB2_17 Depth=3
	v_add_co_u32 v14, vcc_lo, v14, s26
	s_add_co_i32 s20, s20, s24
	s_wait_alu 0xfffd
	v_add_co_ci_u32_e64 v15, null, s27, v15, vcc_lo
	s_add_co_i32 s2, s23, s20
	s_add_co_i32 s21, s21, s25
	;; [unrolled: 1-line block ×3, first 2 shown]
	s_wait_alu 0xfffe
	s_cmp_ge_i32 s2, s37
	s_cbranch_scc1 .LBB2_31
.LBB2_17:                               ;   Parent Loop BB2_5 Depth=1
                                        ;     Parent Loop BB2_14 Depth=2
                                        ; =>    This Loop Header: Depth=3
                                        ;         Child Loop BB2_18 Depth 4
                                        ;         Child Loop BB2_21 Depth 4
                                        ;           Child Loop BB2_22 Depth 5
                                        ;         Child Loop BB2_27 Depth 4
                                        ;           Child Loop BB2_29 Depth 5
	v_dual_mov_b32 v17, v15 :: v_dual_mov_b32 v16, v14
	s_mov_b64 s[4:5], 0
.LBB2_18:                               ;   Parent Loop BB2_5 Depth=1
                                        ;     Parent Loop BB2_14 Depth=2
                                        ;       Parent Loop BB2_17 Depth=3
                                        ; =>      This Inner Loop Header: Depth=4
	flat_load_b32 v26, v[16:17]
	s_wait_alu 0xfffe
	s_cmp_eq_u32 s4, 3
	v_add_co_u32 v16, vcc_lo, v16, 4
	s_wait_alu 0xfffd
	v_add_co_ci_u32_e64 v17, null, 0, v17, vcc_lo
	s_cselect_b32 vcc_lo, -1, 0
	s_cmp_eq_u32 s4, 2
	s_cselect_b32 s2, -1, 0
	s_cmp_eq_u32 s4, 1
	s_cselect_b32 s3, -1, 0
	s_cmp_eq_u32 s4, 0
	s_add_nc_u64 s[4:5], s[4:5], 1
	s_wait_loadcnt_dscnt 0x0
	v_mul_f32_e32 v26, s36, v26
	s_wait_alu 0xfffe
	s_delay_alu instid0(VALU_DEP_1)
	v_cndmask_b32_e32 v9, v9, v26, vcc_lo
	s_cselect_b32 vcc_lo, -1, 0
	v_cndmask_b32_e64 v8, v8, v26, s2
	v_cndmask_b32_e64 v7, v7, v26, s3
	s_wait_alu 0xfffe
	v_cndmask_b32_e32 v6, v6, v26, vcc_lo
	s_cmp_eq_u32 s43, s4
	s_cbranch_scc0 .LBB2_18
; %bb.19:                               ;   in Loop: Header=BB2_17 Depth=3
	s_cmp_lt_i32 s20, 1
	s_cbranch_scc1 .LBB2_24
; %bb.20:                               ;   in Loop: Header=BB2_17 Depth=3
	s_mov_b32 s18, 0
	s_mov_b32 s5, s21
.LBB2_21:                               ;   Parent Loop BB2_5 Depth=1
                                        ;     Parent Loop BB2_14 Depth=2
                                        ;       Parent Loop BB2_17 Depth=3
                                        ; =>      This Loop Header: Depth=4
                                        ;           Child Loop BB2_22 Depth 5
	s_lshl_b64 s[2:3], s[18:19], 2
	s_mov_b64 s[28:29], 0
	s_wait_alu 0xfffe
	v_add_co_u32 v16, vcc_lo, v22, s2
	s_wait_alu 0xfffd
	v_add_co_ci_u32_e64 v17, null, s3, v23, vcc_lo
	s_mov_b32 s30, s5
	flat_load_b32 v16, v[16:17]
.LBB2_22:                               ;   Parent Loop BB2_5 Depth=1
                                        ;     Parent Loop BB2_14 Depth=2
                                        ;       Parent Loop BB2_17 Depth=3
                                        ;         Parent Loop BB2_21 Depth=4
                                        ; =>        This Inner Loop Header: Depth=5
	s_cmp_eq_u32 s28, 1
	s_cselect_b32 vcc_lo, -1, 0
	s_wait_alu 0xfffe
	v_dual_mov_b32 v17, s30 :: v_dual_cndmask_b32 v26, v6, v7
	s_cmp_eq_u32 s28, 2
	s_cselect_b32 s2, -1, 0
	ds_load_b32 v17, v17
	s_wait_alu 0xfffe
	v_cndmask_b32_e64 v26, v26, v8, s2
	s_cmp_eq_u32 s28, 3
	s_cselect_b32 s3, -1, 0
	s_cmp_eq_u32 s28, 0
	s_wait_alu 0xfffe
	v_cndmask_b32_e64 v26, v26, v9, s3
	s_cselect_b32 s4, -1, 0
	s_add_nc_u64 s[28:29], s[28:29], 1
	s_add_co_i32 s30, s30, 16
	s_cmp_eq_u32 s43, s28
	s_wait_loadcnt_dscnt 0x0
	v_fma_f32 v17, -v16, v17, v26
	s_delay_alu instid0(VALU_DEP_1)
	v_cndmask_b32_e64 v9, v9, v17, s3
	v_cndmask_b32_e64 v8, v8, v17, s2
	v_cndmask_b32_e32 v7, v7, v17, vcc_lo
	s_wait_alu 0xfffe
	v_cndmask_b32_e64 v6, v6, v17, s4
	s_cbranch_scc0 .LBB2_22
; %bb.23:                               ;   in Loop: Header=BB2_21 Depth=4
	s_add_co_i32 s18, s18, 1
	s_add_co_i32 s5, s5, 4
	s_cmp_eq_u32 s18, s20
	s_cbranch_scc0 .LBB2_21
.LBB2_24:                               ;   in Loop: Header=BB2_17 Depth=3
	s_mov_b64 s[28:29], 0
	s_mov_b32 s18, s44
	s_branch .LBB2_27
.LBB2_25:                               ;   in Loop: Header=BB2_27 Depth=4
	s_mov_b32 s30, s20
	s_mov_b64 s[4:5], 0
.LBB2_26:                               ;   in Loop: Header=BB2_27 Depth=4
	s_wait_alu 0xfffe
	s_mul_i32 s2, s30, 20
	s_cmp_eq_u32 s4, 1
	s_add_nc_u64 s[28:29], s[28:29], 1
	s_cselect_b32 vcc_lo, -1, 0
	s_wait_alu 0xfffe
	v_dual_mov_b32 v16, s2 :: v_dual_cndmask_b32 v17, v6, v7
	s_cmp_eq_u32 s4, 2
	s_cselect_b32 s2, -1, 0
	ds_load_b32 v16, v16
	s_wait_alu 0xfffe
	v_cndmask_b32_e64 v17, v17, v8, s2
	s_cmp_eq_u32 s4, 3
	s_cselect_b32 s3, -1, 0
	s_cmp_eq_u32 s4, 0
	s_wait_alu 0xfffe
	v_cndmask_b32_e64 v17, v17, v9, s3
	s_cselect_b32 s4, -1, 0
	s_ashr_i32 s31, s30, 31
	s_add_co_i32 s18, s18, 16
	s_wait_alu 0xfffe
	s_lshl_b64 s[30:31], s[30:31], 2
	s_cmp_eq_u32 s28, s43
	s_wait_dscnt 0x0
	v_mul_f32_e32 v26, v17, v16
	s_wait_alu 0xfffe
	v_add_co_u32 v16, s5, v22, s30
	s_wait_alu 0xf1ff
	v_add_co_ci_u32_e64 v17, null, s31, v23, s5
	v_cndmask_b32_e64 v9, v9, v26, s3
	v_cndmask_b32_e64 v8, v8, v26, s2
	v_cndmask_b32_e32 v7, v7, v26, vcc_lo
	v_cndmask_b32_e64 v6, v6, v26, s4
	flat_store_b32 v[16:17], v26
	s_cbranch_scc1 .LBB2_16
.LBB2_27:                               ;   Parent Loop BB2_5 Depth=1
                                        ;     Parent Loop BB2_14 Depth=2
                                        ;       Parent Loop BB2_17 Depth=3
                                        ; =>      This Loop Header: Depth=4
                                        ;           Child Loop BB2_29 Depth 5
	s_cmp_eq_u32 s28, 0
	s_cbranch_scc1 .LBB2_25
; %bb.28:                               ;   in Loop: Header=BB2_27 Depth=4
	s_add_co_i32 s30, s28, s20
	s_mov_b64 s[34:35], 0
	s_mov_b32 s5, s18
.LBB2_29:                               ;   Parent Loop BB2_5 Depth=1
                                        ;     Parent Loop BB2_14 Depth=2
                                        ;       Parent Loop BB2_17 Depth=3
                                        ;         Parent Loop BB2_27 Depth=4
                                        ; =>        This Inner Loop Header: Depth=5
	s_cmp_eq_u32 s34, 1
	s_cselect_b32 vcc_lo, -1, 0
	s_wait_alu 0xfffe
	v_dual_mov_b32 v16, s5 :: v_dual_cndmask_b32 v17, v6, v7
	s_cmp_eq_u32 s34, 2
	s_cselect_b32 vcc_lo, -1, 0
	s_cmp_eq_u32 s34, 3
	ds_load_b32 v16, v16
	s_wait_alu 0xfffe
	v_cndmask_b32_e32 v17, v17, v8, vcc_lo
	s_cselect_b32 vcc_lo, -1, 0
	s_cmp_eq_u32 s28, 1
	s_add_nc_u64 s[34:35], s[34:35], 1
	s_cselect_b32 s2, -1, 0
	s_cmp_eq_u32 s28, 2
	s_wait_alu 0xfffe
	v_cndmask_b32_e64 v26, v6, v7, s2
	s_cselect_b32 s3, -1, 0
	s_cmp_eq_u32 s28, 3
	v_cndmask_b32_e32 v17, v17, v9, vcc_lo
	s_cselect_b32 vcc_lo, -1, 0
	s_wait_alu 0xfffe
	v_cndmask_b32_e64 v26, v26, v8, s3
	s_cmp_eq_u32 s28, 0
	s_cselect_b32 s4, -1, 0
	s_add_co_i32 s5, s5, 4
	s_delay_alu instid0(VALU_DEP_1) | instskip(SKIP_2) | instid1(VALU_DEP_1)
	v_cndmask_b32_e32 v26, v26, v9, vcc_lo
	s_cmp_eq_u32 s28, s34
	s_wait_dscnt 0x0
	v_fma_f32 v16, -v17, v16, v26
	s_delay_alu instid0(VALU_DEP_1)
	v_cndmask_b32_e32 v9, v9, v16, vcc_lo
	v_cndmask_b32_e64 v8, v8, v16, s3
	v_cndmask_b32_e64 v7, v7, v16, s2
	s_wait_alu 0xfffe
	v_cndmask_b32_e64 v6, v6, v16, s4
	s_cbranch_scc0 .LBB2_29
; %bb.30:                               ;   in Loop: Header=BB2_27 Depth=4
	s_mov_b64 s[4:5], s[28:29]
	s_branch .LBB2_26
.LBB2_31:                               ;   in Loop: Header=BB2_14 Depth=2
	s_cmp_lt_i32 s20, s37
	s_cselect_b32 s3, -1, 0
	s_add_co_i32 s2, s22, 1
	s_cmp_lt_u32 s22, 2
	s_cselect_b32 s4, -1, 0
	s_wait_alu 0xfffe
	s_and_b32 s3, s3, s4
	s_wait_alu 0xfffe
	s_and_b32 vcc_lo, exec_lo, s3
	s_wait_alu 0xfffe
	s_cbranch_vccz .LBB2_33
; %bb.32:                               ;   in Loop: Header=BB2_14 Depth=2
	s_mov_b32 s22, s2
	s_branch .LBB2_14
.LBB2_33:                               ;   in Loop: Header=BB2_5 Depth=1
	s_mov_b32 s2, 0
.LBB2_34:                               ;   in Loop: Header=BB2_5 Depth=1
	s_wait_alu 0xfffe
	s_and_b32 vcc_lo, exec_lo, s2
	s_wait_alu 0xfffe
	s_cbranch_vccz .LBB2_3
; %bb.35:                               ;   in Loop: Header=BB2_5 Depth=1
	v_add_co_u32 v8, vcc_lo, v12, v19
	s_wait_alu 0xfffd
	v_add_co_ci_u32_e64 v9, null, v13, v20, vcc_lo
	s_mov_b32 s18, 0
	s_mov_b32 s20, s38
.LBB2_36:                               ;   Parent Loop BB2_5 Depth=1
                                        ; =>  This Loop Header: Depth=2
                                        ;       Child Loop BB2_39 Depth 3
                                        ;         Child Loop BB2_40 Depth 4
                                        ;         Child Loop BB2_42 Depth 4
                                        ;           Child Loop BB2_43 Depth 5
                                        ;         Child Loop BB2_48 Depth 4
                                        ;           Child Loop BB2_50 Depth 5
	s_getpc_b64 s[2:3]
	s_wait_alu 0xfffe
	s_sext_i32_i16 s3, s3
	s_add_co_u32 s2, s2, __const._ZL30rocblas_trsm_small_left_deviceILi4ELi4ELb0EffPKPKfPKPfEv13rocblas_fill_18rocblas_operation_17rocblas_diagonal_iiT3_T4_lilT5_lili.step_sizes@rel32@lo+12
	s_wait_alu 0xfffe
	s_add_co_ci_u32 s3, s3, __const._ZL30rocblas_trsm_small_left_deviceILi4ELi4ELb0EffPKPKfPKPfEv13rocblas_fill_18rocblas_operation_17rocblas_diagonal_iiT3_T4_lilT5_lili.step_sizes@rel32@hi+24
	s_lshl_b64 s[4:5], s[18:19], 2
	s_wait_alu 0xfffe
	s_add_nc_u64 s[2:3], s[2:3], s[4:5]
	s_load_b32 s26, s[2:3], 0x0
	s_wait_kmcnt 0x0
	s_add_co_i32 s27, s26, -1
	s_wait_alu 0xfffe
	s_cmp_lt_i32 s20, s27
	s_cbranch_scc1 .LBB2_52
; %bb.37:                               ;   in Loop: Header=BB2_36 Depth=2
	s_lshl_b32 s2, s20, 2
	s_lshl_b32 s3, s26, 2
	s_max_i32 s28, s26, 1
	s_wait_alu 0xfffe
	s_add_co_i32 s29, s41, s2
	s_sub_co_i32 s30, 0, s3
	s_mul_i32 s31, s20, 20
	s_mul_i32 s34, s26, 0xffffffec
	s_branch .LBB2_39
.LBB2_38:                               ;   in Loop: Header=BB2_39 Depth=3
	s_sub_co_i32 s20, s20, s26
	s_add_co_i32 s29, s29, s30
	s_add_co_i32 s31, s31, s34
	s_cmp_lt_i32 s20, s27
	s_cbranch_scc1 .LBB2_52
.LBB2_39:                               ;   Parent Loop BB2_5 Depth=1
                                        ;     Parent Loop BB2_36 Depth=2
                                        ; =>    This Loop Header: Depth=3
                                        ;         Child Loop BB2_40 Depth 4
                                        ;         Child Loop BB2_42 Depth 4
                                        ;           Child Loop BB2_43 Depth 5
                                        ;         Child Loop BB2_48 Depth 4
                                        ;           Child Loop BB2_50 Depth 5
	s_ashr_i32 s21, s20, 31
	s_mov_b64 s[4:5], 0
	s_lshl_b64 s[2:3], s[20:21], 2
	s_wait_alu 0xfffe
	v_add_co_u32 v6, vcc_lo, v8, s2
	s_wait_alu 0xfffd
	v_add_co_ci_u32_e64 v7, null, s3, v9, vcc_lo
.LBB2_40:                               ;   Parent Loop BB2_5 Depth=1
                                        ;     Parent Loop BB2_36 Depth=2
                                        ;       Parent Loop BB2_39 Depth=3
                                        ; =>      This Inner Loop Header: Depth=4
	flat_load_b32 v12, v[6:7]
	s_cmp_eq_u32 s4, 3
	v_add_co_u32 v6, vcc_lo, v6, -4
	s_wait_alu 0xfffd
	v_add_co_ci_u32_e64 v7, null, -1, v7, vcc_lo
	s_cselect_b32 vcc_lo, -1, 0
	s_cmp_eq_u32 s4, 2
	s_cselect_b32 s2, -1, 0
	s_cmp_eq_u32 s4, 1
	s_cselect_b32 s3, -1, 0
	s_cmp_eq_u32 s4, 0
	s_add_nc_u64 s[4:5], s[4:5], 1
	s_wait_loadcnt_dscnt 0x0
	v_mul_f32_e32 v12, s36, v12
	s_wait_alu 0xfffe
	s_delay_alu instid0(VALU_DEP_1)
	v_cndmask_b32_e32 v5, v5, v12, vcc_lo
	s_cselect_b32 vcc_lo, -1, 0
	v_cndmask_b32_e64 v4, v4, v12, s2
	v_cndmask_b32_e64 v3, v3, v12, s3
	s_wait_alu 0xfffe
	v_cndmask_b32_e32 v2, v2, v12, vcc_lo
	s_cmp_eq_u32 s28, s4
	s_cbranch_scc0 .LBB2_40
; %bb.41:                               ;   in Loop: Header=BB2_39 Depth=3
	s_cmp_le_i32 s38, s20
	s_mov_b32 s5, s29
	s_mov_b32 s22, s38
	s_cbranch_scc1 .LBB2_45
.LBB2_42:                               ;   Parent Loop BB2_5 Depth=1
                                        ;     Parent Loop BB2_36 Depth=2
                                        ;       Parent Loop BB2_39 Depth=3
                                        ; =>      This Loop Header: Depth=4
                                        ;           Child Loop BB2_43 Depth 5
	s_wait_alu 0xfffe
	s_ashr_i32 s23, s22, 31
	s_mov_b64 s[24:25], 0
	s_wait_alu 0xfffe
	s_lshl_b64 s[2:3], s[22:23], 2
	s_mov_b32 s23, s5
	s_wait_alu 0xfffe
	v_add_co_u32 v6, vcc_lo, v22, s2
	s_wait_alu 0xfffd
	v_add_co_ci_u32_e64 v7, null, s3, v23, vcc_lo
	flat_load_b32 v6, v[6:7]
.LBB2_43:                               ;   Parent Loop BB2_5 Depth=1
                                        ;     Parent Loop BB2_36 Depth=2
                                        ;       Parent Loop BB2_39 Depth=3
                                        ;         Parent Loop BB2_42 Depth=4
                                        ; =>        This Inner Loop Header: Depth=5
	s_cmp_eq_u32 s24, 1
	s_cselect_b32 vcc_lo, -1, 0
	s_wait_alu 0xfffe
	v_dual_mov_b32 v7, s23 :: v_dual_cndmask_b32 v12, v2, v3
	s_cmp_eq_u32 s24, 2
	s_cselect_b32 s2, -1, 0
	ds_load_b32 v7, v7
	s_wait_alu 0xfffe
	v_cndmask_b32_e64 v12, v12, v4, s2
	s_cmp_eq_u32 s24, 3
	s_cselect_b32 s3, -1, 0
	s_cmp_eq_u32 s24, 0
	s_wait_alu 0xfffe
	v_cndmask_b32_e64 v12, v12, v5, s3
	s_cselect_b32 s4, -1, 0
	s_add_nc_u64 s[24:25], s[24:25], 1
	s_add_co_i32 s23, s23, -4
	s_wait_alu 0xfffe
	s_cmp_eq_u32 s28, s24
	s_wait_loadcnt_dscnt 0x0
	v_fma_f32 v7, -v6, v7, v12
	s_delay_alu instid0(VALU_DEP_1)
	v_cndmask_b32_e64 v5, v5, v7, s3
	v_cndmask_b32_e64 v4, v4, v7, s2
	v_cndmask_b32_e32 v3, v3, v7, vcc_lo
	v_cndmask_b32_e64 v2, v2, v7, s4
	s_cbranch_scc0 .LBB2_43
; %bb.44:                               ;   in Loop: Header=BB2_42 Depth=4
	s_add_co_i32 s22, s22, -1
	s_add_co_i32 s5, s5, -16
	s_wait_alu 0xfffe
	s_cmp_le_i32 s22, s20
	s_cbranch_scc0 .LBB2_42
.LBB2_45:                               ;   in Loop: Header=BB2_39 Depth=3
	s_mov_b64 s[22:23], 0
	s_mov_b32 s35, s31
	s_branch .LBB2_48
.LBB2_46:                               ;   in Loop: Header=BB2_48 Depth=4
	s_mov_b32 s2, s20
	s_mov_b64 s[4:5], 0
	s_mov_b64 s[24:25], s[20:21]
.LBB2_47:                               ;   in Loop: Header=BB2_48 Depth=4
	s_wait_alu 0xfffe
	s_mul_i32 s2, s2, 20
	s_cmp_eq_u32 s4, 1
	s_add_nc_u64 s[22:23], s[22:23], 1
	s_cselect_b32 vcc_lo, -1, 0
	s_wait_alu 0xfffe
	v_dual_mov_b32 v6, s2 :: v_dual_cndmask_b32 v7, v2, v3
	s_cmp_eq_u32 s4, 2
	s_cselect_b32 s2, -1, 0
	ds_load_b32 v6, v6
	s_wait_alu 0xfffe
	v_cndmask_b32_e64 v7, v7, v4, s2
	s_cmp_eq_u32 s4, 3
	s_cselect_b32 s3, -1, 0
	s_cmp_eq_u32 s4, 0
	s_wait_alu 0xfffe
	v_cndmask_b32_e64 v7, v7, v5, s3
	s_cselect_b32 s4, -1, 0
	s_lshl_b64 s[24:25], s[24:25], 2
	s_add_co_i32 s35, s35, -4
	s_cmp_eq_u32 s22, s28
	s_wait_dscnt 0x0
	v_mul_f32_e32 v12, v7, v6
	s_wait_alu 0xfffe
	v_add_co_u32 v6, s5, v22, s24
	s_wait_alu 0xf1ff
	v_add_co_ci_u32_e64 v7, null, s25, v23, s5
	v_cndmask_b32_e64 v5, v5, v12, s3
	v_cndmask_b32_e64 v4, v4, v12, s2
	v_cndmask_b32_e32 v3, v3, v12, vcc_lo
	v_cndmask_b32_e64 v2, v2, v12, s4
	flat_store_b32 v[6:7], v12
	s_cbranch_scc1 .LBB2_38
.LBB2_48:                               ;   Parent Loop BB2_5 Depth=1
                                        ;     Parent Loop BB2_36 Depth=2
                                        ;       Parent Loop BB2_39 Depth=3
                                        ; =>      This Loop Header: Depth=4
                                        ;           Child Loop BB2_50 Depth 5
	s_wait_alu 0xfffe
	s_cmp_eq_u32 s22, 0
	s_cbranch_scc1 .LBB2_46
; %bb.49:                               ;   in Loop: Header=BB2_48 Depth=4
	s_mov_b64 s[24:25], 0
	s_mov_b32 s5, s35
.LBB2_50:                               ;   Parent Loop BB2_5 Depth=1
                                        ;     Parent Loop BB2_36 Depth=2
                                        ;       Parent Loop BB2_39 Depth=3
                                        ;         Parent Loop BB2_48 Depth=4
                                        ; =>        This Inner Loop Header: Depth=5
	s_wait_alu 0xfffe
	s_cmp_eq_u32 s24, 1
	s_cselect_b32 vcc_lo, -1, 0
	s_wait_alu 0xfffe
	v_dual_mov_b32 v6, s5 :: v_dual_cndmask_b32 v7, v2, v3
	s_cmp_eq_u32 s24, 2
	s_cselect_b32 vcc_lo, -1, 0
	s_cmp_eq_u32 s24, 3
	ds_load_b32 v6, v6
	s_wait_alu 0xfffe
	v_cndmask_b32_e32 v7, v7, v4, vcc_lo
	s_cselect_b32 vcc_lo, -1, 0
	s_cmp_eq_u32 s22, 1
	s_add_nc_u64 s[24:25], s[24:25], 1
	s_cselect_b32 s2, -1, 0
	s_cmp_eq_u32 s22, 2
	s_wait_alu 0xfffe
	v_cndmask_b32_e64 v12, v2, v3, s2
	s_cselect_b32 s3, -1, 0
	s_cmp_eq_u32 s22, 3
	v_cndmask_b32_e32 v7, v7, v5, vcc_lo
	s_cselect_b32 vcc_lo, -1, 0
	s_wait_alu 0xfffe
	v_cndmask_b32_e64 v12, v12, v4, s3
	s_cmp_eq_u32 s22, 0
	s_cselect_b32 s4, -1, 0
	s_add_co_i32 s5, s5, -16
	s_delay_alu instid0(VALU_DEP_1) | instskip(SKIP_2) | instid1(VALU_DEP_1)
	v_cndmask_b32_e32 v12, v12, v5, vcc_lo
	s_cmp_eq_u32 s22, s24
	s_wait_dscnt 0x0
	v_fma_f32 v6, -v7, v6, v12
	s_delay_alu instid0(VALU_DEP_1)
	v_cndmask_b32_e32 v5, v5, v6, vcc_lo
	v_cndmask_b32_e64 v4, v4, v6, s3
	v_cndmask_b32_e64 v3, v3, v6, s2
	s_wait_alu 0xfffe
	v_cndmask_b32_e64 v2, v2, v6, s4
	s_cbranch_scc0 .LBB2_50
; %bb.51:                               ;   in Loop: Header=BB2_48 Depth=4
	s_sub_co_i32 s2, s20, s22
	s_mov_b64 s[4:5], s[22:23]
	s_wait_alu 0xfffe
	s_ashr_i32 s3, s2, 31
	s_wait_alu 0xfffe
	s_mov_b64 s[24:25], s[2:3]
	s_branch .LBB2_47
.LBB2_52:                               ;   in Loop: Header=BB2_36 Depth=2
	s_cmp_gt_i32 s20, -1
	s_cselect_b32 s3, -1, 0
	s_add_co_i32 s2, s18, 1
	s_cmp_lt_u32 s18, 2
	s_cselect_b32 s4, -1, 0
	s_wait_alu 0xfffe
	s_and_b32 s3, s3, s4
	s_wait_alu 0xfffe
	s_and_not1_b32 vcc_lo, exec_lo, s3
	s_wait_alu 0xfffe
	s_cbranch_vccnz .LBB2_2
; %bb.53:                               ;   in Loop: Header=BB2_36 Depth=2
	s_mov_b32 s18, s2
	s_branch .LBB2_36
.LBB2_54:
	s_endpgm
	.section	.rodata,"a",@progbits
	.p2align	6, 0x0
	.amdhsa_kernel _ZL30rocblas_trsm_small_left_deviceILi4ELi4ELb0EffPKPKfPKPfEv13rocblas_fill_18rocblas_operation_17rocblas_diagonal_iiT3_T4_lilT5_lili
		.amdhsa_group_segment_fixed_size 64
		.amdhsa_private_segment_fixed_size 0
		.amdhsa_kernarg_size 352
		.amdhsa_user_sgpr_count 2
		.amdhsa_user_sgpr_dispatch_ptr 0
		.amdhsa_user_sgpr_queue_ptr 0
		.amdhsa_user_sgpr_kernarg_segment_ptr 1
		.amdhsa_user_sgpr_dispatch_id 0
		.amdhsa_user_sgpr_private_segment_size 0
		.amdhsa_wavefront_size32 1
		.amdhsa_uses_dynamic_stack 0
		.amdhsa_enable_private_segment 0
		.amdhsa_system_sgpr_workgroup_id_x 1
		.amdhsa_system_sgpr_workgroup_id_y 0
		.amdhsa_system_sgpr_workgroup_id_z 1
		.amdhsa_system_sgpr_workgroup_info 0
		.amdhsa_system_vgpr_workitem_id 0
		.amdhsa_next_free_vgpr 27
		.amdhsa_next_free_sgpr 46
		.amdhsa_reserve_vcc 1
		.amdhsa_float_round_mode_32 0
		.amdhsa_float_round_mode_16_64 0
		.amdhsa_float_denorm_mode_32 3
		.amdhsa_float_denorm_mode_16_64 3
		.amdhsa_fp16_overflow 0
		.amdhsa_workgroup_processor_mode 1
		.amdhsa_memory_ordered 1
		.amdhsa_forward_progress 1
		.amdhsa_inst_pref_size 23
		.amdhsa_round_robin_scheduling 0
		.amdhsa_exception_fp_ieee_invalid_op 0
		.amdhsa_exception_fp_denorm_src 0
		.amdhsa_exception_fp_ieee_div_zero 0
		.amdhsa_exception_fp_ieee_overflow 0
		.amdhsa_exception_fp_ieee_underflow 0
		.amdhsa_exception_fp_ieee_inexact 0
		.amdhsa_exception_int_div_zero 0
	.end_amdhsa_kernel
	.section	.text._ZL30rocblas_trsm_small_left_deviceILi4ELi4ELb0EffPKPKfPKPfEv13rocblas_fill_18rocblas_operation_17rocblas_diagonal_iiT3_T4_lilT5_lili,"axG",@progbits,_ZL30rocblas_trsm_small_left_deviceILi4ELi4ELb0EffPKPKfPKPfEv13rocblas_fill_18rocblas_operation_17rocblas_diagonal_iiT3_T4_lilT5_lili,comdat
.Lfunc_end2:
	.size	_ZL30rocblas_trsm_small_left_deviceILi4ELi4ELb0EffPKPKfPKPfEv13rocblas_fill_18rocblas_operation_17rocblas_diagonal_iiT3_T4_lilT5_lili, .Lfunc_end2-_ZL30rocblas_trsm_small_left_deviceILi4ELi4ELb0EffPKPKfPKPfEv13rocblas_fill_18rocblas_operation_17rocblas_diagonal_iiT3_T4_lilT5_lili
                                        ; -- End function
	.set _ZL30rocblas_trsm_small_left_deviceILi4ELi4ELb0EffPKPKfPKPfEv13rocblas_fill_18rocblas_operation_17rocblas_diagonal_iiT3_T4_lilT5_lili.num_vgpr, 27
	.set _ZL30rocblas_trsm_small_left_deviceILi4ELi4ELb0EffPKPKfPKPfEv13rocblas_fill_18rocblas_operation_17rocblas_diagonal_iiT3_T4_lilT5_lili.num_agpr, 0
	.set _ZL30rocblas_trsm_small_left_deviceILi4ELi4ELb0EffPKPKfPKPfEv13rocblas_fill_18rocblas_operation_17rocblas_diagonal_iiT3_T4_lilT5_lili.numbered_sgpr, 46
	.set _ZL30rocblas_trsm_small_left_deviceILi4ELi4ELb0EffPKPKfPKPfEv13rocblas_fill_18rocblas_operation_17rocblas_diagonal_iiT3_T4_lilT5_lili.num_named_barrier, 0
	.set _ZL30rocblas_trsm_small_left_deviceILi4ELi4ELb0EffPKPKfPKPfEv13rocblas_fill_18rocblas_operation_17rocblas_diagonal_iiT3_T4_lilT5_lili.private_seg_size, 0
	.set _ZL30rocblas_trsm_small_left_deviceILi4ELi4ELb0EffPKPKfPKPfEv13rocblas_fill_18rocblas_operation_17rocblas_diagonal_iiT3_T4_lilT5_lili.uses_vcc, 1
	.set _ZL30rocblas_trsm_small_left_deviceILi4ELi4ELb0EffPKPKfPKPfEv13rocblas_fill_18rocblas_operation_17rocblas_diagonal_iiT3_T4_lilT5_lili.uses_flat_scratch, 0
	.set _ZL30rocblas_trsm_small_left_deviceILi4ELi4ELb0EffPKPKfPKPfEv13rocblas_fill_18rocblas_operation_17rocblas_diagonal_iiT3_T4_lilT5_lili.has_dyn_sized_stack, 0
	.set _ZL30rocblas_trsm_small_left_deviceILi4ELi4ELb0EffPKPKfPKPfEv13rocblas_fill_18rocblas_operation_17rocblas_diagonal_iiT3_T4_lilT5_lili.has_recursion, 0
	.set _ZL30rocblas_trsm_small_left_deviceILi4ELi4ELb0EffPKPKfPKPfEv13rocblas_fill_18rocblas_operation_17rocblas_diagonal_iiT3_T4_lilT5_lili.has_indirect_call, 0
	.section	.AMDGPU.csdata,"",@progbits
; Kernel info:
; codeLenInByte = 2908
; TotalNumSgprs: 48
; NumVgprs: 27
; ScratchSize: 0
; MemoryBound: 0
; FloatMode: 240
; IeeeMode: 1
; LDSByteSize: 64 bytes/workgroup (compile time only)
; SGPRBlocks: 0
; VGPRBlocks: 3
; NumSGPRsForWavesPerEU: 48
; NumVGPRsForWavesPerEU: 27
; Occupancy: 16
; WaveLimiterHint : 1
; COMPUTE_PGM_RSRC2:SCRATCH_EN: 0
; COMPUTE_PGM_RSRC2:USER_SGPR: 2
; COMPUTE_PGM_RSRC2:TRAP_HANDLER: 0
; COMPUTE_PGM_RSRC2:TGID_X_EN: 1
; COMPUTE_PGM_RSRC2:TGID_Y_EN: 0
; COMPUTE_PGM_RSRC2:TGID_Z_EN: 1
; COMPUTE_PGM_RSRC2:TIDIG_COMP_CNT: 0
	.section	.text._ZL38rocblas_trsm_small_left_device_sharedBILi4ELi4ELb1EffPKPKfPKPfEv13rocblas_fill_18rocblas_operation_17rocblas_diagonal_iiT3_T4_lilT5_lili,"axG",@progbits,_ZL38rocblas_trsm_small_left_device_sharedBILi4ELi4ELb1EffPKPKfPKPfEv13rocblas_fill_18rocblas_operation_17rocblas_diagonal_iiT3_T4_lilT5_lili,comdat
	.globl	_ZL38rocblas_trsm_small_left_device_sharedBILi4ELi4ELb1EffPKPKfPKPfEv13rocblas_fill_18rocblas_operation_17rocblas_diagonal_iiT3_T4_lilT5_lili ; -- Begin function _ZL38rocblas_trsm_small_left_device_sharedBILi4ELi4ELb1EffPKPKfPKPfEv13rocblas_fill_18rocblas_operation_17rocblas_diagonal_iiT3_T4_lilT5_lili
	.p2align	8
	.type	_ZL38rocblas_trsm_small_left_device_sharedBILi4ELi4ELb1EffPKPKfPKPfEv13rocblas_fill_18rocblas_operation_17rocblas_diagonal_iiT3_T4_lilT5_lili,@function
_ZL38rocblas_trsm_small_left_device_sharedBILi4ELi4ELb1EffPKPKfPKPfEv13rocblas_fill_18rocblas_operation_17rocblas_diagonal_iiT3_T4_lilT5_lili: ; @_ZL38rocblas_trsm_small_left_device_sharedBILi4ELi4ELb1EffPKPKfPKPfEv13rocblas_fill_18rocblas_operation_17rocblas_diagonal_iiT3_T4_lilT5_lili
; %bb.0:
	s_load_b32 s24, s[0:1], 0x58
	s_lshr_b32 s16, ttmp7, 16
	s_wait_kmcnt 0x0
	s_cmp_ge_u32 s16, s24
	s_cbranch_scc1 .LBB3_57
; %bb.1:
	s_clause 0x6
	s_load_b32 s2, s[0:1], 0x28
	s_load_b32 s20, s[0:1], 0x48
	s_load_b128 s[12:15], s[0:1], 0x4
	s_load_b32 s17, s[0:1], 0x60
	s_load_b128 s[4:7], s[0:1], 0x18
	s_load_b128 s[8:11], s[0:1], 0x38
	s_load_b32 s25, s[0:1], 0x14
	v_dual_mov_b32 v1, 0 :: v_dual_lshlrev_b32 v12, 2, v0
	s_lshl_b32 s22, ttmp9, 2
	v_lshlrev_b32_e32 v7, 4, v0
	s_mov_b32 s19, 0
	s_delay_alu instid0(VALU_DEP_2)
	v_or_b32_e32 v13, 64, v12
	v_dual_mov_b32 v3, v1 :: v_dual_mov_b32 v4, v1
	v_mov_b32_e32 v2, v1
	s_wait_kmcnt 0x0
	s_ashr_i32 s3, s2, 31
	s_ashr_i32 s21, s20, 31
	s_min_i32 s26, s14, 4
	s_add_co_i32 s17, s17, -1
	s_sub_co_i32 s0, s15, s22
	s_add_co_i32 s27, s26, -1
	v_mad_co_i64_i32 v[5:6], null, s20, v0, 0
	s_cmp_ge_u32 ttmp9, s17
	s_cselect_b32 s1, s0, 4
	s_ashr_i32 s23, s22, 31
	s_cmp_lg_u32 s13, 0x84
	v_cmp_gt_i32_e32 vcc_lo, s1, v0
	s_cselect_b32 s28, -1, 0
	s_cmp_gt_i32 s14, 0
	v_cmp_gt_i32_e64 s0, s26, v0
	s_cselect_b32 s1, -1, 0
	s_cmp_lg_u32 s12, 0x6f
	v_lshlrev_b32_e32 v0, 2, v0
	v_lshlrev_b64_e32 v[10:11], 2, v[5:6]
	v_mov_b32_e32 v5, v4
	v_mov_b32_e32 v4, v3
	v_dual_mov_b32 v3, v2 :: v_dual_add_nc_u32 v14, v12, v7
	v_mov_b32_e32 v2, v1
	s_mul_u64 s[14:15], s[20:21], s[22:23]
	s_cselect_b32 s29, -1, 0
	s_lshl_b32 s31, s26, 2
	s_wait_alu 0xfffe
	s_and_b32 s30, vcc_lo, s1
	s_lshl_b64 s[12:13], s[2:3], 2
	s_add_co_i32 s31, s31, -4
	s_lshl_b64 s[6:7], s[6:7], 2
	s_lshl_b64 s[10:11], s[10:11], 2
	;; [unrolled: 1-line block ×3, first 2 shown]
	s_branch .LBB3_3
.LBB3_2:                                ;   in Loop: Header=BB3_3 Depth=1
	s_wait_alu 0xfffe
	s_or_b32 exec_lo, exec_lo, s1
	v_dual_mov_b32 v2, v6 :: v_dual_mov_b32 v3, v7
	v_dual_mov_b32 v4, v8 :: v_dual_mov_b32 v5, v9
	s_add_co_i32 s16, s16, 0x10000
	s_wait_alu 0xfffe
	s_cmp_lt_u32 s16, s24
	s_cbranch_scc0 .LBB3_57
.LBB3_3:                                ; =>This Loop Header: Depth=1
                                        ;     Child Loop BB3_5 Depth 2
                                        ;     Child Loop BB3_11 Depth 2
	;; [unrolled: 1-line block ×3, first 2 shown]
                                        ;       Child Loop BB3_17 Depth 3
                                        ;         Child Loop BB3_18 Depth 4
                                        ;         Child Loop BB3_20 Depth 4
                                        ;           Child Loop BB3_21 Depth 5
                                        ;         Child Loop BB3_26 Depth 4
                                        ;           Child Loop BB3_28 Depth 5
                                        ;     Child Loop BB3_35 Depth 2
                                        ;       Child Loop BB3_38 Depth 3
                                        ;         Child Loop BB3_39 Depth 4
                                        ;         Child Loop BB3_42 Depth 4
                                        ;           Child Loop BB3_43 Depth 5
                                        ;         Child Loop BB3_48 Depth 4
                                        ;           Child Loop BB3_50 Depth 5
                                        ;     Child Loop BB3_56 Depth 2
	s_mov_b32 s17, s19
	s_wait_alu 0xfffe
	s_lshl_b64 s[2:3], s[16:17], 3
	s_wait_alu 0xfffe
	s_add_nc_u64 s[20:21], s[8:9], s[2:3]
	global_load_b64 v[6:7], v1, s[20:21]
	s_and_saveexec_b32 s1, s0
	s_cbranch_execz .LBB3_9
; %bb.4:                                ;   in Loop: Header=BB3_3 Depth=1
	s_add_nc_u64 s[2:3], s[4:5], s[2:3]
	v_mov_b32_e32 v15, v12
	global_load_b64 v[8:9], v1, s[2:3]
	s_mov_b32 s2, s26
	s_wait_loadcnt 0x0
	v_add_co_u32 v8, vcc_lo, v8, s6
	s_wait_alu 0xfffd
	v_add_co_ci_u32_e64 v9, null, s7, v9, vcc_lo
	s_delay_alu instid0(VALU_DEP_2) | instskip(SKIP_1) | instid1(VALU_DEP_2)
	v_add_co_u32 v8, vcc_lo, v8, v0
	s_wait_alu 0xfffd
	v_add_co_ci_u32_e64 v9, null, 0, v9, vcc_lo
.LBB3_5:                                ;   Parent Loop BB3_3 Depth=1
                                        ; =>  This Inner Loop Header: Depth=2
	flat_load_b32 v16, v[8:9]
	v_add_co_u32 v8, vcc_lo, v8, s12
	s_wait_alu 0xfffd
	v_add_co_ci_u32_e64 v9, null, s13, v9, vcc_lo
	s_wait_alu 0xfffe
	s_add_co_i32 s2, s2, -1
	s_wait_alu 0xfffe
	s_cmp_eq_u32 s2, 0
	s_wait_loadcnt_dscnt 0x0
	ds_store_b32 v15, v16
	v_add_nc_u32_e32 v15, 16, v15
	s_cbranch_scc0 .LBB3_5
; %bb.6:                                ;   in Loop: Header=BB3_3 Depth=1
	v_mov_b32_e32 v8, 1.0
	s_and_b32 vcc_lo, exec_lo, s28
	s_wait_alu 0xfffe
	s_cbranch_vccz .LBB3_8
; %bb.7:                                ;   in Loop: Header=BB3_3 Depth=1
	ds_load_b32 v8, v14
	s_wait_dscnt 0x0
	v_div_scale_f32 v9, null, v8, v8, 1.0
	s_delay_alu instid0(VALU_DEP_1) | instskip(NEXT) | instid1(TRANS32_DEP_1)
	v_rcp_f32_e32 v15, v9
	v_fma_f32 v16, -v9, v15, 1.0
	s_delay_alu instid0(VALU_DEP_1) | instskip(SKIP_1) | instid1(VALU_DEP_1)
	v_fmac_f32_e32 v15, v16, v15
	v_div_scale_f32 v16, vcc_lo, 1.0, v8, 1.0
	v_mul_f32_e32 v17, v16, v15
	s_delay_alu instid0(VALU_DEP_1) | instskip(NEXT) | instid1(VALU_DEP_1)
	v_fma_f32 v18, -v9, v17, v16
	v_fmac_f32_e32 v17, v18, v15
	s_delay_alu instid0(VALU_DEP_1) | instskip(SKIP_1) | instid1(VALU_DEP_1)
	v_fma_f32 v9, -v9, v17, v16
	s_wait_alu 0xfffd
	v_div_fmas_f32 v9, v9, v15, v17
	s_delay_alu instid0(VALU_DEP_1)
	v_div_fixup_f32 v8, v9, v8, 1.0
.LBB3_8:                                ;   in Loop: Header=BB3_3 Depth=1
	ds_store_b32 v14, v8
.LBB3_9:                                ;   in Loop: Header=BB3_3 Depth=1
	s_wait_alu 0xfffe
	s_or_b32 exec_lo, exec_lo, s1
	s_wait_loadcnt 0x0
	v_add_co_u32 v6, vcc_lo, v6, s10
	s_wait_alu 0xfffd
	v_add_co_ci_u32_e64 v7, null, s11, v7, vcc_lo
	s_delay_alu instid0(VALU_DEP_2) | instskip(SKIP_1) | instid1(VALU_DEP_2)
	v_add_co_u32 v15, vcc_lo, v6, s14
	s_wait_alu 0xfffd
	v_add_co_ci_u32_e64 v16, null, s15, v7, vcc_lo
	s_and_saveexec_b32 s1, s30
	s_cbranch_execz .LBB3_12
; %bb.10:                               ;   in Loop: Header=BB3_3 Depth=1
	v_add_co_u32 v6, vcc_lo, v15, v10
	s_wait_alu 0xfffd
	v_add_co_ci_u32_e64 v7, null, v16, v11, vcc_lo
	v_mov_b32_e32 v8, v13
	s_mov_b32 s2, s26
.LBB3_11:                               ;   Parent Loop BB3_3 Depth=1
                                        ; =>  This Inner Loop Header: Depth=2
	flat_load_b32 v9, v[6:7]
	v_add_co_u32 v6, vcc_lo, v6, 4
	s_wait_alu 0xfffd
	v_add_co_ci_u32_e64 v7, null, 0, v7, vcc_lo
	s_wait_alu 0xfffe
	s_add_co_i32 s2, s2, -1
	s_wait_alu 0xfffe
	s_cmp_lg_u32 s2, 0
	s_wait_loadcnt_dscnt 0x0
	v_mul_f32_e32 v9, s25, v9
	ds_store_b32 v8, v9
	v_add_nc_u32_e32 v8, 16, v8
	s_cbranch_scc1 .LBB3_11
.LBB3_12:                               ;   in Loop: Header=BB3_3 Depth=1
	s_wait_alu 0xfffe
	s_or_b32 exec_lo, exec_lo, s1
	s_delay_alu instid0(SALU_CYCLE_1)
	s_and_not1_b32 vcc_lo, exec_lo, s29
	s_mov_b32 s1, -1
	s_wait_dscnt 0x0
	; wave barrier
	global_inv scope:SCOPE_SE
                                        ; implicit-def: $vgpr6_vgpr7_vgpr8_vgpr9
	s_wait_alu 0xfffe
	s_cbranch_vccnz .LBB3_33
; %bb.13:                               ;   in Loop: Header=BB3_3 Depth=1
	v_dual_mov_b32 v9, v5 :: v_dual_mov_b32 v8, v4
	v_dual_mov_b32 v7, v3 :: v_dual_mov_b32 v6, v2
	s_mov_b32 s18, 0
	s_mov_b32 s17, s27
.LBB3_14:                               ;   Parent Loop BB3_3 Depth=1
                                        ; =>  This Loop Header: Depth=2
                                        ;       Child Loop BB3_17 Depth 3
                                        ;         Child Loop BB3_18 Depth 4
                                        ;         Child Loop BB3_20 Depth 4
                                        ;           Child Loop BB3_21 Depth 5
                                        ;         Child Loop BB3_26 Depth 4
                                        ;           Child Loop BB3_28 Depth 5
	s_getpc_b64 s[2:3]
	s_wait_alu 0xfffe
	s_sext_i32_i16 s3, s3
	s_add_co_u32 s2, s2, __const._ZL38rocblas_trsm_small_left_device_sharedBILi4ELi4ELb1EffPKPKfPKPfEv13rocblas_fill_18rocblas_operation_17rocblas_diagonal_iiT3_T4_lilT5_lili.step_sizes@rel32@lo+12
	s_wait_alu 0xfffe
	s_add_co_ci_u32 s3, s3, __const._ZL38rocblas_trsm_small_left_device_sharedBILi4ELi4ELb1EffPKPKfPKPfEv13rocblas_fill_18rocblas_operation_17rocblas_diagonal_iiT3_T4_lilT5_lili.step_sizes@rel32@hi+24
	s_lshl_b64 s[20:21], s[18:19], 2
	s_wait_alu 0xfffe
	s_add_nc_u64 s[2:3], s[2:3], s[20:21]
	s_load_b32 s33, s[2:3], 0x0
	s_wait_kmcnt 0x0
	s_add_co_i32 s34, s33, -1
	s_delay_alu instid0(SALU_CYCLE_1)
	s_cmp_lt_i32 s17, s34
	s_cbranch_scc1 .LBB3_30
; %bb.15:                               ;   in Loop: Header=BB3_14 Depth=2
	s_lshl_b32 s1, s17, 4
	s_lshl_b32 s2, s33, 4
	s_wait_alu 0xfffe
	v_add_nc_u32_e32 v17, s1, v13
	s_max_i32 s35, s33, 1
	s_sub_co_i32 s36, 0, s2
	s_add_co_i32 s37, s31, s1
	s_mul_i32 s38, s17, 20
	s_mul_i32 s39, s33, 0xffffffec
	s_branch .LBB3_17
.LBB3_16:                               ;   in Loop: Header=BB3_17 Depth=3
	v_add_nc_u32_e32 v17, s36, v17
	s_sub_co_i32 s17, s17, s33
	s_add_co_i32 s37, s37, s36
	s_add_co_i32 s38, s38, s39
	s_wait_alu 0xfffe
	s_cmp_lt_i32 s17, s34
	s_cbranch_scc1 .LBB3_30
.LBB3_17:                               ;   Parent Loop BB3_3 Depth=1
                                        ;     Parent Loop BB3_14 Depth=2
                                        ; =>    This Loop Header: Depth=3
                                        ;         Child Loop BB3_18 Depth 4
                                        ;         Child Loop BB3_20 Depth 4
                                        ;           Child Loop BB3_21 Depth 5
                                        ;         Child Loop BB3_26 Depth 4
                                        ;           Child Loop BB3_28 Depth 5
	v_mov_b32_e32 v18, v17
	s_mov_b64 s[20:21], 0
.LBB3_18:                               ;   Parent Loop BB3_3 Depth=1
                                        ;     Parent Loop BB3_14 Depth=2
                                        ;       Parent Loop BB3_17 Depth=3
                                        ; =>      This Inner Loop Header: Depth=4
	ds_load_b32 v19, v18
	s_wait_alu 0xfffe
	s_cmp_eq_u32 s20, 3
	s_cselect_b32 vcc_lo, -1, 0
	s_cmp_eq_u32 s20, 2
	v_add_nc_u32_e32 v18, -16, v18
	s_cselect_b32 s1, -1, 0
	s_cmp_eq_u32 s20, 1
	s_cselect_b32 s2, -1, 0
	s_cmp_eq_u32 s20, 0
	s_add_nc_u64 s[20:21], s[20:21], 1
	s_cselect_b32 s3, -1, 0
	s_wait_alu 0xfffe
	s_cmp_eq_u32 s35, s20
	s_wait_dscnt 0x0
	v_cndmask_b32_e32 v9, v9, v19, vcc_lo
	v_cndmask_b32_e64 v8, v8, v19, s1
	v_cndmask_b32_e64 v7, v7, v19, s2
	;; [unrolled: 1-line block ×3, first 2 shown]
	s_cbranch_scc0 .LBB3_18
; %bb.19:                               ;   in Loop: Header=BB3_17 Depth=3
	s_cmp_le_i32 s27, s17
	s_mov_b32 s22, s37
	s_mov_b32 s23, s27
	s_cbranch_scc1 .LBB3_23
.LBB3_20:                               ;   Parent Loop BB3_3 Depth=1
                                        ;     Parent Loop BB3_14 Depth=2
                                        ;       Parent Loop BB3_17 Depth=3
                                        ; =>      This Loop Header: Depth=4
                                        ;           Child Loop BB3_21 Depth 5
	s_wait_alu 0xfffe
	v_lshl_add_u32 v18, s23, 4, v13
	s_mov_b64 s[20:21], 0
	s_mov_b32 s40, s22
	ds_load_b32 v18, v18
.LBB3_21:                               ;   Parent Loop BB3_3 Depth=1
                                        ;     Parent Loop BB3_14 Depth=2
                                        ;       Parent Loop BB3_17 Depth=3
                                        ;         Parent Loop BB3_20 Depth=4
                                        ; =>        This Inner Loop Header: Depth=5
	s_wait_alu 0xfffe
	s_cmp_eq_u32 s20, 1
	s_cselect_b32 vcc_lo, -1, 0
	s_wait_alu 0xfffe
	v_dual_mov_b32 v19, s40 :: v_dual_cndmask_b32 v20, v6, v7
	s_cmp_eq_u32 s20, 2
	s_cselect_b32 s1, -1, 0
	ds_load_b32 v19, v19
	s_wait_alu 0xfffe
	v_cndmask_b32_e64 v20, v20, v8, s1
	s_cmp_eq_u32 s20, 3
	s_cselect_b32 s2, -1, 0
	s_cmp_eq_u32 s20, 0
	s_wait_alu 0xfffe
	v_cndmask_b32_e64 v20, v20, v9, s2
	s_cselect_b32 s3, -1, 0
	s_add_nc_u64 s[20:21], s[20:21], 1
	s_add_co_i32 s40, s40, -16
	s_wait_alu 0xfffe
	s_cmp_eq_u32 s35, s20
	s_wait_dscnt 0x0
	v_fma_f32 v19, -v18, v19, v20
	s_delay_alu instid0(VALU_DEP_1)
	v_cndmask_b32_e64 v9, v9, v19, s2
	v_cndmask_b32_e64 v8, v8, v19, s1
	v_cndmask_b32_e32 v7, v7, v19, vcc_lo
	v_cndmask_b32_e64 v6, v6, v19, s3
	s_cbranch_scc0 .LBB3_21
; %bb.22:                               ;   in Loop: Header=BB3_20 Depth=4
	s_add_co_i32 s23, s23, -1
	s_add_co_i32 s22, s22, -4
	s_wait_alu 0xfffe
	s_cmp_le_i32 s23, s17
	s_cbranch_scc0 .LBB3_20
.LBB3_23:                               ;   in Loop: Header=BB3_17 Depth=3
	s_lshl_b32 s40, s17, 4
	s_mov_b64 s[20:21], 0
	s_mov_b32 s41, s38
	s_branch .LBB3_26
.LBB3_24:                               ;   in Loop: Header=BB3_26 Depth=4
	s_mov_b32 s43, s17
	s_mov_b64 s[22:23], 0
	s_mov_b32 s42, s40
.LBB3_25:                               ;   in Loop: Header=BB3_26 Depth=4
	s_wait_alu 0xfffe
	s_mul_i32 s1, s43, 20
	s_cmp_eq_u32 s22, 1
	s_add_nc_u64 s[20:21], s[20:21], 1
	s_cselect_b32 vcc_lo, -1, 0
	s_wait_alu 0xfffe
	v_dual_mov_b32 v18, s1 :: v_dual_cndmask_b32 v19, v6, v7
	s_cmp_eq_u32 s22, 2
	s_cselect_b32 s1, -1, 0
	ds_load_b32 v18, v18
	s_wait_alu 0xfffe
	v_cndmask_b32_e64 v19, v19, v8, s1
	s_cmp_eq_u32 s22, 3
	s_cselect_b32 s2, -1, 0
	s_cmp_eq_u32 s22, 0
	s_wait_alu 0xfffe
	v_cndmask_b32_e64 v19, v19, v9, s2
	s_wait_dscnt 0x0
	s_delay_alu instid0(VALU_DEP_1) | instskip(NEXT) | instid1(VALU_DEP_1)
	v_dual_mul_f32 v18, v19, v18 :: v_dual_add_nc_u32 v19, s42, v13
	v_cndmask_b32_e32 v7, v7, v18, vcc_lo
	s_cselect_b32 vcc_lo, -1, 0
	v_cndmask_b32_e64 v9, v9, v18, s2
	v_cndmask_b32_e64 v8, v8, v18, s1
	s_wait_alu 0xfffe
	v_cndmask_b32_e32 v6, v6, v18, vcc_lo
	s_add_co_i32 s41, s41, -16
	s_cmp_eq_u32 s20, s35
	ds_store_b32 v19, v18
	s_cbranch_scc1 .LBB3_16
.LBB3_26:                               ;   Parent Loop BB3_3 Depth=1
                                        ;     Parent Loop BB3_14 Depth=2
                                        ;       Parent Loop BB3_17 Depth=3
                                        ; =>      This Loop Header: Depth=4
                                        ;           Child Loop BB3_28 Depth 5
	s_wait_alu 0xfffe
	s_cmp_eq_u32 s20, 0
	s_cbranch_scc1 .LBB3_24
; %bb.27:                               ;   in Loop: Header=BB3_26 Depth=4
	s_sub_co_i32 s43, s17, s20
	s_mov_b64 s[22:23], 0
	s_wait_alu 0xfffe
	s_lshl_b32 s42, s43, 4
	s_mov_b32 s44, s41
.LBB3_28:                               ;   Parent Loop BB3_3 Depth=1
                                        ;     Parent Loop BB3_14 Depth=2
                                        ;       Parent Loop BB3_17 Depth=3
                                        ;         Parent Loop BB3_26 Depth=4
                                        ; =>        This Inner Loop Header: Depth=5
	s_cmp_eq_u32 s22, 1
	s_cselect_b32 vcc_lo, -1, 0
	s_wait_alu 0xfffe
	v_dual_mov_b32 v18, s44 :: v_dual_cndmask_b32 v19, v6, v7
	s_cmp_eq_u32 s22, 2
	s_cselect_b32 vcc_lo, -1, 0
	s_cmp_eq_u32 s22, 3
	ds_load_b32 v18, v18
	s_wait_alu 0xfffe
	v_cndmask_b32_e32 v19, v19, v8, vcc_lo
	s_cselect_b32 vcc_lo, -1, 0
	s_cmp_eq_u32 s20, 1
	s_add_nc_u64 s[22:23], s[22:23], 1
	s_cselect_b32 s1, -1, 0
	s_cmp_eq_u32 s20, 2
	s_wait_alu 0xfffe
	v_cndmask_b32_e64 v20, v6, v7, s1
	s_cselect_b32 s2, -1, 0
	s_cmp_eq_u32 s20, 3
	v_cndmask_b32_e32 v19, v19, v9, vcc_lo
	s_cselect_b32 vcc_lo, -1, 0
	s_wait_alu 0xfffe
	v_cndmask_b32_e64 v20, v20, v8, s2
	s_cmp_eq_u32 s20, 0
	s_cselect_b32 s3, -1, 0
	s_add_co_i32 s44, s44, -4
	s_delay_alu instid0(VALU_DEP_1) | instskip(SKIP_2) | instid1(VALU_DEP_1)
	v_cndmask_b32_e32 v20, v20, v9, vcc_lo
	s_cmp_eq_u32 s20, s22
	s_wait_dscnt 0x0
	v_fma_f32 v18, -v19, v18, v20
	s_delay_alu instid0(VALU_DEP_1)
	v_cndmask_b32_e32 v9, v9, v18, vcc_lo
	v_cndmask_b32_e64 v8, v8, v18, s2
	v_cndmask_b32_e64 v7, v7, v18, s1
	s_wait_alu 0xfffe
	v_cndmask_b32_e64 v6, v6, v18, s3
	s_cbranch_scc0 .LBB3_28
; %bb.29:                               ;   in Loop: Header=BB3_26 Depth=4
	s_mov_b64 s[22:23], s[20:21]
	s_branch .LBB3_25
.LBB3_30:                               ;   in Loop: Header=BB3_14 Depth=2
	s_cmp_gt_i32 s17, -1
	s_cselect_b32 s2, -1, 0
	s_add_co_i32 s1, s18, 1
	s_cmp_lt_u32 s18, 2
	s_cselect_b32 s3, -1, 0
	s_wait_alu 0xfffe
	s_and_b32 s2, s2, s3
	s_wait_alu 0xfffe
	s_and_b32 vcc_lo, exec_lo, s2
	s_wait_alu 0xfffe
	s_cbranch_vccz .LBB3_32
; %bb.31:                               ;   in Loop: Header=BB3_14 Depth=2
	s_mov_b32 s18, s1
	s_branch .LBB3_14
.LBB3_32:                               ;   in Loop: Header=BB3_3 Depth=1
	s_mov_b32 s1, 0
.LBB3_33:                               ;   in Loop: Header=BB3_3 Depth=1
	s_wait_alu 0xfffe
	s_and_b32 vcc_lo, exec_lo, s1
	s_wait_alu 0xfffe
	s_cbranch_vccz .LBB3_54
; %bb.34:                               ;   in Loop: Header=BB3_3 Depth=1
	s_mov_b32 s17, 0
	s_wait_alu 0xfffe
	s_mov_b32 s18, s17
.LBB3_35:                               ;   Parent Loop BB3_3 Depth=1
                                        ; =>  This Loop Header: Depth=2
                                        ;       Child Loop BB3_38 Depth 3
                                        ;         Child Loop BB3_39 Depth 4
                                        ;         Child Loop BB3_42 Depth 4
                                        ;           Child Loop BB3_43 Depth 5
                                        ;         Child Loop BB3_48 Depth 4
                                        ;           Child Loop BB3_50 Depth 5
	s_getpc_b64 s[2:3]
	s_wait_alu 0xfffe
	s_sext_i32_i16 s3, s3
	s_add_co_u32 s2, s2, __const._ZL38rocblas_trsm_small_left_device_sharedBILi4ELi4ELb1EffPKPKfPKPfEv13rocblas_fill_18rocblas_operation_17rocblas_diagonal_iiT3_T4_lilT5_lili.step_sizes@rel32@lo+12
	s_wait_alu 0xfffe
	s_add_co_ci_u32 s3, s3, __const._ZL38rocblas_trsm_small_left_device_sharedBILi4ELi4ELb1EffPKPKfPKPfEv13rocblas_fill_18rocblas_operation_17rocblas_diagonal_iiT3_T4_lilT5_lili.step_sizes@rel32@hi+24
	s_lshl_b64 s[20:21], s[18:19], 2
	s_wait_alu 0xfffe
	s_add_nc_u64 s[2:3], s[2:3], s[20:21]
	s_load_b32 s33, s[2:3], 0x0
	s_wait_kmcnt 0x0
	s_add_co_i32 s34, s33, -1
	s_delay_alu instid0(SALU_CYCLE_1)
	s_add_co_i32 s1, s34, s17
	s_wait_alu 0xfffe
	s_cmp_ge_i32 s1, s26
	s_cbranch_scc1 .LBB3_51
; %bb.36:                               ;   in Loop: Header=BB3_35 Depth=2
	v_lshl_add_u32 v6, s17, 4, v13
	s_max_i32 s35, s33, 1
	s_lshl_b32 s36, s33, 4
	s_lshl_b32 s37, s17, 2
	;; [unrolled: 1-line block ×3, first 2 shown]
	s_mul_i32 s39, s17, 20
	s_mul_i32 s40, s33, 20
	s_branch .LBB3_38
.LBB3_37:                               ;   in Loop: Header=BB3_38 Depth=3
	s_add_co_i32 s17, s17, s33
	v_add_nc_u32_e32 v6, s36, v6
	s_wait_alu 0xfffe
	s_add_co_i32 s1, s34, s17
	s_add_co_i32 s37, s37, s38
	;; [unrolled: 1-line block ×3, first 2 shown]
	s_wait_alu 0xfffe
	s_cmp_ge_i32 s1, s26
	s_cbranch_scc1 .LBB3_51
.LBB3_38:                               ;   Parent Loop BB3_3 Depth=1
                                        ;     Parent Loop BB3_35 Depth=2
                                        ; =>    This Loop Header: Depth=3
                                        ;         Child Loop BB3_39 Depth 4
                                        ;         Child Loop BB3_42 Depth 4
                                        ;           Child Loop BB3_43 Depth 5
                                        ;         Child Loop BB3_48 Depth 4
                                        ;           Child Loop BB3_50 Depth 5
	v_mov_b32_e32 v7, v6
	s_mov_b64 s[20:21], 0
.LBB3_39:                               ;   Parent Loop BB3_3 Depth=1
                                        ;     Parent Loop BB3_35 Depth=2
                                        ;       Parent Loop BB3_38 Depth=3
                                        ; =>      This Inner Loop Header: Depth=4
	ds_load_b32 v8, v7
	s_wait_alu 0xfffe
	s_cmp_eq_u32 s20, 3
	v_add_nc_u32_e32 v7, 16, v7
	s_cselect_b32 vcc_lo, -1, 0
	s_cmp_eq_u32 s20, 2
	s_cselect_b32 s1, -1, 0
	s_cmp_eq_u32 s20, 1
	s_cselect_b32 s2, -1, 0
	s_cmp_eq_u32 s20, 0
	s_add_nc_u64 s[20:21], s[20:21], 1
	s_cselect_b32 s3, -1, 0
	s_wait_alu 0xfffe
	s_cmp_eq_u32 s35, s20
	s_wait_dscnt 0x0
	v_cndmask_b32_e32 v5, v5, v8, vcc_lo
	v_cndmask_b32_e64 v4, v4, v8, s1
	v_cndmask_b32_e64 v3, v3, v8, s2
	;; [unrolled: 1-line block ×3, first 2 shown]
	s_cbranch_scc0 .LBB3_39
; %bb.40:                               ;   in Loop: Header=BB3_38 Depth=3
	s_cmp_lt_i32 s17, 1
	s_cbranch_scc1 .LBB3_45
; %bb.41:                               ;   in Loop: Header=BB3_38 Depth=3
	s_mov_b32 s22, 0
	s_mov_b32 s23, s37
.LBB3_42:                               ;   Parent Loop BB3_3 Depth=1
                                        ;     Parent Loop BB3_35 Depth=2
                                        ;       Parent Loop BB3_38 Depth=3
                                        ; =>      This Loop Header: Depth=4
                                        ;           Child Loop BB3_43 Depth 5
	s_wait_alu 0xfffe
	v_lshl_add_u32 v7, s22, 4, v13
	s_mov_b64 s[20:21], 0
	s_mov_b32 s41, s23
	ds_load_b32 v7, v7
.LBB3_43:                               ;   Parent Loop BB3_3 Depth=1
                                        ;     Parent Loop BB3_35 Depth=2
                                        ;       Parent Loop BB3_38 Depth=3
                                        ;         Parent Loop BB3_42 Depth=4
                                        ; =>        This Inner Loop Header: Depth=5
	s_wait_alu 0xfffe
	s_cmp_eq_u32 s20, 1
	s_cselect_b32 vcc_lo, -1, 0
	s_wait_alu 0xfffe
	v_dual_mov_b32 v8, s41 :: v_dual_cndmask_b32 v9, v2, v3
	s_cmp_eq_u32 s20, 2
	s_cselect_b32 s1, -1, 0
	ds_load_b32 v8, v8
	s_wait_alu 0xfffe
	v_cndmask_b32_e64 v9, v9, v4, s1
	s_cmp_eq_u32 s20, 3
	s_cselect_b32 s2, -1, 0
	s_cmp_eq_u32 s20, 0
	s_wait_alu 0xfffe
	v_cndmask_b32_e64 v9, v9, v5, s2
	s_cselect_b32 s3, -1, 0
	s_add_nc_u64 s[20:21], s[20:21], 1
	s_add_co_i32 s41, s41, 4
	s_wait_alu 0xfffe
	s_cmp_eq_u32 s35, s20
	s_wait_dscnt 0x0
	v_fma_f32 v8, -v7, v8, v9
	s_delay_alu instid0(VALU_DEP_1)
	v_cndmask_b32_e64 v5, v5, v8, s2
	v_cndmask_b32_e64 v4, v4, v8, s1
	v_cndmask_b32_e32 v3, v3, v8, vcc_lo
	v_cndmask_b32_e64 v2, v2, v8, s3
	s_cbranch_scc0 .LBB3_43
; %bb.44:                               ;   in Loop: Header=BB3_42 Depth=4
	s_add_co_i32 s22, s22, 1
	s_add_co_i32 s23, s23, 16
	s_wait_alu 0xfffe
	s_cmp_eq_u32 s22, s17
	s_cbranch_scc0 .LBB3_42
.LBB3_45:                               ;   in Loop: Header=BB3_38 Depth=3
	s_mov_b64 s[20:21], 0
	s_mov_b32 s41, s39
	s_branch .LBB3_48
.LBB3_46:                               ;   in Loop: Header=BB3_48 Depth=4
	s_mov_b64 s[22:23], s[20:21]
.LBB3_47:                               ;   in Loop: Header=BB3_48 Depth=4
	s_add_co_i32 s3, s20, s17
	s_wait_alu 0xfffe
	s_cmp_eq_u32 s22, 1
	s_mul_i32 s1, s3, 20
	s_cselect_b32 vcc_lo, -1, 0
	s_wait_alu 0xfffe
	v_dual_mov_b32 v7, s1 :: v_dual_cndmask_b32 v8, v2, v3
	s_cmp_eq_u32 s22, 2
	s_add_nc_u64 s[20:21], s[20:21], 1
	s_cselect_b32 s1, -1, 0
	ds_load_b32 v7, v7
	s_wait_alu 0xfffe
	v_cndmask_b32_e64 v8, v8, v4, s1
	s_cmp_eq_u32 s22, 3
	s_cselect_b32 s2, -1, 0
	s_cmp_eq_u32 s22, 0
	s_wait_alu 0xfffe
	v_cndmask_b32_e64 v8, v8, v5, s2
	s_wait_dscnt 0x0
	s_delay_alu instid0(VALU_DEP_1) | instskip(SKIP_1) | instid1(VALU_DEP_2)
	v_mul_f32_e32 v7, v8, v7
	v_lshl_add_u32 v8, s3, 4, v13
	v_cndmask_b32_e32 v3, v3, v7, vcc_lo
	s_cselect_b32 vcc_lo, -1, 0
	v_cndmask_b32_e64 v5, v5, v7, s2
	v_cndmask_b32_e64 v4, v4, v7, s1
	s_wait_alu 0xfffe
	v_cndmask_b32_e32 v2, v2, v7, vcc_lo
	s_add_co_i32 s41, s41, 4
	s_cmp_eq_u32 s20, s35
	ds_store_b32 v8, v7
	s_cbranch_scc1 .LBB3_37
.LBB3_48:                               ;   Parent Loop BB3_3 Depth=1
                                        ;     Parent Loop BB3_35 Depth=2
                                        ;       Parent Loop BB3_38 Depth=3
                                        ; =>      This Loop Header: Depth=4
                                        ;           Child Loop BB3_50 Depth 5
	s_mov_b64 s[22:23], 0
	s_wait_alu 0xfffe
	s_cmp_eq_u32 s20, 0
	s_cbranch_scc1 .LBB3_47
; %bb.49:                               ;   in Loop: Header=BB3_48 Depth=4
	s_mov_b32 s42, s41
.LBB3_50:                               ;   Parent Loop BB3_3 Depth=1
                                        ;     Parent Loop BB3_35 Depth=2
                                        ;       Parent Loop BB3_38 Depth=3
                                        ;         Parent Loop BB3_48 Depth=4
                                        ; =>        This Inner Loop Header: Depth=5
	s_cmp_eq_u32 s22, 1
	s_cselect_b32 vcc_lo, -1, 0
	s_wait_alu 0xfffe
	v_dual_mov_b32 v7, s42 :: v_dual_cndmask_b32 v8, v2, v3
	s_cmp_eq_u32 s22, 2
	s_cselect_b32 vcc_lo, -1, 0
	s_cmp_eq_u32 s22, 3
	ds_load_b32 v7, v7
	s_wait_alu 0xfffe
	v_cndmask_b32_e32 v8, v8, v4, vcc_lo
	s_cselect_b32 vcc_lo, -1, 0
	s_cmp_eq_u32 s20, 1
	s_add_nc_u64 s[22:23], s[22:23], 1
	s_cselect_b32 s1, -1, 0
	s_cmp_eq_u32 s20, 2
	s_wait_alu 0xfffe
	v_cndmask_b32_e64 v9, v2, v3, s1
	s_cselect_b32 s2, -1, 0
	s_cmp_eq_u32 s20, 3
	v_cndmask_b32_e32 v8, v8, v5, vcc_lo
	s_cselect_b32 vcc_lo, -1, 0
	s_wait_alu 0xfffe
	v_cndmask_b32_e64 v9, v9, v4, s2
	s_cmp_eq_u32 s20, 0
	s_cselect_b32 s3, -1, 0
	s_add_co_i32 s42, s42, 16
	s_delay_alu instid0(VALU_DEP_1) | instskip(SKIP_2) | instid1(VALU_DEP_1)
	v_cndmask_b32_e32 v9, v9, v5, vcc_lo
	s_cmp_eq_u32 s20, s22
	s_wait_dscnt 0x0
	v_fma_f32 v7, -v8, v7, v9
	s_delay_alu instid0(VALU_DEP_1)
	v_cndmask_b32_e32 v5, v5, v7, vcc_lo
	v_cndmask_b32_e64 v4, v4, v7, s2
	v_cndmask_b32_e64 v3, v3, v7, s1
	s_wait_alu 0xfffe
	v_cndmask_b32_e64 v2, v2, v7, s3
	s_cbranch_scc0 .LBB3_50
	s_branch .LBB3_46
.LBB3_51:                               ;   in Loop: Header=BB3_35 Depth=2
	s_cmp_lt_i32 s17, s26
	s_cselect_b32 s2, -1, 0
	s_add_co_i32 s1, s18, 1
	s_cmp_lt_u32 s18, 2
	s_cselect_b32 s3, -1, 0
	s_wait_alu 0xfffe
	s_and_b32 s2, s2, s3
	s_wait_alu 0xfffe
	s_and_not1_b32 vcc_lo, exec_lo, s2
	s_wait_alu 0xfffe
	s_cbranch_vccnz .LBB3_53
; %bb.52:                               ;   in Loop: Header=BB3_35 Depth=2
	s_mov_b32 s18, s1
	s_branch .LBB3_35
.LBB3_53:                               ;   in Loop: Header=BB3_3 Depth=1
	v_dual_mov_b32 v9, v5 :: v_dual_mov_b32 v8, v4
	v_dual_mov_b32 v7, v3 :: v_dual_mov_b32 v6, v2
.LBB3_54:                               ;   in Loop: Header=BB3_3 Depth=1
	; wave barrier
	s_wait_loadcnt_dscnt 0x0
	global_inv scope:SCOPE_SE
	s_and_saveexec_b32 s1, s30
	s_cbranch_execz .LBB3_2
; %bb.55:                               ;   in Loop: Header=BB3_3 Depth=1
	v_add_co_u32 v2, vcc_lo, v15, v10
	s_wait_alu 0xfffd
	v_add_co_ci_u32_e64 v3, null, v16, v11, vcc_lo
	v_mov_b32_e32 v4, v13
	s_mov_b32 s2, s26
.LBB3_56:                               ;   Parent Loop BB3_3 Depth=1
                                        ; =>  This Inner Loop Header: Depth=2
	ds_load_b32 v5, v4
	v_add_nc_u32_e32 v4, 16, v4
	s_wait_alu 0xfffe
	s_add_co_i32 s2, s2, -1
	s_wait_alu 0xfffe
	s_cmp_lg_u32 s2, 0
	s_wait_dscnt 0x0
	flat_store_b32 v[2:3], v5
	v_add_co_u32 v2, vcc_lo, v2, 4
	s_wait_alu 0xfffd
	v_add_co_ci_u32_e64 v3, null, 0, v3, vcc_lo
	s_cbranch_scc1 .LBB3_56
	s_branch .LBB3_2
.LBB3_57:
	s_endpgm
	.section	.rodata,"a",@progbits
	.p2align	6, 0x0
	.amdhsa_kernel _ZL38rocblas_trsm_small_left_device_sharedBILi4ELi4ELb1EffPKPKfPKPfEv13rocblas_fill_18rocblas_operation_17rocblas_diagonal_iiT3_T4_lilT5_lili
		.amdhsa_group_segment_fixed_size 128
		.amdhsa_private_segment_fixed_size 0
		.amdhsa_kernarg_size 352
		.amdhsa_user_sgpr_count 2
		.amdhsa_user_sgpr_dispatch_ptr 0
		.amdhsa_user_sgpr_queue_ptr 0
		.amdhsa_user_sgpr_kernarg_segment_ptr 1
		.amdhsa_user_sgpr_dispatch_id 0
		.amdhsa_user_sgpr_private_segment_size 0
		.amdhsa_wavefront_size32 1
		.amdhsa_uses_dynamic_stack 0
		.amdhsa_enable_private_segment 0
		.amdhsa_system_sgpr_workgroup_id_x 1
		.amdhsa_system_sgpr_workgroup_id_y 0
		.amdhsa_system_sgpr_workgroup_id_z 1
		.amdhsa_system_sgpr_workgroup_info 0
		.amdhsa_system_vgpr_workitem_id 0
		.amdhsa_next_free_vgpr 21
		.amdhsa_next_free_sgpr 45
		.amdhsa_reserve_vcc 1
		.amdhsa_float_round_mode_32 0
		.amdhsa_float_round_mode_16_64 0
		.amdhsa_float_denorm_mode_32 3
		.amdhsa_float_denorm_mode_16_64 3
		.amdhsa_fp16_overflow 0
		.amdhsa_workgroup_processor_mode 1
		.amdhsa_memory_ordered 1
		.amdhsa_forward_progress 1
		.amdhsa_inst_pref_size 23
		.amdhsa_round_robin_scheduling 0
		.amdhsa_exception_fp_ieee_invalid_op 0
		.amdhsa_exception_fp_denorm_src 0
		.amdhsa_exception_fp_ieee_div_zero 0
		.amdhsa_exception_fp_ieee_overflow 0
		.amdhsa_exception_fp_ieee_underflow 0
		.amdhsa_exception_fp_ieee_inexact 0
		.amdhsa_exception_int_div_zero 0
	.end_amdhsa_kernel
	.section	.text._ZL38rocblas_trsm_small_left_device_sharedBILi4ELi4ELb1EffPKPKfPKPfEv13rocblas_fill_18rocblas_operation_17rocblas_diagonal_iiT3_T4_lilT5_lili,"axG",@progbits,_ZL38rocblas_trsm_small_left_device_sharedBILi4ELi4ELb1EffPKPKfPKPfEv13rocblas_fill_18rocblas_operation_17rocblas_diagonal_iiT3_T4_lilT5_lili,comdat
.Lfunc_end3:
	.size	_ZL38rocblas_trsm_small_left_device_sharedBILi4ELi4ELb1EffPKPKfPKPfEv13rocblas_fill_18rocblas_operation_17rocblas_diagonal_iiT3_T4_lilT5_lili, .Lfunc_end3-_ZL38rocblas_trsm_small_left_device_sharedBILi4ELi4ELb1EffPKPKfPKPfEv13rocblas_fill_18rocblas_operation_17rocblas_diagonal_iiT3_T4_lilT5_lili
                                        ; -- End function
	.set _ZL38rocblas_trsm_small_left_device_sharedBILi4ELi4ELb1EffPKPKfPKPfEv13rocblas_fill_18rocblas_operation_17rocblas_diagonal_iiT3_T4_lilT5_lili.num_vgpr, 21
	.set _ZL38rocblas_trsm_small_left_device_sharedBILi4ELi4ELb1EffPKPKfPKPfEv13rocblas_fill_18rocblas_operation_17rocblas_diagonal_iiT3_T4_lilT5_lili.num_agpr, 0
	.set _ZL38rocblas_trsm_small_left_device_sharedBILi4ELi4ELb1EffPKPKfPKPfEv13rocblas_fill_18rocblas_operation_17rocblas_diagonal_iiT3_T4_lilT5_lili.numbered_sgpr, 45
	.set _ZL38rocblas_trsm_small_left_device_sharedBILi4ELi4ELb1EffPKPKfPKPfEv13rocblas_fill_18rocblas_operation_17rocblas_diagonal_iiT3_T4_lilT5_lili.num_named_barrier, 0
	.set _ZL38rocblas_trsm_small_left_device_sharedBILi4ELi4ELb1EffPKPKfPKPfEv13rocblas_fill_18rocblas_operation_17rocblas_diagonal_iiT3_T4_lilT5_lili.private_seg_size, 0
	.set _ZL38rocblas_trsm_small_left_device_sharedBILi4ELi4ELb1EffPKPKfPKPfEv13rocblas_fill_18rocblas_operation_17rocblas_diagonal_iiT3_T4_lilT5_lili.uses_vcc, 1
	.set _ZL38rocblas_trsm_small_left_device_sharedBILi4ELi4ELb1EffPKPKfPKPfEv13rocblas_fill_18rocblas_operation_17rocblas_diagonal_iiT3_T4_lilT5_lili.uses_flat_scratch, 0
	.set _ZL38rocblas_trsm_small_left_device_sharedBILi4ELi4ELb1EffPKPKfPKPfEv13rocblas_fill_18rocblas_operation_17rocblas_diagonal_iiT3_T4_lilT5_lili.has_dyn_sized_stack, 0
	.set _ZL38rocblas_trsm_small_left_device_sharedBILi4ELi4ELb1EffPKPKfPKPfEv13rocblas_fill_18rocblas_operation_17rocblas_diagonal_iiT3_T4_lilT5_lili.has_recursion, 0
	.set _ZL38rocblas_trsm_small_left_device_sharedBILi4ELi4ELb1EffPKPKfPKPfEv13rocblas_fill_18rocblas_operation_17rocblas_diagonal_iiT3_T4_lilT5_lili.has_indirect_call, 0
	.section	.AMDGPU.csdata,"",@progbits
; Kernel info:
; codeLenInByte = 2860
; TotalNumSgprs: 47
; NumVgprs: 21
; ScratchSize: 0
; MemoryBound: 0
; FloatMode: 240
; IeeeMode: 1
; LDSByteSize: 128 bytes/workgroup (compile time only)
; SGPRBlocks: 0
; VGPRBlocks: 2
; NumSGPRsForWavesPerEU: 47
; NumVGPRsForWavesPerEU: 21
; Occupancy: 16
; WaveLimiterHint : 0
; COMPUTE_PGM_RSRC2:SCRATCH_EN: 0
; COMPUTE_PGM_RSRC2:USER_SGPR: 2
; COMPUTE_PGM_RSRC2:TRAP_HANDLER: 0
; COMPUTE_PGM_RSRC2:TGID_X_EN: 1
; COMPUTE_PGM_RSRC2:TGID_Y_EN: 0
; COMPUTE_PGM_RSRC2:TGID_Z_EN: 1
; COMPUTE_PGM_RSRC2:TIDIG_COMP_CNT: 0
	.section	.text._ZL30rocblas_trsm_small_left_deviceILi4ELi4ELb1EffPKPKfPKPfEv13rocblas_fill_18rocblas_operation_17rocblas_diagonal_iiT3_T4_lilT5_lili,"axG",@progbits,_ZL30rocblas_trsm_small_left_deviceILi4ELi4ELb1EffPKPKfPKPfEv13rocblas_fill_18rocblas_operation_17rocblas_diagonal_iiT3_T4_lilT5_lili,comdat
	.globl	_ZL30rocblas_trsm_small_left_deviceILi4ELi4ELb1EffPKPKfPKPfEv13rocblas_fill_18rocblas_operation_17rocblas_diagonal_iiT3_T4_lilT5_lili ; -- Begin function _ZL30rocblas_trsm_small_left_deviceILi4ELi4ELb1EffPKPKfPKPfEv13rocblas_fill_18rocblas_operation_17rocblas_diagonal_iiT3_T4_lilT5_lili
	.p2align	8
	.type	_ZL30rocblas_trsm_small_left_deviceILi4ELi4ELb1EffPKPKfPKPfEv13rocblas_fill_18rocblas_operation_17rocblas_diagonal_iiT3_T4_lilT5_lili,@function
_ZL30rocblas_trsm_small_left_deviceILi4ELi4ELb1EffPKPKfPKPfEv13rocblas_fill_18rocblas_operation_17rocblas_diagonal_iiT3_T4_lilT5_lili: ; @_ZL30rocblas_trsm_small_left_deviceILi4ELi4ELb1EffPKPKfPKPfEv13rocblas_fill_18rocblas_operation_17rocblas_diagonal_iiT3_T4_lilT5_lili
; %bb.0:
	s_load_b32 s33, s[0:1], 0x58
	s_lshr_b32 s6, ttmp7, 16
	s_wait_kmcnt 0x0
	s_cmp_ge_u32 s6, s33
	s_cbranch_scc1 .LBB4_54
; %bb.1:
	s_clause 0x6
	s_load_b32 s2, s[0:1], 0x28
	s_load_b128 s[16:19], s[0:1], 0x4
	s_load_b32 s4, s[0:1], 0x60
	s_load_b32 s5, s[0:1], 0x48
	s_load_b128 s[8:11], s[0:1], 0x18
	s_load_b128 s[12:15], s[0:1], 0x38
	s_load_b32 s34, s[0:1], 0x14
	s_lshl_b32 s0, ttmp9, 2
	v_dual_mov_b32 v1, 0 :: v_dual_lshlrev_b32 v16, 2, v0
	v_or_b32_e32 v2, s0, v0
	v_lshlrev_b32_e32 v5, 4, v0
	s_mov_b32 s40, 0
	s_delay_alu instid0(VALU_DEP_3)
	v_mov_b32_e32 v4, v1
	s_wait_kmcnt 0x0
	s_ashr_i32 s3, s2, 31
	s_min_i32 s35, s18, 4
	s_add_co_i32 s4, s4, -1
	v_mad_co_i64_i32 v[2:3], null, s5, v2, 0
	s_sub_co_i32 s0, s19, s0
	s_add_co_i32 s36, s35, -1
	s_wait_alu 0xfffe
	s_cmp_ge_u32 ttmp9, s4
	s_mov_b32 s19, 0
	s_cselect_b32 s1, s0, 4
	s_cmp_lg_u32 s17, 0x84
	v_lshlrev_b64_e32 v[10:11], 2, v[2:3]
	s_cselect_b32 s37, -1, 0
	s_cmp_lg_u32 s16, 0x6f
	v_mov_b32_e32 v3, v1
	s_cselect_b32 s38, -1, 0
	s_lshl_b64 s[14:15], s[14:15], 2
	v_mov_b32_e32 v2, v1
	v_add_co_u32 v17, vcc_lo, v10, s14
	v_cmp_gt_i32_e64 s0, s35, v0
	s_wait_alu 0xfffe
	v_cmp_gt_i32_e64 s1, s1, v0
	v_lshlrev_b32_e32 v0, 2, v0
	v_add_nc_u32_e32 v19, v16, v5
	v_mov_b32_e32 v5, v4
	v_add_co_ci_u32_e64 v18, null, s15, v11, vcc_lo
	v_mov_b32_e32 v4, v3
	v_mov_b32_e32 v3, v2
	;; [unrolled: 1-line block ×3, first 2 shown]
	s_lshl_b32 s39, s35, 2
	s_lshl_b64 s[16:17], s[2:3], 2
	s_add_co_i32 s39, s39, -4
	s_lshl_b64 s[10:11], s[10:11], 2
	s_branch .LBB4_5
.LBB4_2:                                ;   in Loop: Header=BB4_5 Depth=1
	v_dual_mov_b32 v9, v5 :: v_dual_mov_b32 v8, v4
	v_dual_mov_b32 v7, v3 :: v_dual_mov_b32 v6, v2
.LBB4_3:                                ;   in Loop: Header=BB4_5 Depth=1
	s_add_co_i32 s6, s6, 0x10000
	s_delay_alu instid0(SALU_CYCLE_1)
	s_cmp_ge_u32 s6, s33
	s_cselect_b32 s2, -1, 0
	s_wait_alu 0xfffe
	s_or_not1_b32 s2, s2, exec_lo
.LBB4_4:                                ;   in Loop: Header=BB4_5 Depth=1
	s_or_b32 exec_lo, exec_lo, s7
	v_dual_mov_b32 v2, v6 :: v_dual_mov_b32 v3, v7
	v_dual_mov_b32 v4, v8 :: v_dual_mov_b32 v5, v9
	s_wait_alu 0xfffe
	s_and_b32 s2, exec_lo, s2
	s_wait_alu 0xfffe
	s_or_b32 s40, s2, s40
	s_delay_alu instid0(SALU_CYCLE_1)
	s_and_not1_b32 exec_lo, exec_lo, s40
	s_cbranch_execz .LBB4_54
.LBB4_5:                                ; =>This Loop Header: Depth=1
                                        ;     Child Loop BB4_7 Depth 2
                                        ;     Child Loop BB4_14 Depth 2
                                        ;       Child Loop BB4_17 Depth 3
                                        ;         Child Loop BB4_18 Depth 4
                                        ;         Child Loop BB4_20 Depth 4
                                        ;           Child Loop BB4_21 Depth 5
                                        ;         Child Loop BB4_26 Depth 4
                                        ;           Child Loop BB4_28 Depth 5
                                        ;     Child Loop BB4_35 Depth 2
                                        ;       Child Loop BB4_38 Depth 3
                                        ;         Child Loop BB4_39 Depth 4
                                        ;         Child Loop BB4_42 Depth 4
                                        ;           Child Loop BB4_43 Depth 5
                                        ;         Child Loop BB4_48 Depth 4
                                        ;           Child Loop BB4_50 Depth 5
	s_mov_b32 s7, s19
	s_delay_alu instid0(SALU_CYCLE_1)
	s_lshl_b64 s[2:3], s[6:7], 3
	s_wait_alu 0xfffe
	s_add_nc_u64 s[4:5], s[12:13], s[2:3]
	global_load_b64 v[12:13], v1, s[4:5]
	s_and_saveexec_b32 s4, s0
	s_cbranch_execz .LBB4_11
; %bb.6:                                ;   in Loop: Header=BB4_5 Depth=1
	s_add_nc_u64 s[2:3], s[8:9], s[2:3]
	v_mov_b32_e32 v8, v16
	global_load_b64 v[6:7], v1, s[2:3]
	s_mov_b32 s2, s35
	s_wait_loadcnt 0x0
	v_add_co_u32 v6, vcc_lo, v6, s10
	s_wait_alu 0xfffd
	v_add_co_ci_u32_e64 v7, null, s11, v7, vcc_lo
	s_delay_alu instid0(VALU_DEP_2) | instskip(SKIP_1) | instid1(VALU_DEP_2)
	v_add_co_u32 v6, vcc_lo, v6, v0
	s_wait_alu 0xfffd
	v_add_co_ci_u32_e64 v7, null, 0, v7, vcc_lo
.LBB4_7:                                ;   Parent Loop BB4_5 Depth=1
                                        ; =>  This Inner Loop Header: Depth=2
	flat_load_b32 v9, v[6:7]
	v_add_co_u32 v6, vcc_lo, v6, s16
	s_wait_alu 0xfffd
	v_add_co_ci_u32_e64 v7, null, s17, v7, vcc_lo
	s_wait_alu 0xfffe
	s_add_co_i32 s2, s2, -1
	s_wait_alu 0xfffe
	s_cmp_eq_u32 s2, 0
	s_wait_loadcnt_dscnt 0x0
	ds_store_b32 v8, v9
	v_add_nc_u32_e32 v8, 16, v8
	s_cbranch_scc0 .LBB4_7
; %bb.8:                                ;   in Loop: Header=BB4_5 Depth=1
	v_mov_b32_e32 v6, 1.0
	s_and_b32 vcc_lo, exec_lo, s37
	s_wait_alu 0xfffe
	s_cbranch_vccz .LBB4_10
; %bb.9:                                ;   in Loop: Header=BB4_5 Depth=1
	ds_load_b32 v6, v19
	s_wait_dscnt 0x0
	v_div_scale_f32 v7, null, v6, v6, 1.0
	s_delay_alu instid0(VALU_DEP_1) | instskip(NEXT) | instid1(TRANS32_DEP_1)
	v_rcp_f32_e32 v8, v7
	v_fma_f32 v9, -v7, v8, 1.0
	s_delay_alu instid0(VALU_DEP_1) | instskip(SKIP_1) | instid1(VALU_DEP_1)
	v_fmac_f32_e32 v8, v9, v8
	v_div_scale_f32 v9, vcc_lo, 1.0, v6, 1.0
	v_mul_f32_e32 v14, v9, v8
	s_delay_alu instid0(VALU_DEP_1) | instskip(NEXT) | instid1(VALU_DEP_1)
	v_fma_f32 v15, -v7, v14, v9
	v_fmac_f32_e32 v14, v15, v8
	s_delay_alu instid0(VALU_DEP_1) | instskip(SKIP_1) | instid1(VALU_DEP_1)
	v_fma_f32 v7, -v7, v14, v9
	s_wait_alu 0xfffd
	v_div_fmas_f32 v7, v7, v8, v14
	s_delay_alu instid0(VALU_DEP_1)
	v_div_fixup_f32 v6, v7, v6, 1.0
.LBB4_10:                               ;   in Loop: Header=BB4_5 Depth=1
	ds_store_b32 v19, v6
.LBB4_11:                               ;   in Loop: Header=BB4_5 Depth=1
	s_wait_alu 0xfffe
	s_or_b32 exec_lo, exec_lo, s4
	s_mov_b32 s2, -1
	; wave barrier
	s_wait_loadcnt_dscnt 0x0
	global_inv scope:SCOPE_SE
                                        ; implicit-def: $vgpr6_vgpr7_vgpr8_vgpr9
	s_and_saveexec_b32 s7, s1
	s_cbranch_execz .LBB4_4
; %bb.12:                               ;   in Loop: Header=BB4_5 Depth=1
	v_add_co_u32 v6, vcc_lo, v12, s14
	s_wait_alu 0xfffd
	v_add_co_ci_u32_e64 v7, null, s15, v13, vcc_lo
	s_delay_alu instid0(VALU_DEP_2) | instskip(SKIP_1) | instid1(VALU_DEP_2)
	v_add_co_u32 v20, vcc_lo, v6, v10
	s_wait_alu 0xfffd
	v_add_co_ci_u32_e64 v21, null, v7, v11, vcc_lo
	s_and_not1_b32 vcc_lo, exec_lo, s38
                                        ; implicit-def: $vgpr6_vgpr7_vgpr8_vgpr9
	s_wait_alu 0xfffe
	s_cbranch_vccnz .LBB4_33
; %bb.13:                               ;   in Loop: Header=BB4_5 Depth=1
	v_add_co_u32 v22, vcc_lo, v12, v17
	v_dual_mov_b32 v9, v5 :: v_dual_mov_b32 v8, v4
	s_wait_alu 0xfffd
	v_add_co_ci_u32_e64 v23, null, v13, v18, vcc_lo
	v_dual_mov_b32 v7, v3 :: v_dual_mov_b32 v6, v2
	s_mov_b32 s18, 0
	s_mov_b32 s20, s36
.LBB4_14:                               ;   Parent Loop BB4_5 Depth=1
                                        ; =>  This Loop Header: Depth=2
                                        ;       Child Loop BB4_17 Depth 3
                                        ;         Child Loop BB4_18 Depth 4
                                        ;         Child Loop BB4_20 Depth 4
                                        ;           Child Loop BB4_21 Depth 5
                                        ;         Child Loop BB4_26 Depth 4
                                        ;           Child Loop BB4_28 Depth 5
	s_getpc_b64 s[2:3]
	s_wait_alu 0xfffe
	s_sext_i32_i16 s3, s3
	s_add_co_u32 s2, s2, __const._ZL30rocblas_trsm_small_left_deviceILi4ELi4ELb1EffPKPKfPKPfEv13rocblas_fill_18rocblas_operation_17rocblas_diagonal_iiT3_T4_lilT5_lili.step_sizes@rel32@lo+12
	s_wait_alu 0xfffe
	s_add_co_ci_u32 s3, s3, __const._ZL30rocblas_trsm_small_left_deviceILi4ELi4ELb1EffPKPKfPKPfEv13rocblas_fill_18rocblas_operation_17rocblas_diagonal_iiT3_T4_lilT5_lili.step_sizes@rel32@hi+24
	s_lshl_b64 s[4:5], s[18:19], 2
	s_wait_alu 0xfffe
	s_add_nc_u64 s[2:3], s[2:3], s[4:5]
	s_load_b32 s26, s[2:3], 0x0
	s_wait_kmcnt 0x0
	s_add_co_i32 s27, s26, -1
	s_wait_alu 0xfffe
	s_cmp_lt_i32 s20, s27
	s_cbranch_scc1 .LBB4_30
; %bb.15:                               ;   in Loop: Header=BB4_14 Depth=2
	s_lshl_b32 s2, s20, 4
	s_lshl_b32 s3, s26, 4
	s_max_i32 s28, s26, 1
	s_wait_alu 0xfffe
	s_add_co_i32 s29, s39, s2
	s_sub_co_i32 s30, 0, s3
	s_mul_i32 s31, s20, 20
	s_mul_i32 s41, s26, 0xffffffec
	s_branch .LBB4_17
.LBB4_16:                               ;   in Loop: Header=BB4_17 Depth=3
	s_sub_co_i32 s20, s20, s26
	s_add_co_i32 s29, s29, s30
	s_add_co_i32 s31, s31, s41
	s_cmp_lt_i32 s20, s27
	s_cbranch_scc1 .LBB4_30
.LBB4_17:                               ;   Parent Loop BB4_5 Depth=1
                                        ;     Parent Loop BB4_14 Depth=2
                                        ; =>    This Loop Header: Depth=3
                                        ;         Child Loop BB4_18 Depth 4
                                        ;         Child Loop BB4_20 Depth 4
                                        ;           Child Loop BB4_21 Depth 5
                                        ;         Child Loop BB4_26 Depth 4
                                        ;           Child Loop BB4_28 Depth 5
	s_ashr_i32 s21, s20, 31
	s_mov_b64 s[4:5], 0
	s_lshl_b64 s[2:3], s[20:21], 2
	s_wait_alu 0xfffe
	v_add_co_u32 v14, vcc_lo, v22, s2
	s_wait_alu 0xfffd
	v_add_co_ci_u32_e64 v15, null, s3, v23, vcc_lo
.LBB4_18:                               ;   Parent Loop BB4_5 Depth=1
                                        ;     Parent Loop BB4_14 Depth=2
                                        ;       Parent Loop BB4_17 Depth=3
                                        ; =>      This Inner Loop Header: Depth=4
	flat_load_b32 v24, v[14:15]
	s_wait_alu 0xfffe
	s_cmp_eq_u32 s4, 3
	v_add_co_u32 v14, vcc_lo, v14, -4
	s_wait_alu 0xfffd
	v_add_co_ci_u32_e64 v15, null, -1, v15, vcc_lo
	s_cselect_b32 vcc_lo, -1, 0
	s_cmp_eq_u32 s4, 2
	s_cselect_b32 s2, -1, 0
	s_cmp_eq_u32 s4, 1
	s_cselect_b32 s3, -1, 0
	s_cmp_eq_u32 s4, 0
	s_add_nc_u64 s[4:5], s[4:5], 1
	s_wait_loadcnt_dscnt 0x0
	v_mul_f32_e32 v24, s34, v24
	s_wait_alu 0xfffe
	s_delay_alu instid0(VALU_DEP_1)
	v_cndmask_b32_e32 v9, v9, v24, vcc_lo
	s_cselect_b32 vcc_lo, -1, 0
	v_cndmask_b32_e64 v8, v8, v24, s2
	v_cndmask_b32_e64 v7, v7, v24, s3
	s_wait_alu 0xfffe
	v_cndmask_b32_e32 v6, v6, v24, vcc_lo
	s_cmp_eq_u32 s28, s4
	s_cbranch_scc0 .LBB4_18
; %bb.19:                               ;   in Loop: Header=BB4_17 Depth=3
	s_cmp_le_i32 s36, s20
	s_mov_b32 s5, s29
	s_mov_b32 s22, s36
	s_cbranch_scc1 .LBB4_23
.LBB4_20:                               ;   Parent Loop BB4_5 Depth=1
                                        ;     Parent Loop BB4_14 Depth=2
                                        ;       Parent Loop BB4_17 Depth=3
                                        ; =>      This Loop Header: Depth=4
                                        ;           Child Loop BB4_21 Depth 5
	s_wait_alu 0xfffe
	s_ashr_i32 s23, s22, 31
	s_mov_b64 s[24:25], 0
	s_wait_alu 0xfffe
	s_lshl_b64 s[2:3], s[22:23], 2
	s_mov_b32 s23, s5
	s_wait_alu 0xfffe
	v_add_co_u32 v14, vcc_lo, v20, s2
	s_wait_alu 0xfffd
	v_add_co_ci_u32_e64 v15, null, s3, v21, vcc_lo
	flat_load_b32 v14, v[14:15]
.LBB4_21:                               ;   Parent Loop BB4_5 Depth=1
                                        ;     Parent Loop BB4_14 Depth=2
                                        ;       Parent Loop BB4_17 Depth=3
                                        ;         Parent Loop BB4_20 Depth=4
                                        ; =>        This Inner Loop Header: Depth=5
	s_cmp_eq_u32 s24, 1
	s_cselect_b32 vcc_lo, -1, 0
	s_wait_alu 0xfffe
	v_dual_mov_b32 v15, s23 :: v_dual_cndmask_b32 v24, v6, v7
	s_cmp_eq_u32 s24, 2
	s_cselect_b32 s2, -1, 0
	ds_load_b32 v15, v15
	s_wait_alu 0xfffe
	v_cndmask_b32_e64 v24, v24, v8, s2
	s_cmp_eq_u32 s24, 3
	s_cselect_b32 s3, -1, 0
	s_cmp_eq_u32 s24, 0
	s_wait_alu 0xfffe
	v_cndmask_b32_e64 v24, v24, v9, s3
	s_cselect_b32 s4, -1, 0
	s_add_nc_u64 s[24:25], s[24:25], 1
	s_add_co_i32 s23, s23, -16
	s_wait_alu 0xfffe
	s_cmp_eq_u32 s28, s24
	s_wait_loadcnt_dscnt 0x0
	v_fma_f32 v15, -v14, v15, v24
	s_delay_alu instid0(VALU_DEP_1)
	v_cndmask_b32_e64 v9, v9, v15, s3
	v_cndmask_b32_e64 v8, v8, v15, s2
	v_cndmask_b32_e32 v7, v7, v15, vcc_lo
	v_cndmask_b32_e64 v6, v6, v15, s4
	s_cbranch_scc0 .LBB4_21
; %bb.22:                               ;   in Loop: Header=BB4_20 Depth=4
	s_add_co_i32 s22, s22, -1
	s_add_co_i32 s5, s5, -4
	s_wait_alu 0xfffe
	s_cmp_le_i32 s22, s20
	s_cbranch_scc0 .LBB4_20
.LBB4_23:                               ;   in Loop: Header=BB4_17 Depth=3
	s_mov_b64 s[22:23], 0
	s_mov_b32 s42, s31
	s_branch .LBB4_26
.LBB4_24:                               ;   in Loop: Header=BB4_26 Depth=4
	s_mov_b32 s2, s20
	s_mov_b64 s[4:5], 0
	s_mov_b64 s[24:25], s[20:21]
.LBB4_25:                               ;   in Loop: Header=BB4_26 Depth=4
	s_wait_alu 0xfffe
	s_mul_i32 s2, s2, 20
	s_cmp_eq_u32 s4, 1
	s_add_nc_u64 s[22:23], s[22:23], 1
	s_cselect_b32 vcc_lo, -1, 0
	s_wait_alu 0xfffe
	v_dual_mov_b32 v14, s2 :: v_dual_cndmask_b32 v15, v6, v7
	s_cmp_eq_u32 s4, 2
	s_cselect_b32 s2, -1, 0
	ds_load_b32 v14, v14
	s_wait_alu 0xfffe
	v_cndmask_b32_e64 v15, v15, v8, s2
	s_cmp_eq_u32 s4, 3
	s_cselect_b32 s3, -1, 0
	s_cmp_eq_u32 s4, 0
	s_wait_alu 0xfffe
	v_cndmask_b32_e64 v15, v15, v9, s3
	s_cselect_b32 s4, -1, 0
	s_lshl_b64 s[24:25], s[24:25], 2
	s_add_co_i32 s42, s42, -16
	s_cmp_eq_u32 s22, s28
	s_wait_dscnt 0x0
	v_mul_f32_e32 v24, v15, v14
	s_wait_alu 0xfffe
	v_add_co_u32 v14, s5, v20, s24
	s_wait_alu 0xf1ff
	v_add_co_ci_u32_e64 v15, null, s25, v21, s5
	v_cndmask_b32_e64 v9, v9, v24, s3
	v_cndmask_b32_e64 v8, v8, v24, s2
	v_cndmask_b32_e32 v7, v7, v24, vcc_lo
	v_cndmask_b32_e64 v6, v6, v24, s4
	flat_store_b32 v[14:15], v24
	s_cbranch_scc1 .LBB4_16
.LBB4_26:                               ;   Parent Loop BB4_5 Depth=1
                                        ;     Parent Loop BB4_14 Depth=2
                                        ;       Parent Loop BB4_17 Depth=3
                                        ; =>      This Loop Header: Depth=4
                                        ;           Child Loop BB4_28 Depth 5
	s_wait_alu 0xfffe
	s_cmp_eq_u32 s22, 0
	s_cbranch_scc1 .LBB4_24
; %bb.27:                               ;   in Loop: Header=BB4_26 Depth=4
	s_mov_b64 s[24:25], 0
	s_mov_b32 s5, s42
.LBB4_28:                               ;   Parent Loop BB4_5 Depth=1
                                        ;     Parent Loop BB4_14 Depth=2
                                        ;       Parent Loop BB4_17 Depth=3
                                        ;         Parent Loop BB4_26 Depth=4
                                        ; =>        This Inner Loop Header: Depth=5
	s_wait_alu 0xfffe
	s_cmp_eq_u32 s24, 1
	s_cselect_b32 vcc_lo, -1, 0
	s_wait_alu 0xfffe
	v_dual_mov_b32 v14, s5 :: v_dual_cndmask_b32 v15, v6, v7
	s_cmp_eq_u32 s24, 2
	s_cselect_b32 vcc_lo, -1, 0
	s_cmp_eq_u32 s24, 3
	ds_load_b32 v14, v14
	s_wait_alu 0xfffe
	v_cndmask_b32_e32 v15, v15, v8, vcc_lo
	s_cselect_b32 vcc_lo, -1, 0
	s_cmp_eq_u32 s22, 1
	s_add_nc_u64 s[24:25], s[24:25], 1
	s_cselect_b32 s2, -1, 0
	s_cmp_eq_u32 s22, 2
	s_wait_alu 0xfffe
	v_cndmask_b32_e64 v24, v6, v7, s2
	s_cselect_b32 s3, -1, 0
	s_cmp_eq_u32 s22, 3
	v_cndmask_b32_e32 v15, v15, v9, vcc_lo
	s_cselect_b32 vcc_lo, -1, 0
	s_wait_alu 0xfffe
	v_cndmask_b32_e64 v24, v24, v8, s3
	s_cmp_eq_u32 s22, 0
	s_cselect_b32 s4, -1, 0
	s_add_co_i32 s5, s5, -4
	s_delay_alu instid0(VALU_DEP_1) | instskip(SKIP_2) | instid1(VALU_DEP_1)
	v_cndmask_b32_e32 v24, v24, v9, vcc_lo
	s_cmp_eq_u32 s22, s24
	s_wait_dscnt 0x0
	v_fma_f32 v14, -v15, v14, v24
	s_delay_alu instid0(VALU_DEP_1)
	v_cndmask_b32_e32 v9, v9, v14, vcc_lo
	v_cndmask_b32_e64 v8, v8, v14, s3
	v_cndmask_b32_e64 v7, v7, v14, s2
	s_wait_alu 0xfffe
	v_cndmask_b32_e64 v6, v6, v14, s4
	s_cbranch_scc0 .LBB4_28
; %bb.29:                               ;   in Loop: Header=BB4_26 Depth=4
	s_sub_co_i32 s2, s20, s22
	s_mov_b64 s[4:5], s[22:23]
	s_wait_alu 0xfffe
	s_ashr_i32 s3, s2, 31
	s_wait_alu 0xfffe
	s_mov_b64 s[24:25], s[2:3]
	s_branch .LBB4_25
.LBB4_30:                               ;   in Loop: Header=BB4_14 Depth=2
	s_cmp_gt_i32 s20, -1
	s_cselect_b32 s3, -1, 0
	s_add_co_i32 s2, s18, 1
	s_cmp_lt_u32 s18, 2
	s_cselect_b32 s4, -1, 0
	s_wait_alu 0xfffe
	s_and_b32 s3, s3, s4
	s_wait_alu 0xfffe
	s_and_b32 vcc_lo, exec_lo, s3
	s_wait_alu 0xfffe
	s_cbranch_vccz .LBB4_32
; %bb.31:                               ;   in Loop: Header=BB4_14 Depth=2
	s_mov_b32 s18, s2
	s_branch .LBB4_14
.LBB4_32:                               ;   in Loop: Header=BB4_5 Depth=1
	s_mov_b32 s2, 0
.LBB4_33:                               ;   in Loop: Header=BB4_5 Depth=1
	s_wait_alu 0xfffe
	s_and_b32 vcc_lo, exec_lo, s2
	s_wait_alu 0xfffe
	s_cbranch_vccz .LBB4_3
; %bb.34:                               ;   in Loop: Header=BB4_5 Depth=1
	v_add_co_u32 v12, vcc_lo, v12, v17
	s_wait_alu 0xfffd
	v_add_co_ci_u32_e64 v13, null, v13, v18, vcc_lo
	s_mov_b32 s20, 0
	s_mov_b32 s22, 0
.LBB4_35:                               ;   Parent Loop BB4_5 Depth=1
                                        ; =>  This Loop Header: Depth=2
                                        ;       Child Loop BB4_38 Depth 3
                                        ;         Child Loop BB4_39 Depth 4
                                        ;         Child Loop BB4_42 Depth 4
                                        ;           Child Loop BB4_43 Depth 5
                                        ;         Child Loop BB4_48 Depth 4
                                        ;           Child Loop BB4_50 Depth 5
	s_mov_b32 s23, s19
	s_getpc_b64 s[2:3]
	s_wait_alu 0xfffe
	s_sext_i32_i16 s3, s3
	s_add_co_u32 s2, s2, __const._ZL30rocblas_trsm_small_left_deviceILi4ELi4ELb1EffPKPKfPKPfEv13rocblas_fill_18rocblas_operation_17rocblas_diagonal_iiT3_T4_lilT5_lili.step_sizes@rel32@lo+12
	s_wait_alu 0xfffe
	s_add_co_ci_u32 s3, s3, __const._ZL30rocblas_trsm_small_left_deviceILi4ELi4ELb1EffPKPKfPKPfEv13rocblas_fill_18rocblas_operation_17rocblas_diagonal_iiT3_T4_lilT5_lili.step_sizes@rel32@hi+24
	s_lshl_b64 s[4:5], s[22:23], 2
	s_wait_alu 0xfffe
	s_add_nc_u64 s[2:3], s[2:3], s[4:5]
	s_load_b32 s24, s[2:3], 0x0
	s_wait_kmcnt 0x0
	s_add_co_i32 s23, s24, -1
	s_wait_alu 0xfffe
	s_add_co_i32 s2, s23, s20
	s_wait_alu 0xfffe
	s_cmp_ge_i32 s2, s35
	s_cbranch_scc1 .LBB4_52
; %bb.36:                               ;   in Loop: Header=BB4_35 Depth=2
	s_ashr_i32 s21, s20, 31
	s_ashr_i32 s25, s24, 31
	s_lshl_b64 s[2:3], s[20:21], 2
	s_max_i32 s41, s24, 1
	s_wait_alu 0xfffe
	v_add_co_u32 v6, vcc_lo, v12, s2
	s_wait_alu 0xfffd
	v_add_co_ci_u32_e64 v7, null, s3, v13, vcc_lo
	s_lshl_b64 s[26:27], s[24:25], 2
	s_lshl_b32 s21, s20, 2
	s_lshl_b32 s25, s24, 2
	s_mul_i32 s42, s20, 20
	s_mul_i32 s43, s24, 20
	s_branch .LBB4_38
.LBB4_37:                               ;   in Loop: Header=BB4_38 Depth=3
	v_add_co_u32 v6, vcc_lo, v6, s26
	s_add_co_i32 s20, s20, s24
	s_wait_alu 0xfffd
	v_add_co_ci_u32_e64 v7, null, s27, v7, vcc_lo
	s_add_co_i32 s2, s23, s20
	s_add_co_i32 s21, s21, s25
	;; [unrolled: 1-line block ×3, first 2 shown]
	s_wait_alu 0xfffe
	s_cmp_ge_i32 s2, s35
	s_cbranch_scc1 .LBB4_52
.LBB4_38:                               ;   Parent Loop BB4_5 Depth=1
                                        ;     Parent Loop BB4_35 Depth=2
                                        ; =>    This Loop Header: Depth=3
                                        ;         Child Loop BB4_39 Depth 4
                                        ;         Child Loop BB4_42 Depth 4
                                        ;           Child Loop BB4_43 Depth 5
                                        ;         Child Loop BB4_48 Depth 4
                                        ;           Child Loop BB4_50 Depth 5
	v_dual_mov_b32 v9, v7 :: v_dual_mov_b32 v8, v6
	s_mov_b64 s[4:5], 0
.LBB4_39:                               ;   Parent Loop BB4_5 Depth=1
                                        ;     Parent Loop BB4_35 Depth=2
                                        ;       Parent Loop BB4_38 Depth=3
                                        ; =>      This Inner Loop Header: Depth=4
	flat_load_b32 v14, v[8:9]
	s_wait_alu 0xfffe
	s_cmp_eq_u32 s4, 3
	v_add_co_u32 v8, vcc_lo, v8, 4
	s_wait_alu 0xfffd
	v_add_co_ci_u32_e64 v9, null, 0, v9, vcc_lo
	s_cselect_b32 vcc_lo, -1, 0
	s_cmp_eq_u32 s4, 2
	s_cselect_b32 s2, -1, 0
	s_cmp_eq_u32 s4, 1
	s_cselect_b32 s3, -1, 0
	s_cmp_eq_u32 s4, 0
	s_add_nc_u64 s[4:5], s[4:5], 1
	s_wait_loadcnt_dscnt 0x0
	v_mul_f32_e32 v14, s34, v14
	s_wait_alu 0xfffe
	s_delay_alu instid0(VALU_DEP_1)
	v_cndmask_b32_e32 v5, v5, v14, vcc_lo
	s_cselect_b32 vcc_lo, -1, 0
	v_cndmask_b32_e64 v4, v4, v14, s2
	v_cndmask_b32_e64 v3, v3, v14, s3
	s_wait_alu 0xfffe
	v_cndmask_b32_e32 v2, v2, v14, vcc_lo
	s_cmp_eq_u32 s41, s4
	s_cbranch_scc0 .LBB4_39
; %bb.40:                               ;   in Loop: Header=BB4_38 Depth=3
	s_cmp_lt_i32 s20, 1
	s_cbranch_scc1 .LBB4_45
; %bb.41:                               ;   in Loop: Header=BB4_38 Depth=3
	s_mov_b32 s18, 0
	s_mov_b32 s5, s21
.LBB4_42:                               ;   Parent Loop BB4_5 Depth=1
                                        ;     Parent Loop BB4_35 Depth=2
                                        ;       Parent Loop BB4_38 Depth=3
                                        ; =>      This Loop Header: Depth=4
                                        ;           Child Loop BB4_43 Depth 5
	s_lshl_b64 s[2:3], s[18:19], 2
	s_mov_b64 s[28:29], 0
	s_wait_alu 0xfffe
	v_add_co_u32 v8, vcc_lo, v20, s2
	s_wait_alu 0xfffd
	v_add_co_ci_u32_e64 v9, null, s3, v21, vcc_lo
	s_mov_b32 s30, s5
	flat_load_b32 v8, v[8:9]
.LBB4_43:                               ;   Parent Loop BB4_5 Depth=1
                                        ;     Parent Loop BB4_35 Depth=2
                                        ;       Parent Loop BB4_38 Depth=3
                                        ;         Parent Loop BB4_42 Depth=4
                                        ; =>        This Inner Loop Header: Depth=5
	s_cmp_eq_u32 s28, 1
	s_cselect_b32 vcc_lo, -1, 0
	s_wait_alu 0xfffe
	v_dual_mov_b32 v9, s30 :: v_dual_cndmask_b32 v14, v2, v3
	s_cmp_eq_u32 s28, 2
	s_cselect_b32 s2, -1, 0
	ds_load_b32 v9, v9
	s_wait_alu 0xfffe
	v_cndmask_b32_e64 v14, v14, v4, s2
	s_cmp_eq_u32 s28, 3
	s_cselect_b32 s3, -1, 0
	s_cmp_eq_u32 s28, 0
	s_wait_alu 0xfffe
	v_cndmask_b32_e64 v14, v14, v5, s3
	s_cselect_b32 s4, -1, 0
	s_add_nc_u64 s[28:29], s[28:29], 1
	s_add_co_i32 s30, s30, 4
	s_cmp_eq_u32 s41, s28
	s_wait_loadcnt_dscnt 0x0
	v_fma_f32 v9, -v8, v9, v14
	s_delay_alu instid0(VALU_DEP_1)
	v_cndmask_b32_e64 v5, v5, v9, s3
	v_cndmask_b32_e64 v4, v4, v9, s2
	v_cndmask_b32_e32 v3, v3, v9, vcc_lo
	s_wait_alu 0xfffe
	v_cndmask_b32_e64 v2, v2, v9, s4
	s_cbranch_scc0 .LBB4_43
; %bb.44:                               ;   in Loop: Header=BB4_42 Depth=4
	s_add_co_i32 s18, s18, 1
	s_add_co_i32 s5, s5, 16
	s_cmp_eq_u32 s18, s20
	s_cbranch_scc0 .LBB4_42
.LBB4_45:                               ;   in Loop: Header=BB4_38 Depth=3
	s_mov_b64 s[28:29], 0
	s_mov_b32 s18, s42
	s_branch .LBB4_48
.LBB4_46:                               ;   in Loop: Header=BB4_48 Depth=4
	s_mov_b64 s[4:5], 0
.LBB4_47:                               ;   in Loop: Header=BB4_48 Depth=4
	s_add_co_i32 s30, s28, s20
	s_wait_alu 0xfffe
	s_cmp_eq_u32 s4, 1
	s_mul_i32 s2, s30, 20
	s_cselect_b32 vcc_lo, -1, 0
	s_wait_alu 0xfffe
	v_dual_mov_b32 v8, s2 :: v_dual_cndmask_b32 v9, v2, v3
	s_cmp_eq_u32 s4, 2
	s_add_nc_u64 s[28:29], s[28:29], 1
	s_cselect_b32 s2, -1, 0
	ds_load_b32 v8, v8
	s_wait_alu 0xfffe
	v_cndmask_b32_e64 v9, v9, v4, s2
	s_cmp_eq_u32 s4, 3
	s_cselect_b32 s3, -1, 0
	s_cmp_eq_u32 s4, 0
	s_wait_alu 0xfffe
	v_cndmask_b32_e64 v9, v9, v5, s3
	s_cselect_b32 s4, -1, 0
	s_ashr_i32 s31, s30, 31
	s_add_co_i32 s18, s18, 4
	s_wait_alu 0xfffe
	s_lshl_b64 s[30:31], s[30:31], 2
	s_cmp_eq_u32 s28, s41
	s_wait_dscnt 0x0
	v_mul_f32_e32 v14, v9, v8
	s_wait_alu 0xfffe
	v_add_co_u32 v8, s5, v20, s30
	s_wait_alu 0xf1ff
	v_add_co_ci_u32_e64 v9, null, s31, v21, s5
	v_cndmask_b32_e64 v5, v5, v14, s3
	v_cndmask_b32_e64 v4, v4, v14, s2
	v_cndmask_b32_e32 v3, v3, v14, vcc_lo
	v_cndmask_b32_e64 v2, v2, v14, s4
	flat_store_b32 v[8:9], v14
	s_cbranch_scc1 .LBB4_37
.LBB4_48:                               ;   Parent Loop BB4_5 Depth=1
                                        ;     Parent Loop BB4_35 Depth=2
                                        ;       Parent Loop BB4_38 Depth=3
                                        ; =>      This Loop Header: Depth=4
                                        ;           Child Loop BB4_50 Depth 5
	s_cmp_eq_u32 s28, 0
	s_cbranch_scc1 .LBB4_46
; %bb.49:                               ;   in Loop: Header=BB4_48 Depth=4
	s_mov_b64 s[30:31], 0
	s_mov_b32 s5, s18
.LBB4_50:                               ;   Parent Loop BB4_5 Depth=1
                                        ;     Parent Loop BB4_35 Depth=2
                                        ;       Parent Loop BB4_38 Depth=3
                                        ;         Parent Loop BB4_48 Depth=4
                                        ; =>        This Inner Loop Header: Depth=5
	s_wait_alu 0xfffe
	s_cmp_eq_u32 s30, 1
	s_cselect_b32 vcc_lo, -1, 0
	s_wait_alu 0xfffe
	v_dual_mov_b32 v8, s5 :: v_dual_cndmask_b32 v9, v2, v3
	s_cmp_eq_u32 s30, 2
	s_cselect_b32 vcc_lo, -1, 0
	s_cmp_eq_u32 s30, 3
	ds_load_b32 v8, v8
	s_wait_alu 0xfffe
	v_cndmask_b32_e32 v9, v9, v4, vcc_lo
	s_cselect_b32 vcc_lo, -1, 0
	s_cmp_eq_u32 s28, 1
	s_add_nc_u64 s[30:31], s[30:31], 1
	s_cselect_b32 s2, -1, 0
	s_cmp_eq_u32 s28, 2
	s_wait_alu 0xfffe
	v_cndmask_b32_e64 v14, v2, v3, s2
	s_cselect_b32 s3, -1, 0
	s_cmp_eq_u32 s28, 3
	v_cndmask_b32_e32 v9, v9, v5, vcc_lo
	s_cselect_b32 vcc_lo, -1, 0
	s_wait_alu 0xfffe
	v_cndmask_b32_e64 v14, v14, v4, s3
	s_cmp_eq_u32 s28, 0
	s_cselect_b32 s4, -1, 0
	s_add_co_i32 s5, s5, 16
	s_delay_alu instid0(VALU_DEP_1) | instskip(SKIP_2) | instid1(VALU_DEP_1)
	v_cndmask_b32_e32 v14, v14, v5, vcc_lo
	s_cmp_eq_u32 s28, s30
	s_wait_dscnt 0x0
	v_fma_f32 v8, -v9, v8, v14
	s_delay_alu instid0(VALU_DEP_1)
	v_cndmask_b32_e32 v5, v5, v8, vcc_lo
	v_cndmask_b32_e64 v4, v4, v8, s3
	v_cndmask_b32_e64 v3, v3, v8, s2
	s_wait_alu 0xfffe
	v_cndmask_b32_e64 v2, v2, v8, s4
	s_cbranch_scc0 .LBB4_50
; %bb.51:                               ;   in Loop: Header=BB4_48 Depth=4
	s_mov_b64 s[4:5], s[28:29]
	s_branch .LBB4_47
.LBB4_52:                               ;   in Loop: Header=BB4_35 Depth=2
	s_cmp_lt_i32 s20, s35
	s_cselect_b32 s3, -1, 0
	s_add_co_i32 s2, s22, 1
	s_cmp_lt_u32 s22, 2
	s_cselect_b32 s4, -1, 0
	s_wait_alu 0xfffe
	s_and_b32 s3, s3, s4
	s_wait_alu 0xfffe
	s_and_not1_b32 vcc_lo, exec_lo, s3
	s_wait_alu 0xfffe
	s_cbranch_vccnz .LBB4_2
; %bb.53:                               ;   in Loop: Header=BB4_35 Depth=2
	s_mov_b32 s22, s2
	s_branch .LBB4_35
.LBB4_54:
	s_endpgm
	.section	.rodata,"a",@progbits
	.p2align	6, 0x0
	.amdhsa_kernel _ZL30rocblas_trsm_small_left_deviceILi4ELi4ELb1EffPKPKfPKPfEv13rocblas_fill_18rocblas_operation_17rocblas_diagonal_iiT3_T4_lilT5_lili
		.amdhsa_group_segment_fixed_size 64
		.amdhsa_private_segment_fixed_size 0
		.amdhsa_kernarg_size 352
		.amdhsa_user_sgpr_count 2
		.amdhsa_user_sgpr_dispatch_ptr 0
		.amdhsa_user_sgpr_queue_ptr 0
		.amdhsa_user_sgpr_kernarg_segment_ptr 1
		.amdhsa_user_sgpr_dispatch_id 0
		.amdhsa_user_sgpr_private_segment_size 0
		.amdhsa_wavefront_size32 1
		.amdhsa_uses_dynamic_stack 0
		.amdhsa_enable_private_segment 0
		.amdhsa_system_sgpr_workgroup_id_x 1
		.amdhsa_system_sgpr_workgroup_id_y 0
		.amdhsa_system_sgpr_workgroup_id_z 1
		.amdhsa_system_sgpr_workgroup_info 0
		.amdhsa_system_vgpr_workitem_id 0
		.amdhsa_next_free_vgpr 25
		.amdhsa_next_free_sgpr 44
		.amdhsa_reserve_vcc 1
		.amdhsa_float_round_mode_32 0
		.amdhsa_float_round_mode_16_64 0
		.amdhsa_float_denorm_mode_32 3
		.amdhsa_float_denorm_mode_16_64 3
		.amdhsa_fp16_overflow 0
		.amdhsa_workgroup_processor_mode 1
		.amdhsa_memory_ordered 1
		.amdhsa_forward_progress 1
		.amdhsa_inst_pref_size 23
		.amdhsa_round_robin_scheduling 0
		.amdhsa_exception_fp_ieee_invalid_op 0
		.amdhsa_exception_fp_denorm_src 0
		.amdhsa_exception_fp_ieee_div_zero 0
		.amdhsa_exception_fp_ieee_overflow 0
		.amdhsa_exception_fp_ieee_underflow 0
		.amdhsa_exception_fp_ieee_inexact 0
		.amdhsa_exception_int_div_zero 0
	.end_amdhsa_kernel
	.section	.text._ZL30rocblas_trsm_small_left_deviceILi4ELi4ELb1EffPKPKfPKPfEv13rocblas_fill_18rocblas_operation_17rocblas_diagonal_iiT3_T4_lilT5_lili,"axG",@progbits,_ZL30rocblas_trsm_small_left_deviceILi4ELi4ELb1EffPKPKfPKPfEv13rocblas_fill_18rocblas_operation_17rocblas_diagonal_iiT3_T4_lilT5_lili,comdat
.Lfunc_end4:
	.size	_ZL30rocblas_trsm_small_left_deviceILi4ELi4ELb1EffPKPKfPKPfEv13rocblas_fill_18rocblas_operation_17rocblas_diagonal_iiT3_T4_lilT5_lili, .Lfunc_end4-_ZL30rocblas_trsm_small_left_deviceILi4ELi4ELb1EffPKPKfPKPfEv13rocblas_fill_18rocblas_operation_17rocblas_diagonal_iiT3_T4_lilT5_lili
                                        ; -- End function
	.set _ZL30rocblas_trsm_small_left_deviceILi4ELi4ELb1EffPKPKfPKPfEv13rocblas_fill_18rocblas_operation_17rocblas_diagonal_iiT3_T4_lilT5_lili.num_vgpr, 25
	.set _ZL30rocblas_trsm_small_left_deviceILi4ELi4ELb1EffPKPKfPKPfEv13rocblas_fill_18rocblas_operation_17rocblas_diagonal_iiT3_T4_lilT5_lili.num_agpr, 0
	.set _ZL30rocblas_trsm_small_left_deviceILi4ELi4ELb1EffPKPKfPKPfEv13rocblas_fill_18rocblas_operation_17rocblas_diagonal_iiT3_T4_lilT5_lili.numbered_sgpr, 44
	.set _ZL30rocblas_trsm_small_left_deviceILi4ELi4ELb1EffPKPKfPKPfEv13rocblas_fill_18rocblas_operation_17rocblas_diagonal_iiT3_T4_lilT5_lili.num_named_barrier, 0
	.set _ZL30rocblas_trsm_small_left_deviceILi4ELi4ELb1EffPKPKfPKPfEv13rocblas_fill_18rocblas_operation_17rocblas_diagonal_iiT3_T4_lilT5_lili.private_seg_size, 0
	.set _ZL30rocblas_trsm_small_left_deviceILi4ELi4ELb1EffPKPKfPKPfEv13rocblas_fill_18rocblas_operation_17rocblas_diagonal_iiT3_T4_lilT5_lili.uses_vcc, 1
	.set _ZL30rocblas_trsm_small_left_deviceILi4ELi4ELb1EffPKPKfPKPfEv13rocblas_fill_18rocblas_operation_17rocblas_diagonal_iiT3_T4_lilT5_lili.uses_flat_scratch, 0
	.set _ZL30rocblas_trsm_small_left_deviceILi4ELi4ELb1EffPKPKfPKPfEv13rocblas_fill_18rocblas_operation_17rocblas_diagonal_iiT3_T4_lilT5_lili.has_dyn_sized_stack, 0
	.set _ZL30rocblas_trsm_small_left_deviceILi4ELi4ELb1EffPKPKfPKPfEv13rocblas_fill_18rocblas_operation_17rocblas_diagonal_iiT3_T4_lilT5_lili.has_recursion, 0
	.set _ZL30rocblas_trsm_small_left_deviceILi4ELi4ELb1EffPKPKfPKPfEv13rocblas_fill_18rocblas_operation_17rocblas_diagonal_iiT3_T4_lilT5_lili.has_indirect_call, 0
	.section	.AMDGPU.csdata,"",@progbits
; Kernel info:
; codeLenInByte = 2912
; TotalNumSgprs: 46
; NumVgprs: 25
; ScratchSize: 0
; MemoryBound: 0
; FloatMode: 240
; IeeeMode: 1
; LDSByteSize: 64 bytes/workgroup (compile time only)
; SGPRBlocks: 0
; VGPRBlocks: 3
; NumSGPRsForWavesPerEU: 46
; NumVGPRsForWavesPerEU: 25
; Occupancy: 16
; WaveLimiterHint : 1
; COMPUTE_PGM_RSRC2:SCRATCH_EN: 0
; COMPUTE_PGM_RSRC2:USER_SGPR: 2
; COMPUTE_PGM_RSRC2:TRAP_HANDLER: 0
; COMPUTE_PGM_RSRC2:TGID_X_EN: 1
; COMPUTE_PGM_RSRC2:TGID_Y_EN: 0
; COMPUTE_PGM_RSRC2:TGID_Z_EN: 1
; COMPUTE_PGM_RSRC2:TIDIG_COMP_CNT: 0
	.section	.text._ZL31rocblas_trsm_small_right_deviceIffPKPKfPKPfLi4EEv13rocblas_fill_18rocblas_operation_17rocblas_diagonal_iiT0_T1_lilT2_lili,"axG",@progbits,_ZL31rocblas_trsm_small_right_deviceIffPKPKfPKPfLi4EEv13rocblas_fill_18rocblas_operation_17rocblas_diagonal_iiT0_T1_lilT2_lili,comdat
	.globl	_ZL31rocblas_trsm_small_right_deviceIffPKPKfPKPfLi4EEv13rocblas_fill_18rocblas_operation_17rocblas_diagonal_iiT0_T1_lilT2_lili ; -- Begin function _ZL31rocblas_trsm_small_right_deviceIffPKPKfPKPfLi4EEv13rocblas_fill_18rocblas_operation_17rocblas_diagonal_iiT0_T1_lilT2_lili
	.p2align	8
	.type	_ZL31rocblas_trsm_small_right_deviceIffPKPKfPKPfLi4EEv13rocblas_fill_18rocblas_operation_17rocblas_diagonal_iiT0_T1_lilT2_lili,@function
_ZL31rocblas_trsm_small_right_deviceIffPKPKfPKPfLi4EEv13rocblas_fill_18rocblas_operation_17rocblas_diagonal_iiT0_T1_lilT2_lili: ; @_ZL31rocblas_trsm_small_right_deviceIffPKPKfPKPfLi4EEv13rocblas_fill_18rocblas_operation_17rocblas_diagonal_iiT0_T1_lilT2_lili
; %bb.0:
	s_load_b32 s22, s[0:1], 0x58
	s_lshr_b32 s2, ttmp7, 16
	s_wait_kmcnt 0x0
	s_cmp_ge_u32 s2, s22
	s_cbranch_scc1 .LBB5_67
; %bb.1:
	s_clause 0x6
	s_load_b32 s16, s[0:1], 0x28
	s_load_b32 s18, s[0:1], 0x48
	s_load_b128 s[28:31], s[0:1], 0x0
	s_load_b64 s[12:13], s[0:1], 0x10
	s_load_b32 s3, s[0:1], 0x60
	s_load_b128 s[4:7], s[0:1], 0x18
	s_load_b128 s[8:11], s[0:1], 0x38
	s_mov_b32 s14, ttmp9
	v_dual_mov_b32 v5, 0 :: v_dual_lshlrev_b32 v4, 2, v0
	v_dual_mov_b32 v14, 1.0 :: v_dual_lshlrev_b32 v1, 4, v0
	v_lshlrev_b32_e32 v15, 2, v0
	s_delay_alu instid0(VALU_DEP_3) | instskip(NEXT) | instid1(VALU_DEP_3)
	v_or_b32_e32 v6, 64, v4
	v_add_nc_u32_e32 v13, v4, v1
	s_wait_kmcnt 0x0
	s_ashr_i32 s17, s16, 31
	s_ashr_i32 s19, s18, 31
	s_cmp_lg_u32 s28, 0x7a
	s_cselect_b32 s0, -1, 0
	s_min_i32 s1, s12, 4
	s_lshl_b32 s15, ttmp9, 2
	s_add_co_i32 s3, s3, -1
	s_add_co_i32 s23, s1, -1
	s_sub_co_i32 s15, s31, s15
	s_cmp_ge_u32 ttmp9, s3
	s_mov_b32 s3, 0
	s_cselect_b32 s20, s15, 4
	s_ashr_i32 s15, ttmp9, 31
	v_cmp_gt_i32_e32 vcc_lo, s20, v0
	s_lshl_b64 s[14:15], s[14:15], 4
	s_cmp_eq_u32 s30, 0x84
	s_cselect_b32 s24, -1, 0
	s_cmp_gt_i32 s12, 0
	s_cselect_b32 s21, -1, 0
	s_cmp_lg_u32 s29, 0x6f
	s_cselect_b32 s26, -1, 0
	s_cmp_lg_u32 s28, 0x79
	s_cselect_b32 s20, -1, 0
	s_or_b32 s25, s0, s26
	s_wait_alu 0xfffe
	s_or_b32 s26, s20, s26
	s_cmp_gt_i32 s12, 3
	v_cndmask_b32_e64 v7, 0, 1, s20
	s_cselect_b32 s27, -1, 0
	s_and_b32 s28, vcc_lo, s21
	s_add_co_i32 s21, s1, -2
	s_lshl_b32 s44, s1, 4
	s_lshl_b32 s20, s23, 4
	s_wait_alu 0xfffe
	s_lshl_b32 s30, s21, 2
	s_lshl_b32 s31, s21, 4
	s_mul_i32 s21, s23, 20
	v_or_b32_e32 v2, s44, v4
	v_add_nc_u32_e32 v8, s20, v6
	s_add_co_i32 s20, s1, -3
	s_add_co_i32 s41, s1, -4
	s_wait_alu 0xfffe
	s_sub_co_i32 s33, s21, 20
	s_lshl_b32 s47, s20, 4
	s_lshl_b32 s48, s41, 4
	;; [unrolled: 1-line block ×3, first 2 shown]
	s_sub_co_i32 s35, s33, s30
	s_lshl_b32 s46, s1, 2
	v_cmp_gt_i32_e64 s0, s1, v0
	v_add_nc_u32_e32 v9, s31, v6
	v_add_nc_u32_e32 v10, s47, v6
	;; [unrolled: 1-line block ×4, first 2 shown]
	s_lshl_b32 s20, s20, 2
	s_sub_co_i32 s34, s21, s29
	s_add_co_i32 s35, s35, s46
	s_sub_co_i32 s39, s21, 60
	s_lshl_b32 s21, s41, 2
	s_add_co_i32 s36, s34, s30
	s_add_co_i32 s37, s35, -16
	s_sub_co_i32 s38, s35, 32
	s_add_co_i32 s40, s1, -5
	s_sub_co_i32 s41, s35, 20
	s_sub_co_i32 s42, s35, 40
	s_lshl_b64 s[16:17], s[16:17], 2
	s_lshl_b64 s[18:19], s[18:19], 2
	s_add_co_i32 s43, s44, -16
	s_sub_co_i32 s44, s44, 20
	s_add_co_i32 s45, s46, -4
	s_sub_co_i32 s46, s46, 20
	s_lshl_b64 s[6:7], s[6:7], 2
	s_lshl_b64 s[10:11], s[10:11], 2
	s_wait_alu 0xfffe
	s_add_co_i32 s47, s47, s20
	s_add_co_i32 s48, s48, s21
	s_branch .LBB5_3
.LBB5_2:                                ;   in Loop: Header=BB5_3 Depth=1
	s_wait_alu 0xfffe
	s_or_b32 exec_lo, exec_lo, s20
	s_add_co_i32 s2, s2, 0x10000
	s_delay_alu instid0(SALU_CYCLE_1)
	s_cmp_lt_u32 s2, s22
	s_cbranch_scc0 .LBB5_67
.LBB5_3:                                ; =>This Loop Header: Depth=1
                                        ;     Child Loop BB5_5 Depth 2
                                        ;     Child Loop BB5_10 Depth 2
	;; [unrolled: 1-line block ×3, first 2 shown]
                                        ;       Child Loop BB5_20 Depth 3
                                        ;     Child Loop BB5_29 Depth 2
                                        ;     Child Loop BB5_34 Depth 2
                                        ;       Child Loop BB5_35 Depth 3
                                        ;       Child Loop BB5_37 Depth 3
                                        ;     Child Loop BB5_46 Depth 2
                                        ;     Child Loop BB5_51 Depth 2
                                        ;       Child Loop BB5_52 Depth 3
                                        ;       Child Loop BB5_54 Depth 3
                                        ;     Child Loop BB5_62 Depth 2
                                        ;       Child Loop BB5_63 Depth 3
                                        ;     Child Loop BB5_66 Depth 2
	s_lshl_b64 s[20:21], s[2:3], 3
	s_wait_alu 0xfffe
	s_add_nc_u64 s[50:51], s[8:9], s[20:21]
	global_load_b64 v[0:1], v5, s[50:51]
	s_and_saveexec_b32 s49, s0
	s_cbranch_execz .LBB5_8
; %bb.4:                                ;   in Loop: Header=BB5_3 Depth=1
	s_add_nc_u64 s[20:21], s[4:5], s[20:21]
	v_mov_b32_e32 v16, v4
	global_load_b64 v[2:3], v5, s[20:21]
	s_mov_b32 s20, s1
	s_wait_loadcnt 0x0
	v_add_co_u32 v2, vcc_lo, v2, s6
	s_wait_alu 0xfffd
	v_add_co_ci_u32_e64 v3, null, s7, v3, vcc_lo
	s_delay_alu instid0(VALU_DEP_2) | instskip(SKIP_1) | instid1(VALU_DEP_2)
	v_add_co_u32 v2, vcc_lo, v2, v15
	s_wait_alu 0xfffd
	v_add_co_ci_u32_e64 v3, null, 0, v3, vcc_lo
.LBB5_5:                                ;   Parent Loop BB5_3 Depth=1
                                        ; =>  This Inner Loop Header: Depth=2
	flat_load_b32 v17, v[2:3]
	v_add_co_u32 v2, vcc_lo, v2, s16
	s_wait_alu 0xfffd
	v_add_co_ci_u32_e64 v3, null, s17, v3, vcc_lo
	s_wait_alu 0xfffe
	s_add_co_i32 s20, s20, -1
	s_wait_alu 0xfffe
	s_cmp_eq_u32 s20, 0
	s_wait_loadcnt_dscnt 0x0
	ds_store_b32 v16, v17
	v_add_nc_u32_e32 v16, 16, v16
	s_cbranch_scc0 .LBB5_5
; %bb.6:                                ;   in Loop: Header=BB5_3 Depth=1
	s_and_b32 vcc_lo, exec_lo, s24
	s_wait_alu 0xfffe
	s_cbranch_vccz .LBB5_8
; %bb.7:                                ;   in Loop: Header=BB5_3 Depth=1
	ds_store_b32 v13, v14
.LBB5_8:                                ;   in Loop: Header=BB5_3 Depth=1
	s_wait_alu 0xfffe
	s_or_b32 exec_lo, exec_lo, s49
	s_wait_loadcnt 0x0
	v_add_co_u32 v0, vcc_lo, v0, s10
	s_wait_alu 0xfffd
	v_add_co_ci_u32_e64 v1, null, s11, v1, vcc_lo
	s_delay_alu instid0(VALU_DEP_2) | instskip(SKIP_1) | instid1(VALU_DEP_2)
	v_add_co_u32 v2, vcc_lo, v0, s14
	s_wait_alu 0xfffd
	v_add_co_ci_u32_e64 v3, null, s15, v1, vcc_lo
	s_and_saveexec_b32 s20, s28
	s_cbranch_execz .LBB5_11
; %bb.9:                                ;   in Loop: Header=BB5_3 Depth=1
	v_add_co_u32 v0, vcc_lo, v2, v15
	s_wait_alu 0xfffd
	v_add_co_ci_u32_e64 v1, null, 0, v3, vcc_lo
	v_mov_b32_e32 v16, v6
	s_mov_b32 s21, s12
.LBB5_10:                               ;   Parent Loop BB5_3 Depth=1
                                        ; =>  This Inner Loop Header: Depth=2
	flat_load_b32 v17, v[0:1]
	v_add_co_u32 v0, vcc_lo, v0, s18
	s_wait_alu 0xfffd
	v_add_co_ci_u32_e64 v1, null, s19, v1, vcc_lo
	s_wait_alu 0xfffe
	s_add_co_i32 s21, s21, -1
	s_wait_alu 0xfffe
	s_cmp_lg_u32 s21, 0
	s_wait_loadcnt_dscnt 0x0
	v_mul_f32_e32 v17, s13, v17
	ds_store_b32 v16, v17
	v_add_nc_u32_e32 v16, 16, v16
	s_cbranch_scc1 .LBB5_10
.LBB5_11:                               ;   in Loop: Header=BB5_3 Depth=1
	s_wait_alu 0xfffe
	s_or_b32 exec_lo, exec_lo, s20
	s_delay_alu instid0(SALU_CYCLE_1)
	s_and_b32 vcc_lo, exec_lo, s26
	s_mov_b32 s20, -1
	s_wait_dscnt 0x0
	; wave barrier
	global_inv scope:SCOPE_SE
	s_wait_alu 0xfffe
	s_cbranch_vccz .LBB5_56
; %bb.12:                               ;   in Loop: Header=BB5_3 Depth=1
	s_and_b32 vcc_lo, exec_lo, s25
	s_wait_alu 0xfffe
	s_cbranch_vccz .LBB5_39
; %bb.13:                               ;   in Loop: Header=BB5_3 Depth=1
	v_cmp_ne_u32_e32 vcc_lo, 1, v7
	s_cbranch_vccnz .LBB5_22
; %bb.14:                               ;   in Loop: Header=BB5_3 Depth=1
	s_and_b32 vcc_lo, exec_lo, s27
	s_mov_b32 s20, 0
	s_wait_alu 0xfffe
	s_cbranch_vccz .LBB5_16
; %bb.15:                               ;   in Loop: Header=BB5_3 Depth=1
	ds_load_2addr_b32 v[0:1], v6 offset1:4
	ds_load_b128 v[16:19], v5
	ds_load_2addr_b32 v[20:21], v5 offset0:5 offset1:6
	s_mov_b32 s20, 4
	s_wait_dscnt 0x1
	v_div_scale_f32 v22, null, v16, v16, v0
	v_div_scale_f32 v25, vcc_lo, v0, v16, v0
	s_delay_alu instid0(VALU_DEP_2) | instskip(NEXT) | instid1(TRANS32_DEP_1)
	v_rcp_f32_e32 v23, v22
	v_fma_f32 v24, -v22, v23, 1.0
	s_delay_alu instid0(VALU_DEP_1) | instskip(NEXT) | instid1(VALU_DEP_1)
	v_fmac_f32_e32 v23, v24, v23
	v_mul_f32_e32 v24, v25, v23
	s_delay_alu instid0(VALU_DEP_1) | instskip(NEXT) | instid1(VALU_DEP_1)
	v_fma_f32 v26, -v22, v24, v25
	v_fmac_f32_e32 v24, v26, v23
	s_delay_alu instid0(VALU_DEP_1) | instskip(SKIP_1) | instid1(VALU_DEP_1)
	v_fma_f32 v22, -v22, v24, v25
	s_wait_alu 0xfffd
	v_div_fmas_f32 v22, v22, v23, v24
	s_delay_alu instid0(VALU_DEP_1) | instskip(NEXT) | instid1(VALU_DEP_1)
	v_div_fixup_f32 v22, v22, v16, v0
	v_fma_f32 v23, -v22, v17, v1
	s_wait_dscnt 0x0
	s_delay_alu instid0(VALU_DEP_1) | instskip(SKIP_1) | instid1(VALU_DEP_2)
	v_div_scale_f32 v24, null, v20, v20, v23
	v_div_scale_f32 v26, vcc_lo, v23, v20, v23
	v_rcp_f32_e32 v25, v24
	s_delay_alu instid0(TRANS32_DEP_1) | instskip(NEXT) | instid1(VALU_DEP_1)
	v_fma_f32 v0, -v24, v25, 1.0
	v_fmac_f32_e32 v25, v0, v25
	ds_load_2addr_b32 v[0:1], v6 offset0:8 offset1:12
	v_mul_f32_e32 v27, v26, v25
	s_delay_alu instid0(VALU_DEP_1) | instskip(NEXT) | instid1(VALU_DEP_1)
	v_fma_f32 v16, -v24, v27, v26
	v_fmac_f32_e32 v27, v16, v25
	ds_load_b64 v[16:17], v5 offset:40
	v_fma_f32 v24, -v24, v27, v26
	s_wait_dscnt 0x1
	v_fma_f32 v0, -v22, v18, v0
	v_fma_f32 v1, -v22, v19, v1
	s_wait_alu 0xfffd
	v_div_fmas_f32 v24, v24, v25, v27
	s_delay_alu instid0(VALU_DEP_1)
	v_div_fixup_f32 v18, v24, v20, v23
	ds_load_b32 v20, v5 offset:60
	ds_load_b32 v26, v5 offset:28
	v_fma_f32 v0, -v18, v21, v0
	ds_store_2addr_b32 v6, v22, v18 offset1:4
	s_wait_dscnt 0x3
	v_div_scale_f32 v21, null, v16, v16, v0
	v_div_scale_f32 v25, vcc_lo, v0, v16, v0
	s_delay_alu instid0(VALU_DEP_2) | instskip(SKIP_2) | instid1(TRANS32_DEP_1)
	v_rcp_f32_e32 v23, v21
	s_wait_dscnt 0x1
	v_fma_f32 v1, -v18, v26, v1
	v_fma_f32 v24, -v21, v23, 1.0
	s_delay_alu instid0(VALU_DEP_1) | instskip(NEXT) | instid1(VALU_DEP_1)
	v_fmac_f32_e32 v23, v24, v23
	v_mul_f32_e32 v24, v25, v23
	s_delay_alu instid0(VALU_DEP_1) | instskip(NEXT) | instid1(VALU_DEP_1)
	v_fma_f32 v27, -v21, v24, v25
	v_fmac_f32_e32 v24, v27, v23
	s_delay_alu instid0(VALU_DEP_1) | instskip(SKIP_1) | instid1(VALU_DEP_1)
	v_fma_f32 v21, -v21, v24, v25
	s_wait_alu 0xfffd
	v_div_fmas_f32 v19, v21, v23, v24
	s_delay_alu instid0(VALU_DEP_1) | instskip(NEXT) | instid1(VALU_DEP_1)
	v_div_fixup_f32 v0, v19, v16, v0
	v_fma_f32 v1, -v0, v17, v1
	s_delay_alu instid0(VALU_DEP_1) | instskip(NEXT) | instid1(VALU_DEP_1)
	v_div_scale_f32 v16, null, v20, v20, v1
	v_rcp_f32_e32 v17, v16
	s_delay_alu instid0(TRANS32_DEP_1) | instskip(NEXT) | instid1(VALU_DEP_1)
	v_fma_f32 v19, -v16, v17, 1.0
	v_fmac_f32_e32 v17, v19, v17
	v_div_scale_f32 v19, vcc_lo, v1, v20, v1
	s_delay_alu instid0(VALU_DEP_1) | instskip(NEXT) | instid1(VALU_DEP_1)
	v_mul_f32_e32 v21, v19, v17
	v_fma_f32 v23, -v16, v21, v19
	s_delay_alu instid0(VALU_DEP_1) | instskip(NEXT) | instid1(VALU_DEP_1)
	v_fmac_f32_e32 v21, v23, v17
	v_fma_f32 v16, -v16, v21, v19
	s_wait_alu 0xfffd
	s_delay_alu instid0(VALU_DEP_1) | instskip(NEXT) | instid1(VALU_DEP_1)
	v_div_fmas_f32 v16, v16, v17, v21
	v_div_fixup_f32 v1, v16, v20, v1
	ds_store_2addr_b32 v6, v0, v1 offset0:8 offset1:12
.LBB5_16:                               ;   in Loop: Header=BB5_3 Depth=1
	s_wait_alu 0xfffe
	s_cmp_ge_i32 s20, s1
	s_cbranch_scc1 .LBB5_21
; %bb.17:                               ;   in Loop: Header=BB5_3 Depth=1
	s_lshl_b32 s21, s20, 2
	s_branch .LBB5_19
.LBB5_18:                               ;   in Loop: Header=BB5_19 Depth=2
	s_lshl_b32 s50, s20, 2
	s_add_co_i32 s20, s20, 1
	s_wait_alu 0xfffe
	s_add_co_i32 s49, s50, s49
	s_add_co_i32 s21, s21, 4
	s_wait_alu 0xfffe
	v_mov_b32_e32 v16, s49
	s_cmp_ge_i32 s20, s1
	ds_load_b32 v16, v16
	s_wait_dscnt 0x0
	v_div_scale_f32 v17, null, v16, v16, v1
	s_delay_alu instid0(VALU_DEP_1) | instskip(NEXT) | instid1(TRANS32_DEP_1)
	v_rcp_f32_e32 v18, v17
	v_fma_f32 v19, -v17, v18, 1.0
	s_delay_alu instid0(VALU_DEP_1) | instskip(SKIP_1) | instid1(VALU_DEP_1)
	v_fmac_f32_e32 v18, v19, v18
	v_div_scale_f32 v19, vcc_lo, v1, v16, v1
	v_mul_f32_e32 v20, v19, v18
	s_delay_alu instid0(VALU_DEP_1) | instskip(NEXT) | instid1(VALU_DEP_1)
	v_fma_f32 v21, -v17, v20, v19
	v_fmac_f32_e32 v20, v21, v18
	s_delay_alu instid0(VALU_DEP_1) | instskip(SKIP_1) | instid1(VALU_DEP_1)
	v_fma_f32 v17, -v17, v20, v19
	s_wait_alu 0xfffd
	v_div_fmas_f32 v17, v17, v18, v20
	s_delay_alu instid0(VALU_DEP_1)
	v_div_fixup_f32 v1, v17, v16, v1
	ds_store_b32 v0, v1
	s_cbranch_scc1 .LBB5_21
.LBB5_19:                               ;   Parent Loop BB5_3 Depth=1
                                        ; =>  This Loop Header: Depth=2
                                        ;       Child Loop BB5_20 Depth 3
	s_lshl_b32 s49, s20, 4
	v_mov_b32_e32 v16, v6
	s_wait_alu 0xfffe
	v_add_nc_u32_e32 v0, s49, v6
	s_cmp_eq_u32 s20, 0
	s_mov_b32 s50, s21
	s_mov_b32 s51, s20
	ds_load_b32 v1, v0
	s_cbranch_scc1 .LBB5_18
.LBB5_20:                               ;   Parent Loop BB5_3 Depth=1
                                        ;     Parent Loop BB5_19 Depth=2
                                        ; =>    This Inner Loop Header: Depth=3
	s_wait_alu 0xfffe
	v_mov_b32_e32 v17, s50
	s_add_co_i32 s51, s51, -1
	s_add_co_i32 s50, s50, 16
	s_wait_alu 0xfffe
	s_cmp_eq_u32 s51, 0
	ds_load_b32 v18, v16
	ds_load_b32 v17, v17
	v_add_nc_u32_e32 v16, 16, v16
	s_wait_dscnt 0x0
	v_fma_f32 v1, -v18, v17, v1
	s_cbranch_scc0 .LBB5_20
	s_branch .LBB5_18
.LBB5_21:                               ;   in Loop: Header=BB5_3 Depth=1
	s_mov_b32 s20, 0
.LBB5_22:                               ;   in Loop: Header=BB5_3 Depth=1
	s_wait_alu 0xfffe
	s_and_b32 vcc_lo, exec_lo, s20
	s_wait_alu 0xfffe
	s_cbranch_vccz .LBB5_38
; %bb.23:                               ;   in Loop: Header=BB5_3 Depth=1
	s_and_b32 vcc_lo, exec_lo, s27
	s_mov_b32 s21, s23
	s_wait_alu 0xfffe
	s_cbranch_vccz .LBB5_25
; %bb.24:                               ;   in Loop: Header=BB5_3 Depth=1
	v_dual_mov_b32 v0, s36 :: v_dual_mov_b32 v17, s33
	s_mov_b32 s21, s40
	ds_load_b32 v16, v8
	ds_load_2addr_b32 v[0:1], v0 offset1:1
	ds_load_b32 v18, v9
	ds_load_b32 v20, v10
	;; [unrolled: 1-line block ×4, first 2 shown]
	s_wait_dscnt 0x4
	v_div_scale_f32 v17, null, v1, v1, v16
	v_div_scale_f32 v24, vcc_lo, v16, v1, v16
	s_delay_alu instid0(VALU_DEP_2) | instskip(NEXT) | instid1(TRANS32_DEP_1)
	v_rcp_f32_e32 v19, v17
	v_fma_f32 v23, -v17, v19, 1.0
	s_delay_alu instid0(VALU_DEP_1) | instskip(NEXT) | instid1(VALU_DEP_1)
	v_fmac_f32_e32 v19, v23, v19
	v_mul_f32_e32 v23, v24, v19
	s_delay_alu instid0(VALU_DEP_1) | instskip(NEXT) | instid1(VALU_DEP_1)
	v_fma_f32 v25, -v17, v23, v24
	v_fmac_f32_e32 v23, v25, v19
	s_delay_alu instid0(VALU_DEP_1) | instskip(SKIP_1) | instid1(VALU_DEP_1)
	v_fma_f32 v17, -v17, v23, v24
	s_wait_alu 0xfffd
	v_div_fmas_f32 v17, v17, v19, v23
	s_delay_alu instid0(VALU_DEP_1) | instskip(SKIP_2) | instid1(VALU_DEP_2)
	v_div_fixup_f32 v23, v17, v1, v16
	v_mov_b32_e32 v17, s37
	s_wait_dscnt 0x3
	v_fma_f32 v24, -v23, v0, v18
	v_mov_b32_e32 v18, s38
	s_wait_dscnt 0x0
	s_delay_alu instid0(VALU_DEP_2) | instskip(SKIP_1) | instid1(VALU_DEP_2)
	v_div_scale_f32 v25, null, v22, v22, v24
	v_div_scale_f32 v27, vcc_lo, v24, v22, v24
	v_rcp_f32_e32 v26, v25
	s_delay_alu instid0(TRANS32_DEP_1) | instskip(NEXT) | instid1(VALU_DEP_1)
	v_fma_f32 v0, -v25, v26, 1.0
	v_fmac_f32_e32 v26, v0, v26
	v_mov_b32_e32 v0, s35
	s_delay_alu instid0(VALU_DEP_2) | instskip(SKIP_2) | instid1(VALU_DEP_1)
	v_mul_f32_e32 v28, v27, v26
	ds_load_2addr_b32 v[0:1], v0 offset1:1
	v_fma_f32 v16, -v25, v28, v27
	v_fmac_f32_e32 v28, v16, v26
	ds_load_2addr_b32 v[16:17], v17 offset1:1
	ds_load_2addr_b32 v[18:19], v18 offset1:1
	v_fma_f32 v25, -v25, v28, v27
	v_mov_b32_e32 v27, s39
	s_wait_alu 0xfffd
	s_delay_alu instid0(VALU_DEP_2)
	v_div_fmas_f32 v25, v25, v26, v28
	s_wait_dscnt 0x2
	v_fma_f32 v1, -v23, v1, v20
	ds_load_b32 v26, v27
	v_fma_f32 v0, -v23, v0, v21
	v_div_fixup_f32 v20, v25, v22, v24
	s_wait_dscnt 0x2
	s_delay_alu instid0(VALU_DEP_1) | instskip(NEXT) | instid1(VALU_DEP_3)
	v_fma_f32 v1, -v20, v17, v1
	v_fma_f32 v0, -v20, v16, v0
	s_wait_dscnt 0x1
	s_delay_alu instid0(VALU_DEP_2) | instskip(SKIP_1) | instid1(VALU_DEP_2)
	v_div_scale_f32 v17, null, v19, v19, v1
	v_div_scale_f32 v25, vcc_lo, v1, v19, v1
	v_rcp_f32_e32 v22, v17
	s_delay_alu instid0(TRANS32_DEP_1) | instskip(NEXT) | instid1(VALU_DEP_1)
	v_fma_f32 v24, -v17, v22, 1.0
	v_fmac_f32_e32 v22, v24, v22
	s_delay_alu instid0(VALU_DEP_1) | instskip(NEXT) | instid1(VALU_DEP_1)
	v_mul_f32_e32 v24, v25, v22
	v_fma_f32 v27, -v17, v24, v25
	s_delay_alu instid0(VALU_DEP_1) | instskip(NEXT) | instid1(VALU_DEP_1)
	v_fmac_f32_e32 v24, v27, v22
	v_fma_f32 v17, -v17, v24, v25
	s_wait_alu 0xfffd
	s_delay_alu instid0(VALU_DEP_1) | instskip(NEXT) | instid1(VALU_DEP_1)
	v_div_fmas_f32 v17, v17, v22, v24
	v_div_fixup_f32 v1, v17, v19, v1
	s_delay_alu instid0(VALU_DEP_1) | instskip(SKIP_1) | instid1(VALU_DEP_1)
	v_fma_f32 v0, -v1, v18, v0
	s_wait_dscnt 0x0
	v_div_scale_f32 v16, null, v26, v26, v0
	s_delay_alu instid0(VALU_DEP_1) | instskip(NEXT) | instid1(TRANS32_DEP_1)
	v_rcp_f32_e32 v17, v16
	v_fma_f32 v18, -v16, v17, 1.0
	s_delay_alu instid0(VALU_DEP_1) | instskip(SKIP_1) | instid1(VALU_DEP_1)
	v_fmac_f32_e32 v17, v18, v17
	v_div_scale_f32 v18, vcc_lo, v0, v26, v0
	v_mul_f32_e32 v19, v18, v17
	s_delay_alu instid0(VALU_DEP_1) | instskip(NEXT) | instid1(VALU_DEP_1)
	v_fma_f32 v21, -v16, v19, v18
	v_fmac_f32_e32 v19, v21, v17
	s_delay_alu instid0(VALU_DEP_1) | instskip(SKIP_1) | instid1(VALU_DEP_1)
	v_fma_f32 v16, -v16, v19, v18
	s_wait_alu 0xfffd
	v_div_fmas_f32 v16, v16, v17, v19
	s_delay_alu instid0(VALU_DEP_1)
	v_div_fixup_f32 v0, v16, v26, v0
	ds_store_b32 v8, v23
	ds_store_b32 v9, v20
	;; [unrolled: 1-line block ×4, first 2 shown]
.LBB5_25:                               ;   in Loop: Header=BB5_3 Depth=1
	s_wait_alu 0xfffe
	s_cmp_lt_i32 s21, 0
	s_cbranch_scc1 .LBB5_38
; %bb.26:                               ;   in Loop: Header=BB5_3 Depth=1
	s_bitcmp1_b32 s21, 0
	s_cselect_b32 s20, -1, 0
	s_wait_alu 0xfffe
	s_and_b32 vcc_lo, exec_lo, s20
	s_mov_b32 s20, s21
	s_wait_alu 0xfffe
	s_cbranch_vccnz .LBB5_31
; %bb.27:                               ;   in Loop: Header=BB5_3 Depth=1
	s_lshl_b32 s20, s21, 4
	s_cmp_le_i32 s23, s21
	s_wait_alu 0xfffe
	v_add_nc_u32_e32 v0, s20, v6
	ds_load_b32 v1, v0
	s_cbranch_scc1 .LBB5_30
; %bb.28:                               ;   in Loop: Header=BB5_3 Depth=1
	v_mov_b32_e32 v16, v12
	s_lshl_b32 s49, s21, 2
	s_mov_b32 s50, s23
	s_wait_alu 0xfffe
	s_add_co_i32 s49, s43, s49
.LBB5_29:                               ;   Parent Loop BB5_3 Depth=1
                                        ; =>  This Inner Loop Header: Depth=2
	s_wait_alu 0xfffe
	v_mov_b32_e32 v17, s49
	s_add_co_i32 s50, s50, -1
	s_add_co_i32 s49, s49, -16
	s_wait_alu 0xfffe
	s_cmp_gt_i32 s50, s21
	ds_load_b32 v18, v16
	ds_load_b32 v17, v17
	v_add_nc_u32_e32 v16, -16, v16
	s_wait_dscnt 0x0
	v_fma_f32 v1, -v18, v17, v1
	s_cbranch_scc1 .LBB5_29
.LBB5_30:                               ;   in Loop: Header=BB5_3 Depth=1
	s_lshl_b32 s49, s21, 2
	s_wait_alu 0xfffe
	s_add_co_i32 s20, s49, s20
	s_wait_alu 0xfffe
	v_mov_b32_e32 v16, s20
	s_add_co_i32 s20, s21, -1
	ds_load_b32 v16, v16
	s_wait_dscnt 0x0
	v_div_scale_f32 v17, null, v16, v16, v1
	s_delay_alu instid0(VALU_DEP_1) | instskip(NEXT) | instid1(TRANS32_DEP_1)
	v_rcp_f32_e32 v18, v17
	v_fma_f32 v19, -v17, v18, 1.0
	s_delay_alu instid0(VALU_DEP_1) | instskip(SKIP_1) | instid1(VALU_DEP_1)
	v_fmac_f32_e32 v18, v19, v18
	v_div_scale_f32 v19, vcc_lo, v1, v16, v1
	v_mul_f32_e32 v20, v19, v18
	s_delay_alu instid0(VALU_DEP_1) | instskip(NEXT) | instid1(VALU_DEP_1)
	v_fma_f32 v21, -v17, v20, v19
	v_fmac_f32_e32 v20, v21, v18
	s_delay_alu instid0(VALU_DEP_1) | instskip(SKIP_1) | instid1(VALU_DEP_1)
	v_fma_f32 v17, -v17, v20, v19
	s_wait_alu 0xfffd
	v_div_fmas_f32 v17, v17, v18, v20
	s_delay_alu instid0(VALU_DEP_1)
	v_div_fixup_f32 v1, v17, v16, v1
	ds_store_b32 v0, v1
.LBB5_31:                               ;   in Loop: Header=BB5_3 Depth=1
	s_cmp_eq_u32 s21, 0
	s_cbranch_scc1 .LBB5_38
; %bb.32:                               ;   in Loop: Header=BB5_3 Depth=1
	s_wait_alu 0xfffe
	s_lshl_b32 s49, s20, 2
	s_wait_alu 0xfffe
	s_add_co_i32 s21, s43, s49
	s_add_co_i32 s49, s44, s49
	s_branch .LBB5_34
.LBB5_33:                               ;   in Loop: Header=BB5_34 Depth=2
	s_add_co_i32 s50, s50, s51
	s_add_co_i32 s21, s21, -8
	s_wait_alu 0xfffe
	s_add_co_i32 s50, s50, -4
	s_add_co_i32 s49, s49, -8
	s_wait_alu 0xfffe
	v_mov_b32_e32 v0, s50
	s_add_co_i32 s50, s20, -2
	s_cmp_lt_i32 s20, 2
	s_wait_alu 0xfffe
	s_mov_b32 s20, s50
	ds_load_b32 v0, v0
	s_wait_dscnt 0x0
	v_div_scale_f32 v16, null, v0, v0, v17
	v_div_scale_f32 v20, vcc_lo, v17, v0, v17
	s_delay_alu instid0(VALU_DEP_2) | instskip(NEXT) | instid1(TRANS32_DEP_1)
	v_rcp_f32_e32 v18, v16
	v_fma_f32 v19, -v16, v18, 1.0
	s_delay_alu instid0(VALU_DEP_1) | instskip(NEXT) | instid1(VALU_DEP_1)
	v_fmac_f32_e32 v18, v19, v18
	v_mul_f32_e32 v19, v20, v18
	s_delay_alu instid0(VALU_DEP_1) | instskip(NEXT) | instid1(VALU_DEP_1)
	v_fma_f32 v21, -v16, v19, v20
	v_fmac_f32_e32 v19, v21, v18
	s_delay_alu instid0(VALU_DEP_1) | instskip(SKIP_1) | instid1(VALU_DEP_1)
	v_fma_f32 v16, -v16, v19, v20
	s_wait_alu 0xfffd
	v_div_fmas_f32 v16, v16, v18, v19
	s_delay_alu instid0(VALU_DEP_1)
	v_div_fixup_f32 v0, v16, v0, v17
	ds_store_b32 v1, v0
	s_cbranch_scc1 .LBB5_38
.LBB5_34:                               ;   Parent Loop BB5_3 Depth=1
                                        ; =>  This Loop Header: Depth=2
                                        ;       Child Loop BB5_35 Depth 3
                                        ;       Child Loop BB5_37 Depth 3
	s_wait_alu 0xfffe
	s_lshl_b32 s51, s20, 4
	s_cmp_le_i32 s23, s20
	s_wait_alu 0xfffe
	v_dual_mov_b32 v1, v12 :: v_dual_add_nc_u32 v0, s51, v6
	s_mov_b32 s50, s21
	s_mov_b32 s52, s23
	ds_load_b32 v16, v0
	s_cbranch_scc1 .LBB5_36
.LBB5_35:                               ;   Parent Loop BB5_3 Depth=1
                                        ;     Parent Loop BB5_34 Depth=2
                                        ; =>    This Inner Loop Header: Depth=3
	s_wait_alu 0xfffe
	v_mov_b32_e32 v17, s50
	s_add_co_i32 s52, s52, -1
	s_add_co_i32 s50, s50, -16
	s_wait_alu 0xfffe
	s_cmp_le_i32 s52, s20
	ds_load_b32 v18, v1
	ds_load_b32 v17, v17
	v_add_nc_u32_e32 v1, -16, v1
	s_wait_dscnt 0x0
	v_fma_f32 v16, -v18, v17, v16
	s_cbranch_scc0 .LBB5_35
.LBB5_36:                               ;   in Loop: Header=BB5_34 Depth=2
	s_lshl_b32 s50, s20, 2
	s_mov_b32 s53, s1
	s_wait_alu 0xfffe
	s_add_co_i32 s52, s50, s51
	s_add_co_i32 s51, s51, -16
	s_wait_alu 0xfffe
	v_mov_b32_e32 v1, s52
	s_cmp_le_i32 s1, s20
	s_mov_b32 s52, s49
	ds_load_b32 v18, v1
	s_wait_dscnt 0x0
	v_div_scale_f32 v19, null, v18, v18, v16
	s_delay_alu instid0(VALU_DEP_1) | instskip(NEXT) | instid1(TRANS32_DEP_1)
	v_rcp_f32_e32 v20, v19
	v_fma_f32 v21, -v19, v20, 1.0
	s_delay_alu instid0(VALU_DEP_1) | instskip(SKIP_1) | instid1(VALU_DEP_1)
	v_fmac_f32_e32 v20, v21, v20
	v_div_scale_f32 v21, vcc_lo, v16, v18, v16
	v_dual_mul_f32 v22, v21, v20 :: v_dual_add_nc_u32 v1, s51, v6
	ds_load_b32 v17, v1
	v_fma_f32 v23, -v19, v22, v21
	s_delay_alu instid0(VALU_DEP_1) | instskip(NEXT) | instid1(VALU_DEP_1)
	v_fmac_f32_e32 v22, v23, v20
	v_fma_f32 v19, -v19, v22, v21
	s_wait_alu 0xfffd
	s_delay_alu instid0(VALU_DEP_1) | instskip(NEXT) | instid1(VALU_DEP_1)
	v_div_fmas_f32 v19, v19, v20, v22
	v_div_fixup_f32 v18, v19, v18, v16
	v_mov_b32_e32 v16, v12
	ds_store_b32 v0, v18
	s_cbranch_scc1 .LBB5_33
.LBB5_37:                               ;   Parent Loop BB5_3 Depth=1
                                        ;     Parent Loop BB5_34 Depth=2
                                        ; =>    This Inner Loop Header: Depth=3
	s_wait_alu 0xfffe
	v_mov_b32_e32 v0, s52
	s_add_co_i32 s53, s53, -1
	s_add_co_i32 s52, s52, -16
	s_wait_alu 0xfffe
	s_cmp_gt_i32 s53, s20
	ds_load_b32 v18, v16
	ds_load_b32 v0, v0
	v_add_nc_u32_e32 v16, -16, v16
	s_wait_dscnt 0x0
	v_fma_f32 v17, -v18, v0, v17
	s_cbranch_scc1 .LBB5_37
	s_branch .LBB5_33
.LBB5_38:                               ;   in Loop: Header=BB5_3 Depth=1
	s_mov_b32 s20, 0
.LBB5_39:                               ;   in Loop: Header=BB5_3 Depth=1
	s_wait_alu 0xfffe
	s_and_not1_b32 vcc_lo, exec_lo, s20
	s_wait_alu 0xfffe
	s_cbranch_vccnz .LBB5_55
; %bb.40:                               ;   in Loop: Header=BB5_3 Depth=1
	s_and_b32 vcc_lo, exec_lo, s27
	s_mov_b32 s21, s23
	s_wait_alu 0xfffe
	s_cbranch_vccz .LBB5_42
; %bb.41:                               ;   in Loop: Header=BB5_3 Depth=1
	s_add_co_i32 s20, s34, s29
	v_mov_b32_e32 v18, s41
	s_wait_alu 0xfffe
	v_mov_b32_e32 v0, s20
	s_add_co_i32 s20, s31, s30
	s_mov_b32 s21, s40
	ds_load_b32 v16, v8
	ds_load_b32 v17, v0
	s_wait_alu 0xfffe
	v_mov_b32_e32 v0, s20
	ds_load_b32 v19, v9
	ds_load_b32 v20, v10
	;; [unrolled: 1-line block ×3, first 2 shown]
	ds_load_2addr_b32 v[0:1], v0 offset1:1
	ds_load_b32 v18, v18
	s_wait_dscnt 0x5
	v_div_scale_f32 v22, null, v17, v17, v16
	v_div_scale_f32 v25, vcc_lo, v16, v17, v16
	s_delay_alu instid0(VALU_DEP_2) | instskip(NEXT) | instid1(TRANS32_DEP_1)
	v_rcp_f32_e32 v23, v22
	v_fma_f32 v24, -v22, v23, 1.0
	s_delay_alu instid0(VALU_DEP_1) | instskip(NEXT) | instid1(VALU_DEP_1)
	v_fmac_f32_e32 v23, v24, v23
	v_mul_f32_e32 v24, v25, v23
	s_delay_alu instid0(VALU_DEP_1) | instskip(NEXT) | instid1(VALU_DEP_1)
	v_fma_f32 v26, -v22, v24, v25
	v_fmac_f32_e32 v24, v26, v23
	s_delay_alu instid0(VALU_DEP_1) | instskip(SKIP_1) | instid1(VALU_DEP_1)
	v_fma_f32 v22, -v22, v24, v25
	s_wait_alu 0xfffd
	v_div_fmas_f32 v22, v22, v23, v24
	s_delay_alu instid0(VALU_DEP_1) | instskip(SKIP_1) | instid1(VALU_DEP_1)
	v_div_fixup_f32 v22, v22, v17, v16
	s_wait_dscnt 0x1
	v_fma_f32 v1, -v22, v1, v19
	s_wait_dscnt 0x0
	v_fma_f32 v20, -v22, v18, v20
	s_delay_alu instid0(VALU_DEP_2) | instskip(SKIP_1) | instid1(VALU_DEP_2)
	v_div_scale_f32 v19, null, v0, v0, v1
	v_div_scale_f32 v24, vcc_lo, v1, v0, v1
	v_rcp_f32_e32 v23, v19
	s_delay_alu instid0(TRANS32_DEP_1) | instskip(NEXT) | instid1(VALU_DEP_1)
	v_fma_f32 v16, -v19, v23, 1.0
	v_fmac_f32_e32 v23, v16, v23
	s_delay_alu instid0(VALU_DEP_1) | instskip(NEXT) | instid1(VALU_DEP_1)
	v_mul_f32_e32 v25, v24, v23
	v_fma_f32 v26, -v19, v25, v24
	s_delay_alu instid0(VALU_DEP_1) | instskip(SKIP_4) | instid1(VALU_DEP_2)
	v_dual_mov_b32 v16, s47 :: v_dual_fmac_f32 v25, v26, v23
	ds_load_2addr_b32 v[16:17], v16 offset1:1
	v_fma_f32 v19, -v19, v25, v24
	v_mov_b32_e32 v24, s48
	s_wait_alu 0xfffd
	v_div_fmas_f32 v19, v19, v23, v25
	v_mov_b32_e32 v23, s42
	s_delay_alu instid0(VALU_DEP_2) | instskip(SKIP_4) | instid1(VALU_DEP_1)
	v_div_fixup_f32 v25, v19, v0, v1
	ds_load_2addr_b32 v[0:1], v23 offset1:1
	ds_load_2addr_b32 v[18:19], v24 offset1:1
	s_wait_dscnt 0x2
	v_fma_f32 v17, -v25, v17, v20
	v_div_scale_f32 v20, null, v16, v16, v17
	v_div_scale_f32 v26, vcc_lo, v17, v16, v17
	s_delay_alu instid0(VALU_DEP_2) | instskip(SKIP_2) | instid1(VALU_DEP_1)
	v_rcp_f32_e32 v23, v20
	s_wait_dscnt 0x1
	v_fma_f32 v1, -v22, v1, v21
	v_fma_f32 v0, -v25, v0, v1
	s_delay_alu instid0(TRANS32_DEP_1) | instskip(NEXT) | instid1(VALU_DEP_1)
	v_fma_f32 v24, -v20, v23, 1.0
	v_fmac_f32_e32 v23, v24, v23
	s_delay_alu instid0(VALU_DEP_1) | instskip(NEXT) | instid1(VALU_DEP_1)
	v_mul_f32_e32 v24, v26, v23
	v_fma_f32 v27, -v20, v24, v26
	s_delay_alu instid0(VALU_DEP_1) | instskip(NEXT) | instid1(VALU_DEP_1)
	v_fmac_f32_e32 v24, v27, v23
	v_fma_f32 v20, -v20, v24, v26
	s_wait_alu 0xfffd
	s_delay_alu instid0(VALU_DEP_1) | instskip(NEXT) | instid1(VALU_DEP_1)
	v_div_fmas_f32 v20, v20, v23, v24
	v_div_fixup_f32 v1, v20, v16, v17
	s_wait_dscnt 0x0
	s_delay_alu instid0(VALU_DEP_1) | instskip(NEXT) | instid1(VALU_DEP_1)
	v_fma_f32 v0, -v1, v19, v0
	v_div_scale_f32 v16, null, v18, v18, v0
	s_delay_alu instid0(VALU_DEP_1) | instskip(NEXT) | instid1(TRANS32_DEP_1)
	v_rcp_f32_e32 v17, v16
	v_fma_f32 v19, -v16, v17, 1.0
	s_delay_alu instid0(VALU_DEP_1) | instskip(SKIP_1) | instid1(VALU_DEP_1)
	v_fmac_f32_e32 v17, v19, v17
	v_div_scale_f32 v19, vcc_lo, v0, v18, v0
	v_mul_f32_e32 v20, v19, v17
	s_delay_alu instid0(VALU_DEP_1) | instskip(NEXT) | instid1(VALU_DEP_1)
	v_fma_f32 v21, -v16, v20, v19
	v_fmac_f32_e32 v20, v21, v17
	s_delay_alu instid0(VALU_DEP_1) | instskip(SKIP_1) | instid1(VALU_DEP_1)
	v_fma_f32 v16, -v16, v20, v19
	s_wait_alu 0xfffd
	v_div_fmas_f32 v16, v16, v17, v20
	s_delay_alu instid0(VALU_DEP_1)
	v_div_fixup_f32 v0, v16, v18, v0
	ds_store_b32 v8, v22
	ds_store_b32 v9, v25
	;; [unrolled: 1-line block ×4, first 2 shown]
.LBB5_42:                               ;   in Loop: Header=BB5_3 Depth=1
	s_cmp_lt_i32 s21, 0
	s_cbranch_scc1 .LBB5_55
; %bb.43:                               ;   in Loop: Header=BB5_3 Depth=1
	s_bitcmp1_b32 s21, 0
	s_cselect_b32 s20, -1, 0
	s_wait_alu 0xfffe
	s_and_b32 vcc_lo, exec_lo, s20
	s_mov_b32 s20, s21
	s_wait_alu 0xfffe
	s_cbranch_vccnz .LBB5_48
; %bb.44:                               ;   in Loop: Header=BB5_3 Depth=1
	v_lshl_add_u32 v0, s21, 4, v6
	s_cmp_le_i32 s23, s21
	ds_load_b32 v1, v0
	s_cbranch_scc1 .LBB5_47
; %bb.45:                               ;   in Loop: Header=BB5_3 Depth=1
	v_mov_b32_e32 v16, v12
	s_lshl_b32 s20, s21, 4
	s_mov_b32 s49, s23
	s_wait_alu 0xfffe
	s_add_co_i32 s20, s45, s20
.LBB5_46:                               ;   Parent Loop BB5_3 Depth=1
                                        ; =>  This Inner Loop Header: Depth=2
	s_wait_alu 0xfffe
	v_mov_b32_e32 v17, s20
	s_add_co_i32 s49, s49, -1
	s_add_co_i32 s20, s20, -4
	s_wait_alu 0xfffe
	s_cmp_gt_u32 s49, s21
	ds_load_b32 v18, v16
	ds_load_b32 v17, v17
	v_add_nc_u32_e32 v16, -16, v16
	s_wait_dscnt 0x0
	v_fma_f32 v1, -v18, v17, v1
	s_cbranch_scc1 .LBB5_46
.LBB5_47:                               ;   in Loop: Header=BB5_3 Depth=1
	s_mul_i32 s20, s21, 20
	s_wait_alu 0xfffe
	v_mov_b32_e32 v16, s20
	s_add_co_i32 s20, s21, -1
	ds_load_b32 v16, v16
	s_wait_dscnt 0x0
	v_div_scale_f32 v17, null, v16, v16, v1
	s_delay_alu instid0(VALU_DEP_1) | instskip(NEXT) | instid1(TRANS32_DEP_1)
	v_rcp_f32_e32 v18, v17
	v_fma_f32 v19, -v17, v18, 1.0
	s_delay_alu instid0(VALU_DEP_1) | instskip(SKIP_1) | instid1(VALU_DEP_1)
	v_fmac_f32_e32 v18, v19, v18
	v_div_scale_f32 v19, vcc_lo, v1, v16, v1
	v_mul_f32_e32 v20, v19, v18
	s_delay_alu instid0(VALU_DEP_1) | instskip(NEXT) | instid1(VALU_DEP_1)
	v_fma_f32 v21, -v17, v20, v19
	v_fmac_f32_e32 v20, v21, v18
	s_delay_alu instid0(VALU_DEP_1) | instskip(SKIP_1) | instid1(VALU_DEP_1)
	v_fma_f32 v17, -v17, v20, v19
	s_wait_alu 0xfffd
	v_div_fmas_f32 v17, v17, v18, v20
	s_delay_alu instid0(VALU_DEP_1)
	v_div_fixup_f32 v1, v17, v16, v1
	ds_store_b32 v0, v1
.LBB5_48:                               ;   in Loop: Header=BB5_3 Depth=1
	s_cmp_eq_u32 s21, 0
	s_cbranch_scc1 .LBB5_55
; %bb.49:                               ;   in Loop: Header=BB5_3 Depth=1
	s_wait_alu 0xfffe
	s_lshl_b32 s49, s20, 4
	s_wait_alu 0xfffe
	s_add_co_i32 s21, s45, s49
	s_add_co_i32 s49, s46, s49
	s_branch .LBB5_51
.LBB5_50:                               ;   in Loop: Header=BB5_51 Depth=2
	s_sub_co_i32 s51, s51, 20
	s_add_co_i32 s20, s20, -2
	s_wait_alu 0xfffe
	v_mov_b32_e32 v0, s51
	s_sub_co_i32 s21, s21, 32
	s_sub_co_i32 s49, s49, 32
	s_cmp_eq_u32 s50, 0
	ds_load_b32 v0, v0
	s_wait_dscnt 0x0
	v_div_scale_f32 v16, null, v0, v0, v17
	v_div_scale_f32 v20, vcc_lo, v17, v0, v17
	s_delay_alu instid0(VALU_DEP_2) | instskip(NEXT) | instid1(TRANS32_DEP_1)
	v_rcp_f32_e32 v18, v16
	v_fma_f32 v19, -v16, v18, 1.0
	s_delay_alu instid0(VALU_DEP_1) | instskip(NEXT) | instid1(VALU_DEP_1)
	v_fmac_f32_e32 v18, v19, v18
	v_mul_f32_e32 v19, v20, v18
	s_delay_alu instid0(VALU_DEP_1) | instskip(NEXT) | instid1(VALU_DEP_1)
	v_fma_f32 v21, -v16, v19, v20
	v_fmac_f32_e32 v19, v21, v18
	s_delay_alu instid0(VALU_DEP_1) | instskip(SKIP_1) | instid1(VALU_DEP_1)
	v_fma_f32 v16, -v16, v19, v20
	s_wait_alu 0xfffd
	v_div_fmas_f32 v16, v16, v18, v19
	s_delay_alu instid0(VALU_DEP_1)
	v_div_fixup_f32 v0, v16, v0, v17
	ds_store_b32 v1, v0
	s_cbranch_scc1 .LBB5_55
.LBB5_51:                               ;   Parent Loop BB5_3 Depth=1
                                        ; =>  This Loop Header: Depth=2
                                        ;       Child Loop BB5_52 Depth 3
                                        ;       Child Loop BB5_54 Depth 3
	v_lshl_add_u32 v0, s20, 4, v6
	v_mov_b32_e32 v1, v12
	s_cmp_le_i32 s23, s20
	s_wait_alu 0xfffe
	s_mov_b32 s50, s21
	s_mov_b32 s51, s23
	ds_load_b32 v16, v0
	s_cbranch_scc1 .LBB5_53
.LBB5_52:                               ;   Parent Loop BB5_3 Depth=1
                                        ;     Parent Loop BB5_51 Depth=2
                                        ; =>    This Inner Loop Header: Depth=3
	s_wait_alu 0xfffe
	v_mov_b32_e32 v17, s50
	s_add_co_i32 s51, s51, -1
	s_add_co_i32 s50, s50, -4
	s_wait_alu 0xfffe
	s_cmp_le_u32 s51, s20
	ds_load_b32 v18, v1
	ds_load_b32 v17, v17
	v_add_nc_u32_e32 v1, -16, v1
	s_wait_dscnt 0x0
	v_fma_f32 v16, -v18, v17, v16
	s_cbranch_scc0 .LBB5_52
.LBB5_53:                               ;   in Loop: Header=BB5_51 Depth=2
	s_mul_i32 s51, s20, 20
	s_add_co_i32 s50, s20, -1
	s_wait_alu 0xfffe
	v_mov_b32_e32 v1, s51
	s_cmp_le_i32 s1, s20
	s_mov_b32 s52, s49
	s_mov_b32 s53, s23
	ds_load_b32 v18, v1
	v_lshl_add_u32 v1, s50, 4, v6
	ds_load_b32 v17, v1
	s_wait_dscnt 0x1
	v_div_scale_f32 v19, null, v18, v18, v16
	s_delay_alu instid0(VALU_DEP_1) | instskip(NEXT) | instid1(TRANS32_DEP_1)
	v_rcp_f32_e32 v20, v19
	v_fma_f32 v21, -v19, v20, 1.0
	s_delay_alu instid0(VALU_DEP_1) | instskip(SKIP_1) | instid1(VALU_DEP_1)
	v_fmac_f32_e32 v20, v21, v20
	v_div_scale_f32 v21, vcc_lo, v16, v18, v16
	v_mul_f32_e32 v22, v21, v20
	s_delay_alu instid0(VALU_DEP_1) | instskip(NEXT) | instid1(VALU_DEP_1)
	v_fma_f32 v23, -v19, v22, v21
	v_fmac_f32_e32 v22, v23, v20
	s_delay_alu instid0(VALU_DEP_1) | instskip(SKIP_1) | instid1(VALU_DEP_1)
	v_fma_f32 v19, -v19, v22, v21
	s_wait_alu 0xfffd
	v_div_fmas_f32 v19, v19, v20, v22
	s_delay_alu instid0(VALU_DEP_1)
	v_div_fixup_f32 v18, v19, v18, v16
	v_mov_b32_e32 v16, v12
	ds_store_b32 v0, v18
	s_cbranch_scc1 .LBB5_50
.LBB5_54:                               ;   Parent Loop BB5_3 Depth=1
                                        ;     Parent Loop BB5_51 Depth=2
                                        ; =>    This Inner Loop Header: Depth=3
	s_wait_alu 0xfffe
	v_mov_b32_e32 v0, s52
	s_add_co_i32 s53, s53, -1
	s_add_co_i32 s52, s52, -4
	s_wait_alu 0xfffe
	s_cmp_gt_u32 s53, s50
	ds_load_b32 v18, v16
	ds_load_b32 v0, v0
	v_add_nc_u32_e32 v16, -16, v16
	s_wait_dscnt 0x0
	v_fma_f32 v17, -v18, v0, v17
	s_cbranch_scc1 .LBB5_54
	s_branch .LBB5_50
.LBB5_55:                               ;   in Loop: Header=BB5_3 Depth=1
	s_mov_b32 s20, 0
.LBB5_56:                               ;   in Loop: Header=BB5_3 Depth=1
	s_wait_alu 0xfffe
	s_and_not1_b32 vcc_lo, exec_lo, s20
	s_wait_alu 0xfffe
	s_cbranch_vccnz .LBB5_64
; %bb.57:                               ;   in Loop: Header=BB5_3 Depth=1
	s_and_b32 vcc_lo, exec_lo, s27
	s_mov_b32 s20, 0
	s_wait_alu 0xfffe
	s_cbranch_vccz .LBB5_59
; %bb.58:                               ;   in Loop: Header=BB5_3 Depth=1
	ds_load_2addr_b32 v[0:1], v6 offset1:4
	ds_load_b32 v21, v5
	ds_load_b64 v[16:17], v5 offset:16
	ds_load_b96 v[18:20], v5 offset:32
	s_mov_b32 s20, 4
	s_wait_dscnt 0x2
	v_div_scale_f32 v22, null, v21, v21, v0
	v_div_scale_f32 v25, vcc_lo, v0, v21, v0
	s_delay_alu instid0(VALU_DEP_2) | instskip(NEXT) | instid1(TRANS32_DEP_1)
	v_rcp_f32_e32 v23, v22
	v_fma_f32 v24, -v22, v23, 1.0
	s_delay_alu instid0(VALU_DEP_1) | instskip(NEXT) | instid1(VALU_DEP_1)
	v_fmac_f32_e32 v23, v24, v23
	v_mul_f32_e32 v24, v25, v23
	s_delay_alu instid0(VALU_DEP_1) | instskip(NEXT) | instid1(VALU_DEP_1)
	v_fma_f32 v26, -v22, v24, v25
	v_fmac_f32_e32 v24, v26, v23
	s_delay_alu instid0(VALU_DEP_1) | instskip(SKIP_1) | instid1(VALU_DEP_1)
	v_fma_f32 v22, -v22, v24, v25
	s_wait_alu 0xfffd
	v_div_fmas_f32 v22, v22, v23, v24
	s_delay_alu instid0(VALU_DEP_1) | instskip(SKIP_1) | instid1(VALU_DEP_1)
	v_div_fixup_f32 v21, v22, v21, v0
	s_wait_dscnt 0x1
	v_fma_f32 v16, -v21, v16, v1
	s_delay_alu instid0(VALU_DEP_1) | instskip(SKIP_1) | instid1(VALU_DEP_2)
	v_div_scale_f32 v22, null, v17, v17, v16
	v_div_scale_f32 v24, vcc_lo, v16, v17, v16
	v_rcp_f32_e32 v23, v22
	s_delay_alu instid0(TRANS32_DEP_1) | instskip(NEXT) | instid1(VALU_DEP_1)
	v_fma_f32 v0, -v22, v23, 1.0
	v_fmac_f32_e32 v23, v0, v23
	ds_load_2addr_b32 v[0:1], v6 offset0:8 offset1:12
	v_mul_f32_e32 v25, v24, v23
	s_delay_alu instid0(VALU_DEP_1) | instskip(NEXT) | instid1(VALU_DEP_1)
	v_fma_f32 v26, -v22, v25, v24
	v_fmac_f32_e32 v25, v26, v23
	s_delay_alu instid0(VALU_DEP_1) | instskip(SKIP_3) | instid1(VALU_DEP_2)
	v_fma_f32 v22, -v22, v25, v24
	s_wait_dscnt 0x0
	v_fma_f32 v0, -v21, v18, v0
	s_wait_alu 0xfffd
	v_div_fmas_f32 v22, v22, v23, v25
	s_delay_alu instid0(VALU_DEP_1) | instskip(NEXT) | instid1(VALU_DEP_1)
	v_div_fixup_f32 v22, v22, v17, v16
	v_fma_f32 v0, -v22, v19, v0
	ds_store_2addr_b32 v6, v21, v22 offset1:4
	v_div_scale_f32 v23, null, v20, v20, v0
	v_div_scale_f32 v25, vcc_lo, v0, v20, v0
	s_delay_alu instid0(VALU_DEP_2) | instskip(NEXT) | instid1(TRANS32_DEP_1)
	v_rcp_f32_e32 v24, v23
	v_fma_f32 v16, -v23, v24, 1.0
	s_delay_alu instid0(VALU_DEP_1) | instskip(SKIP_2) | instid1(VALU_DEP_1)
	v_fmac_f32_e32 v24, v16, v24
	ds_load_b128 v[16:19], v5 offset:48
	v_mul_f32_e32 v26, v25, v24
	v_fma_f32 v27, -v23, v26, v25
	s_delay_alu instid0(VALU_DEP_1) | instskip(NEXT) | instid1(VALU_DEP_1)
	v_fmac_f32_e32 v26, v27, v24
	v_fma_f32 v23, -v23, v26, v25
	s_wait_dscnt 0x0
	v_fma_f32 v1, -v21, v16, v1
	s_wait_alu 0xfffd
	s_delay_alu instid0(VALU_DEP_2) | instskip(NEXT) | instid1(VALU_DEP_2)
	v_div_fmas_f32 v16, v23, v24, v26
	v_fma_f32 v1, -v22, v17, v1
	s_delay_alu instid0(VALU_DEP_2) | instskip(NEXT) | instid1(VALU_DEP_1)
	v_div_fixup_f32 v0, v16, v20, v0
	v_fma_f32 v1, -v0, v18, v1
	s_delay_alu instid0(VALU_DEP_1) | instskip(NEXT) | instid1(VALU_DEP_1)
	v_div_scale_f32 v16, null, v19, v19, v1
	v_rcp_f32_e32 v17, v16
	s_delay_alu instid0(TRANS32_DEP_1) | instskip(NEXT) | instid1(VALU_DEP_1)
	v_fma_f32 v18, -v16, v17, 1.0
	v_fmac_f32_e32 v17, v18, v17
	v_div_scale_f32 v18, vcc_lo, v1, v19, v1
	s_delay_alu instid0(VALU_DEP_1) | instskip(NEXT) | instid1(VALU_DEP_1)
	v_mul_f32_e32 v20, v18, v17
	v_fma_f32 v23, -v16, v20, v18
	s_delay_alu instid0(VALU_DEP_1) | instskip(NEXT) | instid1(VALU_DEP_1)
	v_fmac_f32_e32 v20, v23, v17
	v_fma_f32 v16, -v16, v20, v18
	s_wait_alu 0xfffd
	s_delay_alu instid0(VALU_DEP_1) | instskip(NEXT) | instid1(VALU_DEP_1)
	v_div_fmas_f32 v16, v16, v17, v20
	v_div_fixup_f32 v1, v16, v19, v1
	ds_store_2addr_b32 v6, v0, v1 offset0:8 offset1:12
.LBB5_59:                               ;   in Loop: Header=BB5_3 Depth=1
	s_wait_alu 0xfffe
	s_cmp_ge_i32 s20, s1
	s_cbranch_scc1 .LBB5_64
; %bb.60:                               ;   in Loop: Header=BB5_3 Depth=1
	s_lshl_b32 s21, s20, 4
	s_branch .LBB5_62
.LBB5_61:                               ;   in Loop: Header=BB5_62 Depth=2
	s_mul_i32 s49, s20, 20
	s_add_co_i32 s20, s20, 1
	s_wait_alu 0xfffe
	v_mov_b32_e32 v16, s49
	s_add_co_i32 s21, s21, 16
	s_cmp_ge_i32 s20, s1
	ds_load_b32 v16, v16
	s_wait_dscnt 0x0
	v_div_scale_f32 v17, null, v16, v16, v1
	s_delay_alu instid0(VALU_DEP_1) | instskip(NEXT) | instid1(TRANS32_DEP_1)
	v_rcp_f32_e32 v18, v17
	v_fma_f32 v19, -v17, v18, 1.0
	s_delay_alu instid0(VALU_DEP_1) | instskip(SKIP_1) | instid1(VALU_DEP_1)
	v_fmac_f32_e32 v18, v19, v18
	v_div_scale_f32 v19, vcc_lo, v1, v16, v1
	v_mul_f32_e32 v20, v19, v18
	s_delay_alu instid0(VALU_DEP_1) | instskip(NEXT) | instid1(VALU_DEP_1)
	v_fma_f32 v21, -v17, v20, v19
	v_fmac_f32_e32 v20, v21, v18
	s_delay_alu instid0(VALU_DEP_1) | instskip(SKIP_1) | instid1(VALU_DEP_1)
	v_fma_f32 v17, -v17, v20, v19
	s_wait_alu 0xfffd
	v_div_fmas_f32 v17, v17, v18, v20
	s_delay_alu instid0(VALU_DEP_1)
	v_div_fixup_f32 v1, v17, v16, v1
	ds_store_b32 v0, v1
	s_cbranch_scc1 .LBB5_64
.LBB5_62:                               ;   Parent Loop BB5_3 Depth=1
                                        ; =>  This Loop Header: Depth=2
                                        ;       Child Loop BB5_63 Depth 3
	v_lshl_add_u32 v0, s20, 4, v6
	v_mov_b32_e32 v16, v6
	s_cmp_eq_u32 s20, 0
	s_wait_alu 0xfffe
	s_mov_b32 s49, s21
	s_mov_b32 s50, s20
	ds_load_b32 v1, v0
	s_cbranch_scc1 .LBB5_61
.LBB5_63:                               ;   Parent Loop BB5_3 Depth=1
                                        ;     Parent Loop BB5_62 Depth=2
                                        ; =>    This Inner Loop Header: Depth=3
	s_wait_alu 0xfffe
	v_mov_b32_e32 v17, s49
	s_add_co_i32 s50, s50, -1
	s_add_co_i32 s49, s49, 4
	s_wait_alu 0xfffe
	s_cmp_eq_u32 s50, 0
	ds_load_b32 v18, v16
	ds_load_b32 v17, v17
	v_add_nc_u32_e32 v16, 16, v16
	s_wait_dscnt 0x0
	v_fma_f32 v1, -v18, v17, v1
	s_cbranch_scc0 .LBB5_63
	s_branch .LBB5_61
.LBB5_64:                               ;   in Loop: Header=BB5_3 Depth=1
	s_and_saveexec_b32 s20, s28
	s_cbranch_execz .LBB5_2
; %bb.65:                               ;   in Loop: Header=BB5_3 Depth=1
	v_add_co_u32 v0, vcc_lo, v2, v15
	s_wait_alu 0xfffd
	v_add_co_ci_u32_e64 v1, null, 0, v3, vcc_lo
	v_mov_b32_e32 v2, v6
	s_mov_b32 s21, s12
.LBB5_66:                               ;   Parent Loop BB5_3 Depth=1
                                        ; =>  This Inner Loop Header: Depth=2
	ds_load_b32 v3, v2
	v_add_nc_u32_e32 v2, 16, v2
	s_wait_alu 0xfffe
	s_add_co_i32 s21, s21, -1
	s_wait_alu 0xfffe
	s_cmp_lg_u32 s21, 0
	s_wait_dscnt 0x0
	flat_store_b32 v[0:1], v3
	v_add_co_u32 v0, vcc_lo, v0, s18
	s_wait_alu 0xfffd
	v_add_co_ci_u32_e64 v1, null, s19, v1, vcc_lo
	s_cbranch_scc1 .LBB5_66
	s_branch .LBB5_2
.LBB5_67:
	s_endpgm
	.section	.rodata,"a",@progbits
	.p2align	6, 0x0
	.amdhsa_kernel _ZL31rocblas_trsm_small_right_deviceIffPKPKfPKPfLi4EEv13rocblas_fill_18rocblas_operation_17rocblas_diagonal_iiT0_T1_lilT2_lili
		.amdhsa_group_segment_fixed_size 128
		.amdhsa_private_segment_fixed_size 0
		.amdhsa_kernarg_size 352
		.amdhsa_user_sgpr_count 2
		.amdhsa_user_sgpr_dispatch_ptr 0
		.amdhsa_user_sgpr_queue_ptr 0
		.amdhsa_user_sgpr_kernarg_segment_ptr 1
		.amdhsa_user_sgpr_dispatch_id 0
		.amdhsa_user_sgpr_private_segment_size 0
		.amdhsa_wavefront_size32 1
		.amdhsa_uses_dynamic_stack 0
		.amdhsa_enable_private_segment 0
		.amdhsa_system_sgpr_workgroup_id_x 1
		.amdhsa_system_sgpr_workgroup_id_y 0
		.amdhsa_system_sgpr_workgroup_id_z 1
		.amdhsa_system_sgpr_workgroup_info 0
		.amdhsa_system_vgpr_workitem_id 0
		.amdhsa_next_free_vgpr 29
		.amdhsa_next_free_sgpr 54
		.amdhsa_reserve_vcc 1
		.amdhsa_float_round_mode_32 0
		.amdhsa_float_round_mode_16_64 0
		.amdhsa_float_denorm_mode_32 3
		.amdhsa_float_denorm_mode_16_64 3
		.amdhsa_fp16_overflow 0
		.amdhsa_workgroup_processor_mode 1
		.amdhsa_memory_ordered 1
		.amdhsa_forward_progress 1
		.amdhsa_inst_pref_size 44
		.amdhsa_round_robin_scheduling 0
		.amdhsa_exception_fp_ieee_invalid_op 0
		.amdhsa_exception_fp_denorm_src 0
		.amdhsa_exception_fp_ieee_div_zero 0
		.amdhsa_exception_fp_ieee_overflow 0
		.amdhsa_exception_fp_ieee_underflow 0
		.amdhsa_exception_fp_ieee_inexact 0
		.amdhsa_exception_int_div_zero 0
	.end_amdhsa_kernel
	.section	.text._ZL31rocblas_trsm_small_right_deviceIffPKPKfPKPfLi4EEv13rocblas_fill_18rocblas_operation_17rocblas_diagonal_iiT0_T1_lilT2_lili,"axG",@progbits,_ZL31rocblas_trsm_small_right_deviceIffPKPKfPKPfLi4EEv13rocblas_fill_18rocblas_operation_17rocblas_diagonal_iiT0_T1_lilT2_lili,comdat
.Lfunc_end5:
	.size	_ZL31rocblas_trsm_small_right_deviceIffPKPKfPKPfLi4EEv13rocblas_fill_18rocblas_operation_17rocblas_diagonal_iiT0_T1_lilT2_lili, .Lfunc_end5-_ZL31rocblas_trsm_small_right_deviceIffPKPKfPKPfLi4EEv13rocblas_fill_18rocblas_operation_17rocblas_diagonal_iiT0_T1_lilT2_lili
                                        ; -- End function
	.set _ZL31rocblas_trsm_small_right_deviceIffPKPKfPKPfLi4EEv13rocblas_fill_18rocblas_operation_17rocblas_diagonal_iiT0_T1_lilT2_lili.num_vgpr, 29
	.set _ZL31rocblas_trsm_small_right_deviceIffPKPKfPKPfLi4EEv13rocblas_fill_18rocblas_operation_17rocblas_diagonal_iiT0_T1_lilT2_lili.num_agpr, 0
	.set _ZL31rocblas_trsm_small_right_deviceIffPKPKfPKPfLi4EEv13rocblas_fill_18rocblas_operation_17rocblas_diagonal_iiT0_T1_lilT2_lili.numbered_sgpr, 54
	.set _ZL31rocblas_trsm_small_right_deviceIffPKPKfPKPfLi4EEv13rocblas_fill_18rocblas_operation_17rocblas_diagonal_iiT0_T1_lilT2_lili.num_named_barrier, 0
	.set _ZL31rocblas_trsm_small_right_deviceIffPKPKfPKPfLi4EEv13rocblas_fill_18rocblas_operation_17rocblas_diagonal_iiT0_T1_lilT2_lili.private_seg_size, 0
	.set _ZL31rocblas_trsm_small_right_deviceIffPKPKfPKPfLi4EEv13rocblas_fill_18rocblas_operation_17rocblas_diagonal_iiT0_T1_lilT2_lili.uses_vcc, 1
	.set _ZL31rocblas_trsm_small_right_deviceIffPKPKfPKPfLi4EEv13rocblas_fill_18rocblas_operation_17rocblas_diagonal_iiT0_T1_lilT2_lili.uses_flat_scratch, 0
	.set _ZL31rocblas_trsm_small_right_deviceIffPKPKfPKPfLi4EEv13rocblas_fill_18rocblas_operation_17rocblas_diagonal_iiT0_T1_lilT2_lili.has_dyn_sized_stack, 0
	.set _ZL31rocblas_trsm_small_right_deviceIffPKPKfPKPfLi4EEv13rocblas_fill_18rocblas_operation_17rocblas_diagonal_iiT0_T1_lilT2_lili.has_recursion, 0
	.set _ZL31rocblas_trsm_small_right_deviceIffPKPKfPKPfLi4EEv13rocblas_fill_18rocblas_operation_17rocblas_diagonal_iiT0_T1_lilT2_lili.has_indirect_call, 0
	.section	.AMDGPU.csdata,"",@progbits
; Kernel info:
; codeLenInByte = 5544
; TotalNumSgprs: 56
; NumVgprs: 29
; ScratchSize: 0
; MemoryBound: 0
; FloatMode: 240
; IeeeMode: 1
; LDSByteSize: 128 bytes/workgroup (compile time only)
; SGPRBlocks: 0
; VGPRBlocks: 3
; NumSGPRsForWavesPerEU: 56
; NumVGPRsForWavesPerEU: 29
; Occupancy: 16
; WaveLimiterHint : 0
; COMPUTE_PGM_RSRC2:SCRATCH_EN: 0
; COMPUTE_PGM_RSRC2:USER_SGPR: 2
; COMPUTE_PGM_RSRC2:TRAP_HANDLER: 0
; COMPUTE_PGM_RSRC2:TGID_X_EN: 1
; COMPUTE_PGM_RSRC2:TGID_Y_EN: 0
; COMPUTE_PGM_RSRC2:TGID_Z_EN: 1
; COMPUTE_PGM_RSRC2:TIDIG_COMP_CNT: 0
	.section	.text._ZL38rocblas_trsm_small_left_device_sharedBILi8ELi8ELb0EffPKPKfPKPfEv13rocblas_fill_18rocblas_operation_17rocblas_diagonal_iiT3_T4_lilT5_lili,"axG",@progbits,_ZL38rocblas_trsm_small_left_device_sharedBILi8ELi8ELb0EffPKPKfPKPfEv13rocblas_fill_18rocblas_operation_17rocblas_diagonal_iiT3_T4_lilT5_lili,comdat
	.globl	_ZL38rocblas_trsm_small_left_device_sharedBILi8ELi8ELb0EffPKPKfPKPfEv13rocblas_fill_18rocblas_operation_17rocblas_diagonal_iiT3_T4_lilT5_lili ; -- Begin function _ZL38rocblas_trsm_small_left_device_sharedBILi8ELi8ELb0EffPKPKfPKPfEv13rocblas_fill_18rocblas_operation_17rocblas_diagonal_iiT3_T4_lilT5_lili
	.p2align	8
	.type	_ZL38rocblas_trsm_small_left_device_sharedBILi8ELi8ELb0EffPKPKfPKPfEv13rocblas_fill_18rocblas_operation_17rocblas_diagonal_iiT3_T4_lilT5_lili,@function
_ZL38rocblas_trsm_small_left_device_sharedBILi8ELi8ELb0EffPKPKfPKPfEv13rocblas_fill_18rocblas_operation_17rocblas_diagonal_iiT3_T4_lilT5_lili: ; @_ZL38rocblas_trsm_small_left_device_sharedBILi8ELi8ELb0EffPKPKfPKPfEv13rocblas_fill_18rocblas_operation_17rocblas_diagonal_iiT3_T4_lilT5_lili
; %bb.0:
	s_load_b32 s24, s[0:1], 0x58
	s_lshr_b32 s2, ttmp7, 16
	s_wait_kmcnt 0x0
	s_cmp_ge_u32 s2, s24
	s_cbranch_scc1 .LBB6_57
; %bb.1:
	s_clause 0x6
	s_load_b32 s18, s[0:1], 0x28
	s_load_b32 s20, s[0:1], 0x48
	s_load_b128 s[12:15], s[0:1], 0x4
	s_load_b32 s3, s[0:1], 0x60
	s_load_b128 s[4:7], s[0:1], 0x18
	s_load_b128 s[8:11], s[0:1], 0x38
	s_load_b32 s1, s[0:1], 0x14
	v_dual_mov_b32 v1, 0 :: v_dual_lshlrev_b32 v20, 2, v0
	s_lshl_b32 s22, ttmp9, 3
	v_lshlrev_b32_e32 v11, 5, v0
	s_mov_b32 s17, 0
	s_delay_alu instid0(VALU_DEP_2)
	v_or_b32_e32 v21, 0x100, v20
	v_dual_mov_b32 v7, v1 :: v_dual_mov_b32 v8, v1
	v_dual_mov_b32 v2, v1 :: v_dual_mov_b32 v3, v1
	;; [unrolled: 1-line block ×3, first 2 shown]
	v_mov_b32_e32 v6, v1
	s_wait_kmcnt 0x0
	s_ashr_i32 s19, s18, 31
	s_ashr_i32 s21, s20, 31
	s_min_i32 s25, s14, 8
	s_add_co_i32 s3, s3, -1
	s_sub_co_i32 s0, s15, s22
	s_add_co_i32 s26, s25, -1
	v_mad_co_i64_i32 v[9:10], null, s20, v0, 0
	s_cmp_ge_u32 ttmp9, s3
	s_cselect_b32 s3, s0, 8
	s_ashr_i32 s23, s22, 31
	s_cmp_lg_u32 s13, 0x84
	v_cmp_gt_i32_e32 vcc_lo, s3, v0
	s_cselect_b32 s27, -1, 0
	s_cmp_gt_i32 s14, 0
	v_cmp_gt_i32_e64 s0, s25, v0
	s_cselect_b32 s3, -1, 0
	s_cmp_lg_u32 s12, 0x6f
	v_lshlrev_b32_e32 v0, 2, v0
	v_lshlrev_b64_e32 v[18:19], 2, v[9:10]
	v_mov_b32_e32 v9, v8
	v_mov_b32_e32 v8, v7
	v_dual_mov_b32 v7, v6 :: v_dual_add_nc_u32 v22, v20, v11
	v_mov_b32_e32 v6, v5
	v_mov_b32_e32 v5, v4
	;; [unrolled: 1-line block ×5, first 2 shown]
	s_mul_u64 s[14:15], s[20:21], s[22:23]
	s_cselect_b32 s28, -1, 0
	s_wait_alu 0xfffe
	s_and_b32 s29, vcc_lo, s3
	s_lshl_b32 s3, s25, 5
	s_lshl_b64 s[12:13], s[18:19], 2
	s_wait_alu 0xfffe
	s_sub_co_i32 s30, s3, 32
	s_lshl_b64 s[6:7], s[6:7], 2
	s_lshl_b64 s[10:11], s[10:11], 2
	;; [unrolled: 1-line block ×3, first 2 shown]
	s_branch .LBB6_3
.LBB6_2:                                ;   in Loop: Header=BB6_3 Depth=1
	s_wait_alu 0xfffe
	s_or_b32 exec_lo, exec_lo, s3
	v_dual_mov_b32 v2, v10 :: v_dual_mov_b32 v3, v11
	v_dual_mov_b32 v4, v12 :: v_dual_mov_b32 v5, v13
	;; [unrolled: 1-line block ×4, first 2 shown]
	s_add_co_i32 s2, s2, 0x10000
	s_wait_alu 0xfffe
	s_cmp_lt_u32 s2, s24
	s_cbranch_scc0 .LBB6_57
.LBB6_3:                                ; =>This Loop Header: Depth=1
                                        ;     Child Loop BB6_5 Depth 2
                                        ;     Child Loop BB6_11 Depth 2
	;; [unrolled: 1-line block ×3, first 2 shown]
                                        ;       Child Loop BB6_17 Depth 3
                                        ;         Child Loop BB6_18 Depth 4
                                        ;         Child Loop BB6_21 Depth 4
                                        ;           Child Loop BB6_22 Depth 5
                                        ;         Child Loop BB6_27 Depth 4
                                        ;           Child Loop BB6_29 Depth 5
                                        ;     Child Loop BB6_35 Depth 2
                                        ;       Child Loop BB6_38 Depth 3
                                        ;         Child Loop BB6_39 Depth 4
                                        ;         Child Loop BB6_41 Depth 4
                                        ;           Child Loop BB6_42 Depth 5
                                        ;         Child Loop BB6_47 Depth 4
                                        ;           Child Loop BB6_49 Depth 5
                                        ;     Child Loop BB6_56 Depth 2
	s_mov_b32 s3, s17
	s_wait_alu 0xfffe
	s_lshl_b64 s[18:19], s[2:3], 3
	s_delay_alu instid0(SALU_CYCLE_1)
	s_add_nc_u64 s[20:21], s[8:9], s[18:19]
	global_load_b64 v[10:11], v1, s[20:21]
	s_and_saveexec_b32 s3, s0
	s_cbranch_execz .LBB6_9
; %bb.4:                                ;   in Loop: Header=BB6_3 Depth=1
	s_add_nc_u64 s[18:19], s[4:5], s[18:19]
	v_mov_b32_e32 v14, v20
	global_load_b64 v[12:13], v1, s[18:19]
	s_mov_b32 s16, s25
	s_wait_loadcnt 0x0
	v_add_co_u32 v12, vcc_lo, v12, s6
	s_wait_alu 0xfffd
	v_add_co_ci_u32_e64 v13, null, s7, v13, vcc_lo
	s_delay_alu instid0(VALU_DEP_2) | instskip(SKIP_1) | instid1(VALU_DEP_2)
	v_add_co_u32 v12, vcc_lo, v12, v0
	s_wait_alu 0xfffd
	v_add_co_ci_u32_e64 v13, null, 0, v13, vcc_lo
.LBB6_5:                                ;   Parent Loop BB6_3 Depth=1
                                        ; =>  This Inner Loop Header: Depth=2
	flat_load_b32 v15, v[12:13]
	v_add_co_u32 v12, vcc_lo, v12, s12
	s_wait_alu 0xfffd
	v_add_co_ci_u32_e64 v13, null, s13, v13, vcc_lo
	s_add_co_i32 s16, s16, -1
	s_delay_alu instid0(SALU_CYCLE_1)
	s_cmp_eq_u32 s16, 0
	s_wait_loadcnt_dscnt 0x0
	ds_store_b32 v14, v15
	v_add_nc_u32_e32 v14, 32, v14
	s_cbranch_scc0 .LBB6_5
; %bb.6:                                ;   in Loop: Header=BB6_3 Depth=1
	v_mov_b32_e32 v12, 1.0
	s_and_b32 vcc_lo, exec_lo, s27
	s_wait_alu 0xfffe
	s_cbranch_vccz .LBB6_8
; %bb.7:                                ;   in Loop: Header=BB6_3 Depth=1
	ds_load_b32 v12, v22
	s_wait_dscnt 0x0
	v_div_scale_f32 v13, null, v12, v12, 1.0
	s_delay_alu instid0(VALU_DEP_1) | instskip(NEXT) | instid1(TRANS32_DEP_1)
	v_rcp_f32_e32 v14, v13
	v_fma_f32 v15, -v13, v14, 1.0
	s_delay_alu instid0(VALU_DEP_1) | instskip(SKIP_1) | instid1(VALU_DEP_1)
	v_fmac_f32_e32 v14, v15, v14
	v_div_scale_f32 v15, vcc_lo, 1.0, v12, 1.0
	v_mul_f32_e32 v16, v15, v14
	s_delay_alu instid0(VALU_DEP_1) | instskip(NEXT) | instid1(VALU_DEP_1)
	v_fma_f32 v17, -v13, v16, v15
	v_fmac_f32_e32 v16, v17, v14
	s_delay_alu instid0(VALU_DEP_1) | instskip(SKIP_1) | instid1(VALU_DEP_1)
	v_fma_f32 v13, -v13, v16, v15
	s_wait_alu 0xfffd
	v_div_fmas_f32 v13, v13, v14, v16
	s_delay_alu instid0(VALU_DEP_1)
	v_div_fixup_f32 v12, v13, v12, 1.0
.LBB6_8:                                ;   in Loop: Header=BB6_3 Depth=1
	ds_store_b32 v22, v12
.LBB6_9:                                ;   in Loop: Header=BB6_3 Depth=1
	s_wait_alu 0xfffe
	s_or_b32 exec_lo, exec_lo, s3
	s_wait_loadcnt 0x0
	v_add_co_u32 v10, vcc_lo, v10, s10
	s_wait_alu 0xfffd
	v_add_co_ci_u32_e64 v11, null, s11, v11, vcc_lo
	s_delay_alu instid0(VALU_DEP_2) | instskip(SKIP_1) | instid1(VALU_DEP_2)
	v_add_co_u32 v23, vcc_lo, v10, s14
	s_wait_alu 0xfffd
	v_add_co_ci_u32_e64 v24, null, s15, v11, vcc_lo
	s_and_saveexec_b32 s3, s29
	s_cbranch_execz .LBB6_12
; %bb.10:                               ;   in Loop: Header=BB6_3 Depth=1
	v_add_co_u32 v10, vcc_lo, v23, v18
	s_wait_alu 0xfffd
	v_add_co_ci_u32_e64 v11, null, v24, v19, vcc_lo
	v_mov_b32_e32 v12, v21
	s_mov_b32 s16, s25
.LBB6_11:                               ;   Parent Loop BB6_3 Depth=1
                                        ; =>  This Inner Loop Header: Depth=2
	flat_load_b32 v13, v[10:11]
	v_add_co_u32 v10, vcc_lo, v10, 4
	s_wait_alu 0xfffd
	v_add_co_ci_u32_e64 v11, null, 0, v11, vcc_lo
	s_add_co_i32 s16, s16, -1
	s_delay_alu instid0(SALU_CYCLE_1)
	s_cmp_lg_u32 s16, 0
	s_wait_loadcnt_dscnt 0x0
	v_mul_f32_e32 v13, s1, v13
	ds_store_b32 v12, v13
	v_add_nc_u32_e32 v12, 32, v12
	s_cbranch_scc1 .LBB6_11
.LBB6_12:                               ;   in Loop: Header=BB6_3 Depth=1
	s_wait_alu 0xfffe
	s_or_b32 exec_lo, exec_lo, s3
	s_delay_alu instid0(SALU_CYCLE_1)
	s_and_not1_b32 vcc_lo, exec_lo, s28
	s_mov_b32 s3, -1
	s_wait_dscnt 0x0
	; wave barrier
	global_inv scope:SCOPE_SE
                                        ; implicit-def: $vgpr10_vgpr11_vgpr12_vgpr13_vgpr14_vgpr15_vgpr16_vgpr17
	s_wait_alu 0xfffe
	s_cbranch_vccnz .LBB6_33
; %bb.13:                               ;   in Loop: Header=BB6_3 Depth=1
	v_dual_mov_b32 v17, v9 :: v_dual_mov_b32 v16, v8
	v_dual_mov_b32 v15, v7 :: v_dual_mov_b32 v14, v6
	;; [unrolled: 1-line block ×4, first 2 shown]
	s_mov_b32 s16, 0
	s_delay_alu instid0(SALU_CYCLE_1)
	s_mov_b32 s3, s16
.LBB6_14:                               ;   Parent Loop BB6_3 Depth=1
                                        ; =>  This Loop Header: Depth=2
                                        ;       Child Loop BB6_17 Depth 3
                                        ;         Child Loop BB6_18 Depth 4
                                        ;         Child Loop BB6_21 Depth 4
                                        ;           Child Loop BB6_22 Depth 5
                                        ;         Child Loop BB6_27 Depth 4
                                        ;           Child Loop BB6_29 Depth 5
	s_getpc_b64 s[18:19]
	s_sext_i32_i16 s19, s19
	s_add_co_u32 s18, s18, __const._ZL38rocblas_trsm_small_left_device_sharedBILi8ELi8ELb0EffPKPKfPKPfEv13rocblas_fill_18rocblas_operation_17rocblas_diagonal_iiT3_T4_lilT5_lili.step_sizes@rel32@lo+8
	s_add_co_ci_u32 s19, s19, __const._ZL38rocblas_trsm_small_left_device_sharedBILi8ELi8ELb0EffPKPKfPKPfEv13rocblas_fill_18rocblas_operation_17rocblas_diagonal_iiT3_T4_lilT5_lili.step_sizes@rel32@hi+16
	s_lshl_b64 s[20:21], s[16:17], 2
	s_wait_alu 0xfffe
	s_add_nc_u64 s[18:19], s[18:19], s[20:21]
	s_load_b32 s31, s[18:19], 0x0
	s_wait_kmcnt 0x0
	s_add_co_i32 s33, s31, -1
	s_wait_alu 0xfffe
	s_add_co_i32 s18, s33, s3
	s_delay_alu instid0(SALU_CYCLE_1)
	s_cmp_ge_i32 s18, s25
	s_cbranch_scc1 .LBB6_30
; %bb.15:                               ;   in Loop: Header=BB6_14 Depth=2
	s_lshl_b32 s34, s3, 5
	s_max_i32 s35, s31, 1
	s_wait_alu 0xfffe
	v_add_nc_u32_e32 v25, s34, v21
	s_lshl_b32 s36, s31, 5
	s_mul_i32 s37, s3, 36
	s_mul_i32 s38, s31, 36
	s_branch .LBB6_17
.LBB6_16:                               ;   in Loop: Header=BB6_17 Depth=3
	s_add_co_i32 s3, s3, s31
	v_add_nc_u32_e32 v25, s36, v25
	s_wait_alu 0xfffe
	s_add_co_i32 s18, s33, s3
	s_add_co_i32 s34, s34, s36
	;; [unrolled: 1-line block ×3, first 2 shown]
	s_cmp_ge_i32 s18, s25
	s_cbranch_scc1 .LBB6_30
.LBB6_17:                               ;   Parent Loop BB6_3 Depth=1
                                        ;     Parent Loop BB6_14 Depth=2
                                        ; =>    This Loop Header: Depth=3
                                        ;         Child Loop BB6_18 Depth 4
                                        ;         Child Loop BB6_21 Depth 4
                                        ;           Child Loop BB6_22 Depth 5
                                        ;         Child Loop BB6_27 Depth 4
                                        ;           Child Loop BB6_29 Depth 5
	v_mov_b32_e32 v26, v25
	s_mov_b64 s[18:19], 0
.LBB6_18:                               ;   Parent Loop BB6_3 Depth=1
                                        ;     Parent Loop BB6_14 Depth=2
                                        ;       Parent Loop BB6_17 Depth=3
                                        ; =>      This Inner Loop Header: Depth=4
	ds_load_b32 v27, v26
	v_add_nc_u32_e32 v26, 32, v26
	s_mov_b32 m0, s18
	s_add_nc_u64 s[18:19], s[18:19], 1
	s_delay_alu instid0(SALU_CYCLE_1)
	s_cmp_eq_u32 s35, s18
	s_wait_dscnt 0x0
	v_movreld_b32_e32 v10, v27
	s_cbranch_scc0 .LBB6_18
; %bb.19:                               ;   in Loop: Header=BB6_17 Depth=3
	s_cmp_lt_i32 s3, 1
	s_cbranch_scc1 .LBB6_24
; %bb.20:                               ;   in Loop: Header=BB6_17 Depth=3
	s_mov_b32 s20, 0
	s_wait_alu 0xfffe
	s_mov_b32 s21, s34
.LBB6_21:                               ;   Parent Loop BB6_3 Depth=1
                                        ;     Parent Loop BB6_14 Depth=2
                                        ;       Parent Loop BB6_17 Depth=3
                                        ; =>      This Loop Header: Depth=4
                                        ;           Child Loop BB6_22 Depth 5
	s_wait_alu 0xfffe
	v_lshl_add_u32 v26, s20, 5, v21
	s_mov_b64 s[18:19], 0
	s_mov_b32 s22, s21
	ds_load_b32 v26, v26
.LBB6_22:                               ;   Parent Loop BB6_3 Depth=1
                                        ;     Parent Loop BB6_14 Depth=2
                                        ;       Parent Loop BB6_17 Depth=3
                                        ;         Parent Loop BB6_21 Depth=4
                                        ; =>        This Inner Loop Header: Depth=5
	s_wait_alu 0xfffe
	v_mov_b32_e32 v27, s22
	s_mov_b32 m0, s18
	s_add_nc_u64 s[18:19], s[18:19], 1
	v_movrels_b32_e32 v28, v10
	s_add_co_i32 s22, s22, 32
	ds_load_b32 v27, v27
	s_cmp_eq_u32 s35, s18
	s_wait_dscnt 0x0
	v_fma_f32 v27, -v26, v27, v28
	s_delay_alu instid0(VALU_DEP_1)
	v_movreld_b32_e32 v10, v27
	s_cbranch_scc0 .LBB6_22
; %bb.23:                               ;   in Loop: Header=BB6_21 Depth=4
	s_add_co_i32 s20, s20, 1
	s_add_co_i32 s21, s21, 4
	s_wait_alu 0xfffe
	s_cmp_eq_u32 s20, s3
	s_cbranch_scc0 .LBB6_21
.LBB6_24:                               ;   in Loop: Header=BB6_17 Depth=3
	s_lshl_b32 s39, s3, 5
	s_mov_b64 s[18:19], 0
	s_wait_alu 0xfffe
	s_mov_b32 s40, s37
	s_branch .LBB6_27
.LBB6_25:                               ;   in Loop: Header=BB6_27 Depth=4
	s_mov_b32 s42, s3
	s_mov_b64 s[20:21], 0
	s_mov_b32 s41, s39
.LBB6_26:                               ;   in Loop: Header=BB6_27 Depth=4
	s_wait_alu 0xfffe
	s_mov_b32 m0, s20
	s_mul_i32 s20, s42, 36
	v_movrels_b32_e32 v27, v10
	s_wait_alu 0xfffe
	v_mov_b32_e32 v26, s20
	s_add_nc_u64 s[18:19], s[18:19], 1
	s_add_co_i32 s40, s40, 32
	s_cmp_eq_u32 s18, s35
	ds_load_b32 v26, v26
	s_wait_dscnt 0x0
	v_dual_mul_f32 v26, v27, v26 :: v_dual_add_nc_u32 v27, s41, v21
	s_delay_alu instid0(VALU_DEP_1)
	v_movreld_b32_e32 v10, v26
	ds_store_b32 v27, v26
	s_cbranch_scc1 .LBB6_16
.LBB6_27:                               ;   Parent Loop BB6_3 Depth=1
                                        ;     Parent Loop BB6_14 Depth=2
                                        ;       Parent Loop BB6_17 Depth=3
                                        ; =>      This Loop Header: Depth=4
                                        ;           Child Loop BB6_29 Depth 5
	s_cmp_eq_u32 s18, 0
	s_cbranch_scc1 .LBB6_25
; %bb.28:                               ;   in Loop: Header=BB6_27 Depth=4
	s_add_co_i32 s42, s18, s3
	s_mov_b64 s[20:21], s[18:19]
	s_mov_b64 s[22:23], 0
	s_lshl_b32 s41, s42, 5
	s_wait_alu 0xfffe
	s_mov_b32 s21, s40
.LBB6_29:                               ;   Parent Loop BB6_3 Depth=1
                                        ;     Parent Loop BB6_14 Depth=2
                                        ;       Parent Loop BB6_17 Depth=3
                                        ;         Parent Loop BB6_27 Depth=4
                                        ; =>        This Inner Loop Header: Depth=5
	s_wait_alu 0xfffe
	v_mov_b32_e32 v26, s21
	s_mov_b32 m0, s22
	s_add_nc_u64 s[22:23], s[22:23], 1
	v_movrels_b32_e32 v27, v10
	s_mov_b32 m0, s18
	ds_load_b32 v26, v26
	v_movrels_b32_e32 v28, v10
	s_add_co_i32 s21, s21, 4
	s_wait_alu 0xfffe
	s_cmp_eq_u32 s18, s22
	s_wait_dscnt 0x0
	v_fma_f32 v26, -v27, v26, v28
	s_delay_alu instid0(VALU_DEP_1)
	v_movreld_b32_e32 v10, v26
	s_cbranch_scc0 .LBB6_29
	s_branch .LBB6_26
.LBB6_30:                               ;   in Loop: Header=BB6_14 Depth=2
	s_cmp_lt_i32 s3, s25
	s_cselect_b32 s19, -1, 0
	s_add_co_i32 s18, s16, 1
	s_cmp_lt_u32 s16, 2
	s_cselect_b32 s16, -1, 0
	s_delay_alu instid0(SALU_CYCLE_1) | instskip(NEXT) | instid1(SALU_CYCLE_1)
	s_and_b32 s16, s19, s16
	s_and_b32 vcc_lo, exec_lo, s16
	s_wait_alu 0xfffe
	s_cbranch_vccz .LBB6_32
; %bb.31:                               ;   in Loop: Header=BB6_14 Depth=2
	s_mov_b32 s16, s18
	s_branch .LBB6_14
.LBB6_32:                               ;   in Loop: Header=BB6_3 Depth=1
	s_mov_b32 s3, 0
.LBB6_33:                               ;   in Loop: Header=BB6_3 Depth=1
	s_wait_alu 0xfffe
	s_and_b32 vcc_lo, exec_lo, s3
	s_wait_alu 0xfffe
	s_cbranch_vccz .LBB6_54
; %bb.34:                               ;   in Loop: Header=BB6_3 Depth=1
	s_mov_b32 s16, 0
	s_mov_b32 s3, s26
.LBB6_35:                               ;   Parent Loop BB6_3 Depth=1
                                        ; =>  This Loop Header: Depth=2
                                        ;       Child Loop BB6_38 Depth 3
                                        ;         Child Loop BB6_39 Depth 4
                                        ;         Child Loop BB6_41 Depth 4
                                        ;           Child Loop BB6_42 Depth 5
                                        ;         Child Loop BB6_47 Depth 4
                                        ;           Child Loop BB6_49 Depth 5
	s_getpc_b64 s[18:19]
	s_sext_i32_i16 s19, s19
	s_add_co_u32 s18, s18, __const._ZL38rocblas_trsm_small_left_device_sharedBILi8ELi8ELb0EffPKPKfPKPfEv13rocblas_fill_18rocblas_operation_17rocblas_diagonal_iiT3_T4_lilT5_lili.step_sizes@rel32@lo+8
	s_add_co_ci_u32 s19, s19, __const._ZL38rocblas_trsm_small_left_device_sharedBILi8ELi8ELb0EffPKPKfPKPfEv13rocblas_fill_18rocblas_operation_17rocblas_diagonal_iiT3_T4_lilT5_lili.step_sizes@rel32@hi+16
	s_lshl_b64 s[20:21], s[16:17], 2
	s_wait_alu 0xfffe
	s_add_nc_u64 s[18:19], s[18:19], s[20:21]
	s_load_b32 s22, s[18:19], 0x0
	s_wait_kmcnt 0x0
	s_add_co_i32 s23, s22, -1
	s_wait_alu 0xfffe
	s_cmp_lt_i32 s3, s23
	s_cbranch_scc1 .LBB6_51
; %bb.36:                               ;   in Loop: Header=BB6_35 Depth=2
	s_lshl_b32 s18, s22, 5
	v_lshl_add_u32 v10, s3, 5, v21
	s_sub_co_i32 s33, 0, s18
	s_lshl_b32 s18, s3, 2
	s_lshl_b32 s19, s22, 2
	s_max_i32 s31, s22, 1
	s_add_co_i32 s34, s30, s18
	s_sub_co_i32 s35, 0, s19
	s_mul_i32 s36, s3, 36
	s_mul_i32 s37, s22, 0xffffffdc
	s_branch .LBB6_38
.LBB6_37:                               ;   in Loop: Header=BB6_38 Depth=3
	v_add_nc_u32_e32 v10, s33, v10
	s_sub_co_i32 s3, s3, s22
	s_add_co_i32 s34, s34, s35
	s_add_co_i32 s36, s36, s37
	s_wait_alu 0xfffe
	s_cmp_lt_i32 s3, s23
	s_cbranch_scc1 .LBB6_51
.LBB6_38:                               ;   Parent Loop BB6_3 Depth=1
                                        ;     Parent Loop BB6_35 Depth=2
                                        ; =>    This Loop Header: Depth=3
                                        ;         Child Loop BB6_39 Depth 4
                                        ;         Child Loop BB6_41 Depth 4
                                        ;           Child Loop BB6_42 Depth 5
                                        ;         Child Loop BB6_47 Depth 4
                                        ;           Child Loop BB6_49 Depth 5
	v_mov_b32_e32 v11, v10
	s_mov_b64 s[18:19], 0
.LBB6_39:                               ;   Parent Loop BB6_3 Depth=1
                                        ;     Parent Loop BB6_35 Depth=2
                                        ;       Parent Loop BB6_38 Depth=3
                                        ; =>      This Inner Loop Header: Depth=4
	ds_load_b32 v12, v11
	v_subrev_nc_u32_e32 v11, 32, v11
	s_mov_b32 m0, s18
	s_add_nc_u64 s[18:19], s[18:19], 1
	s_delay_alu instid0(SALU_CYCLE_1)
	s_cmp_eq_u32 s31, s18
	s_wait_dscnt 0x0
	v_movreld_b32_e32 v2, v12
	s_cbranch_scc0 .LBB6_39
; %bb.40:                               ;   in Loop: Header=BB6_38 Depth=3
	s_cmp_le_i32 s26, s3
	s_wait_alu 0xfffe
	s_mov_b32 s20, s34
	s_mov_b32 s21, s26
	s_cbranch_scc1 .LBB6_44
.LBB6_41:                               ;   Parent Loop BB6_3 Depth=1
                                        ;     Parent Loop BB6_35 Depth=2
                                        ;       Parent Loop BB6_38 Depth=3
                                        ; =>      This Loop Header: Depth=4
                                        ;           Child Loop BB6_42 Depth 5
	s_wait_alu 0xfffe
	v_lshl_add_u32 v11, s21, 5, v21
	s_mov_b64 s[18:19], 0
	s_mov_b32 s38, s20
	ds_load_b32 v11, v11
.LBB6_42:                               ;   Parent Loop BB6_3 Depth=1
                                        ;     Parent Loop BB6_35 Depth=2
                                        ;       Parent Loop BB6_38 Depth=3
                                        ;         Parent Loop BB6_41 Depth=4
                                        ; =>        This Inner Loop Header: Depth=5
	s_wait_alu 0xfffe
	v_mov_b32_e32 v12, s38
	s_mov_b32 m0, s18
	s_add_nc_u64 s[18:19], s[18:19], 1
	v_movrels_b32_e32 v13, v2
	s_add_co_i32 s38, s38, -4
	ds_load_b32 v12, v12
	s_cmp_eq_u32 s31, s18
	s_wait_dscnt 0x0
	v_fma_f32 v12, -v11, v12, v13
	s_delay_alu instid0(VALU_DEP_1)
	v_movreld_b32_e32 v2, v12
	s_cbranch_scc0 .LBB6_42
; %bb.43:                               ;   in Loop: Header=BB6_41 Depth=4
	s_add_co_i32 s21, s21, -1
	s_sub_co_i32 s20, s20, 32
	s_wait_alu 0xfffe
	s_cmp_le_i32 s21, s3
	s_cbranch_scc0 .LBB6_41
.LBB6_44:                               ;   in Loop: Header=BB6_38 Depth=3
	s_mov_b64 s[18:19], 0
	s_mov_b32 s38, s36
	s_branch .LBB6_47
.LBB6_45:                               ;   in Loop: Header=BB6_47 Depth=4
	s_mov_b32 s39, s3
	s_mov_b64 s[20:21], 0
.LBB6_46:                               ;   in Loop: Header=BB6_47 Depth=4
	s_wait_alu 0xfffe
	s_mov_b32 m0, s20
	s_mul_i32 s20, s39, 36
	v_movrels_b32_e32 v12, v2
	s_wait_alu 0xfffe
	v_mov_b32_e32 v11, s20
	s_add_nc_u64 s[18:19], s[18:19], 1
	s_add_co_i32 s38, s38, -4
	s_cmp_eq_u32 s18, s31
	ds_load_b32 v11, v11
	s_wait_dscnt 0x0
	v_mul_f32_e32 v11, v12, v11
	v_lshl_add_u32 v12, s39, 5, v21
	s_delay_alu instid0(VALU_DEP_2)
	v_movreld_b32_e32 v2, v11
	ds_store_b32 v12, v11
	s_cbranch_scc1 .LBB6_37
.LBB6_47:                               ;   Parent Loop BB6_3 Depth=1
                                        ;     Parent Loop BB6_35 Depth=2
                                        ;       Parent Loop BB6_38 Depth=3
                                        ; =>      This Loop Header: Depth=4
                                        ;           Child Loop BB6_49 Depth 5
	s_cmp_eq_u32 s18, 0
	s_cbranch_scc1 .LBB6_45
; %bb.48:                               ;   in Loop: Header=BB6_47 Depth=4
	s_sub_co_i32 s39, s3, s18
	s_mov_b64 s[20:21], 0
	s_wait_alu 0xfffe
	s_mov_b32 s40, s38
.LBB6_49:                               ;   Parent Loop BB6_3 Depth=1
                                        ;     Parent Loop BB6_35 Depth=2
                                        ;       Parent Loop BB6_38 Depth=3
                                        ;         Parent Loop BB6_47 Depth=4
                                        ; =>        This Inner Loop Header: Depth=5
	s_wait_alu 0xfffe
	v_mov_b32_e32 v11, s40
	s_mov_b32 m0, s20
	s_add_nc_u64 s[20:21], s[20:21], 1
	v_movrels_b32_e32 v12, v2
	s_mov_b32 m0, s18
	ds_load_b32 v11, v11
	v_movrels_b32_e32 v13, v2
	s_sub_co_i32 s40, s40, 32
	s_wait_alu 0xfffe
	s_cmp_eq_u32 s18, s20
	s_wait_dscnt 0x0
	v_fma_f32 v11, -v12, v11, v13
	s_delay_alu instid0(VALU_DEP_1)
	v_movreld_b32_e32 v2, v11
	s_cbranch_scc0 .LBB6_49
; %bb.50:                               ;   in Loop: Header=BB6_47 Depth=4
	s_mov_b64 s[20:21], s[18:19]
	s_branch .LBB6_46
.LBB6_51:                               ;   in Loop: Header=BB6_35 Depth=2
	s_cmp_gt_i32 s3, -1
	s_cselect_b32 s19, -1, 0
	s_add_co_i32 s18, s16, 1
	s_cmp_lt_u32 s16, 2
	s_cselect_b32 s16, -1, 0
	s_delay_alu instid0(SALU_CYCLE_1) | instskip(NEXT) | instid1(SALU_CYCLE_1)
	s_and_b32 s16, s19, s16
	s_and_not1_b32 vcc_lo, exec_lo, s16
	s_wait_alu 0xfffe
	s_cbranch_vccnz .LBB6_53
; %bb.52:                               ;   in Loop: Header=BB6_35 Depth=2
	s_mov_b32 s16, s18
	s_branch .LBB6_35
.LBB6_53:                               ;   in Loop: Header=BB6_3 Depth=1
	v_dual_mov_b32 v17, v9 :: v_dual_mov_b32 v16, v8
	v_dual_mov_b32 v15, v7 :: v_dual_mov_b32 v14, v6
	;; [unrolled: 1-line block ×4, first 2 shown]
.LBB6_54:                               ;   in Loop: Header=BB6_3 Depth=1
	; wave barrier
	s_wait_loadcnt_dscnt 0x0
	global_inv scope:SCOPE_SE
	s_and_saveexec_b32 s3, s29
	s_cbranch_execz .LBB6_2
; %bb.55:                               ;   in Loop: Header=BB6_3 Depth=1
	v_add_co_u32 v2, vcc_lo, v23, v18
	s_wait_alu 0xfffd
	v_add_co_ci_u32_e64 v3, null, v24, v19, vcc_lo
	v_mov_b32_e32 v4, v21
	s_mov_b32 s16, s25
.LBB6_56:                               ;   Parent Loop BB6_3 Depth=1
                                        ; =>  This Inner Loop Header: Depth=2
	ds_load_b32 v5, v4
	v_add_nc_u32_e32 v4, 32, v4
	s_add_co_i32 s16, s16, -1
	s_delay_alu instid0(SALU_CYCLE_1)
	s_cmp_lg_u32 s16, 0
	s_wait_dscnt 0x0
	flat_store_b32 v[2:3], v5
	v_add_co_u32 v2, vcc_lo, v2, 4
	s_wait_alu 0xfffd
	v_add_co_ci_u32_e64 v3, null, 0, v3, vcc_lo
	s_cbranch_scc1 .LBB6_56
	s_branch .LBB6_2
.LBB6_57:
	s_endpgm
	.section	.rodata,"a",@progbits
	.p2align	6, 0x0
	.amdhsa_kernel _ZL38rocblas_trsm_small_left_device_sharedBILi8ELi8ELb0EffPKPKfPKPfEv13rocblas_fill_18rocblas_operation_17rocblas_diagonal_iiT3_T4_lilT5_lili
		.amdhsa_group_segment_fixed_size 512
		.amdhsa_private_segment_fixed_size 0
		.amdhsa_kernarg_size 352
		.amdhsa_user_sgpr_count 2
		.amdhsa_user_sgpr_dispatch_ptr 0
		.amdhsa_user_sgpr_queue_ptr 0
		.amdhsa_user_sgpr_kernarg_segment_ptr 1
		.amdhsa_user_sgpr_dispatch_id 0
		.amdhsa_user_sgpr_private_segment_size 0
		.amdhsa_wavefront_size32 1
		.amdhsa_uses_dynamic_stack 0
		.amdhsa_enable_private_segment 0
		.amdhsa_system_sgpr_workgroup_id_x 1
		.amdhsa_system_sgpr_workgroup_id_y 0
		.amdhsa_system_sgpr_workgroup_id_z 1
		.amdhsa_system_sgpr_workgroup_info 0
		.amdhsa_system_vgpr_workitem_id 0
		.amdhsa_next_free_vgpr 29
		.amdhsa_next_free_sgpr 43
		.amdhsa_reserve_vcc 1
		.amdhsa_float_round_mode_32 0
		.amdhsa_float_round_mode_16_64 0
		.amdhsa_float_denorm_mode_32 3
		.amdhsa_float_denorm_mode_16_64 3
		.amdhsa_fp16_overflow 0
		.amdhsa_workgroup_processor_mode 1
		.amdhsa_memory_ordered 1
		.amdhsa_forward_progress 1
		.amdhsa_inst_pref_size 18
		.amdhsa_round_robin_scheduling 0
		.amdhsa_exception_fp_ieee_invalid_op 0
		.amdhsa_exception_fp_denorm_src 0
		.amdhsa_exception_fp_ieee_div_zero 0
		.amdhsa_exception_fp_ieee_overflow 0
		.amdhsa_exception_fp_ieee_underflow 0
		.amdhsa_exception_fp_ieee_inexact 0
		.amdhsa_exception_int_div_zero 0
	.end_amdhsa_kernel
	.section	.text._ZL38rocblas_trsm_small_left_device_sharedBILi8ELi8ELb0EffPKPKfPKPfEv13rocblas_fill_18rocblas_operation_17rocblas_diagonal_iiT3_T4_lilT5_lili,"axG",@progbits,_ZL38rocblas_trsm_small_left_device_sharedBILi8ELi8ELb0EffPKPKfPKPfEv13rocblas_fill_18rocblas_operation_17rocblas_diagonal_iiT3_T4_lilT5_lili,comdat
.Lfunc_end6:
	.size	_ZL38rocblas_trsm_small_left_device_sharedBILi8ELi8ELb0EffPKPKfPKPfEv13rocblas_fill_18rocblas_operation_17rocblas_diagonal_iiT3_T4_lilT5_lili, .Lfunc_end6-_ZL38rocblas_trsm_small_left_device_sharedBILi8ELi8ELb0EffPKPKfPKPfEv13rocblas_fill_18rocblas_operation_17rocblas_diagonal_iiT3_T4_lilT5_lili
                                        ; -- End function
	.set _ZL38rocblas_trsm_small_left_device_sharedBILi8ELi8ELb0EffPKPKfPKPfEv13rocblas_fill_18rocblas_operation_17rocblas_diagonal_iiT3_T4_lilT5_lili.num_vgpr, 29
	.set _ZL38rocblas_trsm_small_left_device_sharedBILi8ELi8ELb0EffPKPKfPKPfEv13rocblas_fill_18rocblas_operation_17rocblas_diagonal_iiT3_T4_lilT5_lili.num_agpr, 0
	.set _ZL38rocblas_trsm_small_left_device_sharedBILi8ELi8ELb0EffPKPKfPKPfEv13rocblas_fill_18rocblas_operation_17rocblas_diagonal_iiT3_T4_lilT5_lili.numbered_sgpr, 43
	.set _ZL38rocblas_trsm_small_left_device_sharedBILi8ELi8ELb0EffPKPKfPKPfEv13rocblas_fill_18rocblas_operation_17rocblas_diagonal_iiT3_T4_lilT5_lili.num_named_barrier, 0
	.set _ZL38rocblas_trsm_small_left_device_sharedBILi8ELi8ELb0EffPKPKfPKPfEv13rocblas_fill_18rocblas_operation_17rocblas_diagonal_iiT3_T4_lilT5_lili.private_seg_size, 0
	.set _ZL38rocblas_trsm_small_left_device_sharedBILi8ELi8ELb0EffPKPKfPKPfEv13rocblas_fill_18rocblas_operation_17rocblas_diagonal_iiT3_T4_lilT5_lili.uses_vcc, 1
	.set _ZL38rocblas_trsm_small_left_device_sharedBILi8ELi8ELb0EffPKPKfPKPfEv13rocblas_fill_18rocblas_operation_17rocblas_diagonal_iiT3_T4_lilT5_lili.uses_flat_scratch, 0
	.set _ZL38rocblas_trsm_small_left_device_sharedBILi8ELi8ELb0EffPKPKfPKPfEv13rocblas_fill_18rocblas_operation_17rocblas_diagonal_iiT3_T4_lilT5_lili.has_dyn_sized_stack, 0
	.set _ZL38rocblas_trsm_small_left_device_sharedBILi8ELi8ELb0EffPKPKfPKPfEv13rocblas_fill_18rocblas_operation_17rocblas_diagonal_iiT3_T4_lilT5_lili.has_recursion, 0
	.set _ZL38rocblas_trsm_small_left_device_sharedBILi8ELi8ELb0EffPKPKfPKPfEv13rocblas_fill_18rocblas_operation_17rocblas_diagonal_iiT3_T4_lilT5_lili.has_indirect_call, 0
	.section	.AMDGPU.csdata,"",@progbits
; Kernel info:
; codeLenInByte = 2272
; TotalNumSgprs: 45
; NumVgprs: 29
; ScratchSize: 0
; MemoryBound: 0
; FloatMode: 240
; IeeeMode: 1
; LDSByteSize: 512 bytes/workgroup (compile time only)
; SGPRBlocks: 0
; VGPRBlocks: 3
; NumSGPRsForWavesPerEU: 45
; NumVGPRsForWavesPerEU: 29
; Occupancy: 16
; WaveLimiterHint : 0
; COMPUTE_PGM_RSRC2:SCRATCH_EN: 0
; COMPUTE_PGM_RSRC2:USER_SGPR: 2
; COMPUTE_PGM_RSRC2:TRAP_HANDLER: 0
; COMPUTE_PGM_RSRC2:TGID_X_EN: 1
; COMPUTE_PGM_RSRC2:TGID_Y_EN: 0
; COMPUTE_PGM_RSRC2:TGID_Z_EN: 1
; COMPUTE_PGM_RSRC2:TIDIG_COMP_CNT: 0
	.section	.text._ZL30rocblas_trsm_small_left_deviceILi8ELi8ELb0EffPKPKfPKPfEv13rocblas_fill_18rocblas_operation_17rocblas_diagonal_iiT3_T4_lilT5_lili,"axG",@progbits,_ZL30rocblas_trsm_small_left_deviceILi8ELi8ELb0EffPKPKfPKPfEv13rocblas_fill_18rocblas_operation_17rocblas_diagonal_iiT3_T4_lilT5_lili,comdat
	.globl	_ZL30rocblas_trsm_small_left_deviceILi8ELi8ELb0EffPKPKfPKPfEv13rocblas_fill_18rocblas_operation_17rocblas_diagonal_iiT3_T4_lilT5_lili ; -- Begin function _ZL30rocblas_trsm_small_left_deviceILi8ELi8ELb0EffPKPKfPKPfEv13rocblas_fill_18rocblas_operation_17rocblas_diagonal_iiT3_T4_lilT5_lili
	.p2align	8
	.type	_ZL30rocblas_trsm_small_left_deviceILi8ELi8ELb0EffPKPKfPKPfEv13rocblas_fill_18rocblas_operation_17rocblas_diagonal_iiT3_T4_lilT5_lili,@function
_ZL30rocblas_trsm_small_left_deviceILi8ELi8ELb0EffPKPKfPKPfEv13rocblas_fill_18rocblas_operation_17rocblas_diagonal_iiT3_T4_lilT5_lili: ; @_ZL30rocblas_trsm_small_left_deviceILi8ELi8ELb0EffPKPKfPKPfEv13rocblas_fill_18rocblas_operation_17rocblas_diagonal_iiT3_T4_lilT5_lili
; %bb.0:
	s_load_b32 s33, s[0:1], 0x58
	s_lshr_b32 s2, ttmp7, 16
	s_wait_kmcnt 0x0
	s_cmp_ge_u32 s2, s33
	s_cbranch_scc1 .LBB7_53
; %bb.1:
	s_clause 0x6
	s_load_b32 s16, s[0:1], 0x28
	s_load_b128 s[12:15], s[0:1], 0x4
	s_load_b32 s3, s[0:1], 0x60
	s_load_b32 s18, s[0:1], 0x48
	s_load_b128 s[4:7], s[0:1], 0x18
	s_load_b128 s[8:11], s[0:1], 0x38
	s_load_b32 s34, s[0:1], 0x14
	s_lshl_b32 s0, ttmp9, 3
	v_dual_mov_b32 v1, 0 :: v_dual_lshlrev_b32 v26, 2, v0
	v_or_b32_e32 v2, s0, v0
	v_lshlrev_b32_e32 v9, 5, v0
	s_mov_b32 s40, 0
	s_delay_alu instid0(VALU_DEP_3)
	v_dual_mov_b32 v7, v1 :: v_dual_mov_b32 v8, v1
	v_dual_mov_b32 v5, v1 :: v_dual_mov_b32 v6, v1
	v_mov_b32_e32 v4, v1
	s_wait_kmcnt 0x0
	s_ashr_i32 s17, s16, 31
	s_min_i32 s35, s14, 8
	s_add_co_i32 s3, s3, -1
	v_mad_co_i64_i32 v[2:3], null, s18, v2, 0
	s_sub_co_i32 s0, s15, s0
	s_add_co_i32 s36, s35, -1
	s_wait_alu 0xfffe
	s_cmp_ge_u32 ttmp9, s3
	s_mov_b32 s15, 0
	s_cselect_b32 s1, s0, 8
	s_cmp_lg_u32 s13, 0x84
	v_lshlrev_b64_e32 v[18:19], 2, v[2:3]
	s_cselect_b32 s37, -1, 0
	s_cmp_lg_u32 s12, 0x6f
	v_mov_b32_e32 v2, v1
	s_cselect_b32 s38, -1, 0
	s_lshl_b64 s[10:11], s[10:11], 2
	v_mov_b32_e32 v3, v1
	v_add_co_u32 v27, vcc_lo, v18, s10
	v_cmp_gt_i32_e64 s0, s35, v0
	s_wait_alu 0xfffe
	v_cmp_gt_i32_e64 s1, s1, v0
	v_lshlrev_b32_e32 v0, 2, v0
	v_add_nc_u32_e32 v29, v26, v9
	v_mov_b32_e32 v9, v8
	v_add_co_ci_u32_e64 v28, null, s11, v19, vcc_lo
	v_mov_b32_e32 v8, v7
	v_mov_b32_e32 v7, v6
	;; [unrolled: 1-line block ×7, first 2 shown]
	s_lshl_b32 s3, s35, 5
	s_lshl_b64 s[12:13], s[16:17], 2
	s_sub_co_i32 s39, s3, 32
	s_lshl_b64 s[6:7], s[6:7], 2
	s_branch .LBB7_5
.LBB7_2:                                ;   in Loop: Header=BB7_5 Depth=1
	v_dual_mov_b32 v17, v9 :: v_dual_mov_b32 v16, v8
	v_dual_mov_b32 v15, v7 :: v_dual_mov_b32 v14, v6
	;; [unrolled: 1-line block ×4, first 2 shown]
.LBB7_3:                                ;   in Loop: Header=BB7_5 Depth=1
	s_add_co_i32 s2, s2, 0x10000
	s_delay_alu instid0(SALU_CYCLE_1) | instskip(SKIP_1) | instid1(SALU_CYCLE_1)
	s_cmp_ge_u32 s2, s33
	s_cselect_b32 s14, -1, 0
	s_or_not1_b32 s14, s14, exec_lo
.LBB7_4:                                ;   in Loop: Header=BB7_5 Depth=1
	s_or_b32 exec_lo, exec_lo, s3
	v_dual_mov_b32 v2, v10 :: v_dual_mov_b32 v3, v11
	v_dual_mov_b32 v4, v12 :: v_dual_mov_b32 v5, v13
	;; [unrolled: 1-line block ×4, first 2 shown]
	s_and_b32 s3, exec_lo, s14
	s_delay_alu instid0(SALU_CYCLE_1) | instskip(NEXT) | instid1(SALU_CYCLE_1)
	s_or_b32 s40, s3, s40
	s_and_not1_b32 exec_lo, exec_lo, s40
	s_cbranch_execz .LBB7_53
.LBB7_5:                                ; =>This Loop Header: Depth=1
                                        ;     Child Loop BB7_7 Depth 2
                                        ;     Child Loop BB7_14 Depth 2
                                        ;       Child Loop BB7_17 Depth 3
                                        ;         Child Loop BB7_18 Depth 4
                                        ;         Child Loop BB7_21 Depth 4
                                        ;           Child Loop BB7_22 Depth 5
                                        ;         Child Loop BB7_27 Depth 4
                                        ;           Child Loop BB7_29 Depth 5
                                        ;     Child Loop BB7_35 Depth 2
                                        ;       Child Loop BB7_38 Depth 3
                                        ;         Child Loop BB7_39 Depth 4
                                        ;         Child Loop BB7_41 Depth 4
                                        ;           Child Loop BB7_42 Depth 5
                                        ;         Child Loop BB7_47 Depth 4
                                        ;           Child Loop BB7_49 Depth 5
	s_mov_b32 s3, s15
	s_delay_alu instid0(SALU_CYCLE_1) | instskip(NEXT) | instid1(SALU_CYCLE_1)
	s_lshl_b64 s[16:17], s[2:3], 3
	s_add_nc_u64 s[18:19], s[8:9], s[16:17]
	global_load_b64 v[20:21], v1, s[18:19]
	s_and_saveexec_b32 s3, s0
	s_cbranch_execz .LBB7_11
; %bb.6:                                ;   in Loop: Header=BB7_5 Depth=1
	s_add_nc_u64 s[16:17], s[4:5], s[16:17]
	v_mov_b32_e32 v12, v26
	global_load_b64 v[10:11], v1, s[16:17]
	s_mov_b32 s14, s35
	s_wait_loadcnt 0x0
	v_add_co_u32 v10, vcc_lo, v10, s6
	s_wait_alu 0xfffd
	v_add_co_ci_u32_e64 v11, null, s7, v11, vcc_lo
	s_delay_alu instid0(VALU_DEP_2) | instskip(SKIP_1) | instid1(VALU_DEP_2)
	v_add_co_u32 v10, vcc_lo, v10, v0
	s_wait_alu 0xfffd
	v_add_co_ci_u32_e64 v11, null, 0, v11, vcc_lo
.LBB7_7:                                ;   Parent Loop BB7_5 Depth=1
                                        ; =>  This Inner Loop Header: Depth=2
	flat_load_b32 v13, v[10:11]
	v_add_co_u32 v10, vcc_lo, v10, s12
	s_wait_alu 0xfffd
	v_add_co_ci_u32_e64 v11, null, s13, v11, vcc_lo
	s_add_co_i32 s14, s14, -1
	s_delay_alu instid0(SALU_CYCLE_1)
	s_cmp_eq_u32 s14, 0
	s_wait_loadcnt_dscnt 0x0
	ds_store_b32 v12, v13
	v_add_nc_u32_e32 v12, 32, v12
	s_cbranch_scc0 .LBB7_7
; %bb.8:                                ;   in Loop: Header=BB7_5 Depth=1
	v_mov_b32_e32 v10, 1.0
	s_and_b32 vcc_lo, exec_lo, s37
	s_wait_alu 0xfffe
	s_cbranch_vccz .LBB7_10
; %bb.9:                                ;   in Loop: Header=BB7_5 Depth=1
	ds_load_b32 v10, v29
	s_wait_dscnt 0x0
	v_div_scale_f32 v11, null, v10, v10, 1.0
	s_delay_alu instid0(VALU_DEP_1) | instskip(NEXT) | instid1(TRANS32_DEP_1)
	v_rcp_f32_e32 v12, v11
	v_fma_f32 v13, -v11, v12, 1.0
	s_delay_alu instid0(VALU_DEP_1) | instskip(SKIP_1) | instid1(VALU_DEP_1)
	v_fmac_f32_e32 v12, v13, v12
	v_div_scale_f32 v13, vcc_lo, 1.0, v10, 1.0
	v_mul_f32_e32 v14, v13, v12
	s_delay_alu instid0(VALU_DEP_1) | instskip(NEXT) | instid1(VALU_DEP_1)
	v_fma_f32 v15, -v11, v14, v13
	v_fmac_f32_e32 v14, v15, v12
	s_delay_alu instid0(VALU_DEP_1) | instskip(SKIP_1) | instid1(VALU_DEP_1)
	v_fma_f32 v11, -v11, v14, v13
	s_wait_alu 0xfffd
	v_div_fmas_f32 v11, v11, v12, v14
	s_delay_alu instid0(VALU_DEP_1)
	v_div_fixup_f32 v10, v11, v10, 1.0
.LBB7_10:                               ;   in Loop: Header=BB7_5 Depth=1
	ds_store_b32 v29, v10
.LBB7_11:                               ;   in Loop: Header=BB7_5 Depth=1
	s_or_b32 exec_lo, exec_lo, s3
	s_mov_b32 s14, -1
	; wave barrier
	s_wait_loadcnt_dscnt 0x0
	global_inv scope:SCOPE_SE
                                        ; implicit-def: $vgpr10_vgpr11_vgpr12_vgpr13_vgpr14_vgpr15_vgpr16_vgpr17
	s_and_saveexec_b32 s3, s1
	s_cbranch_execz .LBB7_4
; %bb.12:                               ;   in Loop: Header=BB7_5 Depth=1
	v_add_co_u32 v10, vcc_lo, v20, s10
	s_wait_alu 0xfffd
	v_add_co_ci_u32_e64 v11, null, s11, v21, vcc_lo
	s_delay_alu instid0(VALU_DEP_2) | instskip(SKIP_1) | instid1(VALU_DEP_2)
	v_add_co_u32 v30, vcc_lo, v10, v18
	s_wait_alu 0xfffd
	v_add_co_ci_u32_e64 v31, null, v11, v19, vcc_lo
	s_and_not1_b32 vcc_lo, exec_lo, s38
                                        ; implicit-def: $vgpr10_vgpr11_vgpr12_vgpr13_vgpr14_vgpr15_vgpr16_vgpr17
	s_wait_alu 0xfffe
	s_cbranch_vccnz .LBB7_33
; %bb.13:                               ;   in Loop: Header=BB7_5 Depth=1
	v_add_co_u32 v32, vcc_lo, v20, v27
	v_dual_mov_b32 v17, v9 :: v_dual_mov_b32 v16, v8
	s_wait_alu 0xfffd
	v_add_co_ci_u32_e64 v33, null, v21, v28, vcc_lo
	v_dual_mov_b32 v15, v7 :: v_dual_mov_b32 v14, v6
	v_dual_mov_b32 v13, v5 :: v_dual_mov_b32 v12, v4
	;; [unrolled: 1-line block ×3, first 2 shown]
	s_mov_b32 s18, 0
	s_mov_b32 s16, 0
.LBB7_14:                               ;   Parent Loop BB7_5 Depth=1
                                        ; =>  This Loop Header: Depth=2
                                        ;       Child Loop BB7_17 Depth 3
                                        ;         Child Loop BB7_18 Depth 4
                                        ;         Child Loop BB7_21 Depth 4
                                        ;           Child Loop BB7_22 Depth 5
                                        ;         Child Loop BB7_27 Depth 4
                                        ;           Child Loop BB7_29 Depth 5
	s_mov_b32 s19, s15
	s_getpc_b64 s[20:21]
	s_wait_alu 0xfffe
	s_sext_i32_i16 s21, s21
	s_add_co_u32 s20, s20, __const._ZL30rocblas_trsm_small_left_deviceILi8ELi8ELb0EffPKPKfPKPfEv13rocblas_fill_18rocblas_operation_17rocblas_diagonal_iiT3_T4_lilT5_lili.step_sizes@rel32@lo+12
	s_wait_alu 0xfffe
	s_add_co_ci_u32 s21, s21, __const._ZL30rocblas_trsm_small_left_deviceILi8ELi8ELb0EffPKPKfPKPfEv13rocblas_fill_18rocblas_operation_17rocblas_diagonal_iiT3_T4_lilT5_lili.step_sizes@rel32@hi+24
	s_lshl_b64 s[22:23], s[18:19], 2
	s_wait_alu 0xfffe
	s_add_nc_u64 s[20:21], s[20:21], s[22:23]
	s_load_b32 s20, s[20:21], 0x0
	s_wait_kmcnt 0x0
	s_add_co_i32 s19, s20, -1
	s_wait_alu 0xfffe
	s_add_co_i32 s14, s19, s16
	s_delay_alu instid0(SALU_CYCLE_1)
	s_cmp_ge_i32 s14, s35
	s_cbranch_scc1 .LBB7_30
; %bb.15:                               ;   in Loop: Header=BB7_14 Depth=2
	s_ashr_i32 s17, s16, 31
	s_ashr_i32 s21, s20, 31
	s_lshl_b64 s[22:23], s[16:17], 2
	s_max_i32 s41, s20, 1
	s_wait_alu 0xfffe
	v_add_co_u32 v22, vcc_lo, v32, s22
	s_wait_alu 0xfffd
	v_add_co_ci_u32_e64 v23, null, s23, v33, vcc_lo
	s_lshl_b64 s[22:23], s[20:21], 2
	s_lshl_b32 s17, s16, 5
	s_lshl_b32 s21, s20, 5
	s_mul_i32 s42, s16, 36
	s_mul_i32 s43, s20, 36
	s_branch .LBB7_17
.LBB7_16:                               ;   in Loop: Header=BB7_17 Depth=3
	v_add_co_u32 v22, vcc_lo, v22, s22
	s_add_co_i32 s16, s16, s20
	s_wait_alu 0xfffd
	v_add_co_ci_u32_e64 v23, null, s23, v23, vcc_lo
	s_add_co_i32 s14, s19, s16
	s_add_co_i32 s17, s17, s21
	s_add_co_i32 s42, s42, s43
	s_cmp_ge_i32 s14, s35
	s_cbranch_scc1 .LBB7_30
.LBB7_17:                               ;   Parent Loop BB7_5 Depth=1
                                        ;     Parent Loop BB7_14 Depth=2
                                        ; =>    This Loop Header: Depth=3
                                        ;         Child Loop BB7_18 Depth 4
                                        ;         Child Loop BB7_21 Depth 4
                                        ;           Child Loop BB7_22 Depth 5
                                        ;         Child Loop BB7_27 Depth 4
                                        ;           Child Loop BB7_29 Depth 5
	v_dual_mov_b32 v25, v23 :: v_dual_mov_b32 v24, v22
	s_mov_b64 s[24:25], 0
.LBB7_18:                               ;   Parent Loop BB7_5 Depth=1
                                        ;     Parent Loop BB7_14 Depth=2
                                        ;       Parent Loop BB7_17 Depth=3
                                        ; =>      This Inner Loop Header: Depth=4
	flat_load_b32 v34, v[24:25]
	v_add_co_u32 v24, vcc_lo, v24, 4
	s_wait_alu 0xfffd
	v_add_co_ci_u32_e64 v25, null, 0, v25, vcc_lo
	s_wait_alu 0xfffe
	s_mov_b32 m0, s24
	s_add_nc_u64 s[24:25], s[24:25], 1
	s_wait_alu 0xfffe
	s_cmp_eq_u32 s41, s24
	s_wait_loadcnt_dscnt 0x0
	v_mul_f32_e32 v34, s34, v34
	s_delay_alu instid0(VALU_DEP_1)
	v_movreld_b32_e32 v10, v34
	s_cbranch_scc0 .LBB7_18
; %bb.19:                               ;   in Loop: Header=BB7_17 Depth=3
	s_cmp_lt_i32 s16, 1
	s_cbranch_scc1 .LBB7_24
; %bb.20:                               ;   in Loop: Header=BB7_17 Depth=3
	s_mov_b32 s14, 0
	s_mov_b32 s26, s17
.LBB7_21:                               ;   Parent Loop BB7_5 Depth=1
                                        ;     Parent Loop BB7_14 Depth=2
                                        ;       Parent Loop BB7_17 Depth=3
                                        ; =>      This Loop Header: Depth=4
                                        ;           Child Loop BB7_22 Depth 5
	s_lshl_b64 s[24:25], s[14:15], 2
	s_wait_alu 0xfffe
	s_mov_b32 s27, s26
	v_add_co_u32 v24, vcc_lo, v30, s24
	s_wait_alu 0xfffd
	v_add_co_ci_u32_e64 v25, null, s25, v31, vcc_lo
	s_mov_b64 s[24:25], 0
	flat_load_b32 v24, v[24:25]
.LBB7_22:                               ;   Parent Loop BB7_5 Depth=1
                                        ;     Parent Loop BB7_14 Depth=2
                                        ;       Parent Loop BB7_17 Depth=3
                                        ;         Parent Loop BB7_21 Depth=4
                                        ; =>        This Inner Loop Header: Depth=5
	s_wait_alu 0xfffe
	v_mov_b32_e32 v25, s27
	s_mov_b32 m0, s24
	s_add_nc_u64 s[24:25], s[24:25], 1
	v_movrels_b32_e32 v34, v10
	s_add_co_i32 s27, s27, 32
	ds_load_b32 v25, v25
	s_wait_alu 0xfffe
	s_cmp_eq_u32 s41, s24
	s_wait_loadcnt_dscnt 0x0
	v_fma_f32 v25, -v24, v25, v34
	s_delay_alu instid0(VALU_DEP_1)
	v_movreld_b32_e32 v10, v25
	s_cbranch_scc0 .LBB7_22
; %bb.23:                               ;   in Loop: Header=BB7_21 Depth=4
	s_add_co_i32 s14, s14, 1
	s_add_co_i32 s26, s26, 4
	s_cmp_eq_u32 s14, s16
	s_cbranch_scc0 .LBB7_21
.LBB7_24:                               ;   in Loop: Header=BB7_17 Depth=3
	s_mov_b64 s[24:25], 0
	s_mov_b32 s14, s42
	s_branch .LBB7_27
.LBB7_25:                               ;   in Loop: Header=BB7_27 Depth=4
	s_mov_b32 s26, s16
	s_mov_b64 s[28:29], 0
.LBB7_26:                               ;   in Loop: Header=BB7_27 Depth=4
	s_wait_alu 0xfffe
	s_mul_i32 s27, s26, 36
	s_mov_b32 m0, s28
	s_wait_alu 0xfffe
	v_mov_b32_e32 v24, s27
	v_movrels_b32_e32 v25, v10
	s_ashr_i32 s27, s26, 31
	s_add_nc_u64 s[24:25], s[24:25], 1
	s_wait_alu 0xfffe
	s_lshl_b64 s[26:27], s[26:27], 2
	ds_load_b32 v24, v24
	s_add_co_i32 s14, s14, 32
	s_cmp_eq_u32 s24, s41
	s_wait_dscnt 0x0
	v_mul_f32_e32 v34, v25, v24
	s_wait_alu 0xfffe
	v_add_co_u32 v24, vcc_lo, v30, s26
	s_wait_alu 0xfffd
	v_add_co_ci_u32_e64 v25, null, s27, v31, vcc_lo
	v_movreld_b32_e32 v10, v34
	flat_store_b32 v[24:25], v34
	s_cbranch_scc1 .LBB7_16
.LBB7_27:                               ;   Parent Loop BB7_5 Depth=1
                                        ;     Parent Loop BB7_14 Depth=2
                                        ;       Parent Loop BB7_17 Depth=3
                                        ; =>      This Loop Header: Depth=4
                                        ;           Child Loop BB7_29 Depth 5
	s_wait_alu 0xfffe
	s_cmp_eq_u32 s24, 0
	s_cbranch_scc1 .LBB7_25
; %bb.28:                               ;   in Loop: Header=BB7_27 Depth=4
	s_add_co_i32 s26, s24, s16
	s_mov_b64 s[30:31], 0
	s_mov_b64 s[28:29], s[24:25]
	s_mov_b32 s27, s14
.LBB7_29:                               ;   Parent Loop BB7_5 Depth=1
                                        ;     Parent Loop BB7_14 Depth=2
                                        ;       Parent Loop BB7_17 Depth=3
                                        ;         Parent Loop BB7_27 Depth=4
                                        ; =>        This Inner Loop Header: Depth=5
	s_wait_alu 0xfffe
	v_mov_b32_e32 v24, s27
	s_mov_b32 m0, s30
	s_add_nc_u64 s[30:31], s[30:31], 1
	v_movrels_b32_e32 v25, v10
	s_mov_b32 m0, s24
	ds_load_b32 v24, v24
	v_movrels_b32_e32 v34, v10
	s_add_co_i32 s27, s27, 4
	s_cmp_eq_u32 s24, s30
	s_wait_dscnt 0x0
	s_delay_alu instid0(VALU_DEP_1) | instskip(NEXT) | instid1(VALU_DEP_1)
	v_fma_f32 v24, -v25, v24, v34
	v_movreld_b32_e32 v10, v24
	s_cbranch_scc0 .LBB7_29
	s_branch .LBB7_26
.LBB7_30:                               ;   in Loop: Header=BB7_14 Depth=2
	s_cmp_lt_i32 s16, s35
	s_cselect_b32 s17, -1, 0
	s_add_co_i32 s14, s18, 1
	s_cmp_lt_u32 s18, 2
	s_cselect_b32 s18, -1, 0
	s_wait_alu 0xfffe
	s_and_b32 s17, s17, s18
	s_delay_alu instid0(SALU_CYCLE_1)
	s_and_b32 vcc_lo, exec_lo, s17
	s_wait_alu 0xfffe
	s_cbranch_vccz .LBB7_32
; %bb.31:                               ;   in Loop: Header=BB7_14 Depth=2
	s_mov_b32 s18, s14
	s_branch .LBB7_14
.LBB7_32:                               ;   in Loop: Header=BB7_5 Depth=1
	s_mov_b32 s14, 0
.LBB7_33:                               ;   in Loop: Header=BB7_5 Depth=1
	s_delay_alu instid0(SALU_CYCLE_1)
	s_and_b32 vcc_lo, exec_lo, s14
	s_wait_alu 0xfffe
	s_cbranch_vccz .LBB7_3
; %bb.34:                               ;   in Loop: Header=BB7_5 Depth=1
	v_add_co_u32 v12, vcc_lo, v20, v27
	s_wait_alu 0xfffd
	v_add_co_ci_u32_e64 v13, null, v21, v28, vcc_lo
	s_mov_b32 s14, 0
	s_mov_b32 s16, s36
.LBB7_35:                               ;   Parent Loop BB7_5 Depth=1
                                        ; =>  This Loop Header: Depth=2
                                        ;       Child Loop BB7_38 Depth 3
                                        ;         Child Loop BB7_39 Depth 4
                                        ;         Child Loop BB7_41 Depth 4
                                        ;           Child Loop BB7_42 Depth 5
                                        ;         Child Loop BB7_47 Depth 4
                                        ;           Child Loop BB7_49 Depth 5
	s_getpc_b64 s[18:19]
	s_wait_alu 0xfffe
	s_sext_i32_i16 s19, s19
	s_add_co_u32 s18, s18, __const._ZL30rocblas_trsm_small_left_deviceILi8ELi8ELb0EffPKPKfPKPfEv13rocblas_fill_18rocblas_operation_17rocblas_diagonal_iiT3_T4_lilT5_lili.step_sizes@rel32@lo+12
	s_wait_alu 0xfffe
	s_add_co_ci_u32 s19, s19, __const._ZL30rocblas_trsm_small_left_deviceILi8ELi8ELb0EffPKPKfPKPfEv13rocblas_fill_18rocblas_operation_17rocblas_diagonal_iiT3_T4_lilT5_lili.step_sizes@rel32@hi+24
	s_lshl_b64 s[20:21], s[14:15], 2
	s_wait_alu 0xfffe
	s_add_nc_u64 s[18:19], s[18:19], s[20:21]
	s_load_b32 s26, s[18:19], 0x0
	s_wait_kmcnt 0x0
	s_add_co_i32 s27, s26, -1
	s_wait_alu 0xfffe
	s_cmp_lt_i32 s16, s27
	s_cbranch_scc1 .LBB7_51
; %bb.36:                               ;   in Loop: Header=BB7_35 Depth=2
	s_lshl_b32 s17, s16, 2
	s_lshl_b32 s18, s26, 2
	s_max_i32 s28, s26, 1
	s_add_co_i32 s29, s39, s17
	s_wait_alu 0xfffe
	s_sub_co_i32 s30, 0, s18
	s_mul_i32 s31, s16, 36
	s_mul_i32 s41, s26, 0xffffffdc
	s_branch .LBB7_38
.LBB7_37:                               ;   in Loop: Header=BB7_38 Depth=3
	s_sub_co_i32 s16, s16, s26
	s_add_co_i32 s29, s29, s30
	s_add_co_i32 s31, s31, s41
	s_cmp_lt_i32 s16, s27
	s_cbranch_scc1 .LBB7_51
.LBB7_38:                               ;   Parent Loop BB7_5 Depth=1
                                        ;     Parent Loop BB7_35 Depth=2
                                        ; =>    This Loop Header: Depth=3
                                        ;         Child Loop BB7_39 Depth 4
                                        ;         Child Loop BB7_41 Depth 4
                                        ;           Child Loop BB7_42 Depth 5
                                        ;         Child Loop BB7_47 Depth 4
                                        ;           Child Loop BB7_49 Depth 5
	s_ashr_i32 s17, s16, 31
	s_delay_alu instid0(SALU_CYCLE_1)
	s_lshl_b64 s[18:19], s[16:17], 2
	s_wait_alu 0xfffe
	v_add_co_u32 v10, vcc_lo, v12, s18
	s_wait_alu 0xfffd
	v_add_co_ci_u32_e64 v11, null, s19, v13, vcc_lo
	s_mov_b64 s[18:19], 0
.LBB7_39:                               ;   Parent Loop BB7_5 Depth=1
                                        ;     Parent Loop BB7_35 Depth=2
                                        ;       Parent Loop BB7_38 Depth=3
                                        ; =>      This Inner Loop Header: Depth=4
	flat_load_b32 v14, v[10:11]
	v_add_co_u32 v10, vcc_lo, v10, -4
	s_wait_alu 0xfffd
	v_add_co_ci_u32_e64 v11, null, -1, v11, vcc_lo
	s_wait_alu 0xfffe
	s_mov_b32 m0, s18
	s_add_nc_u64 s[18:19], s[18:19], 1
	s_wait_alu 0xfffe
	s_cmp_eq_u32 s28, s18
	s_wait_loadcnt_dscnt 0x0
	v_mul_f32_e32 v14, s34, v14
	s_delay_alu instid0(VALU_DEP_1)
	v_movreld_b32_e32 v2, v14
	s_cbranch_scc0 .LBB7_39
; %bb.40:                               ;   in Loop: Header=BB7_38 Depth=3
	s_cmp_le_i32 s36, s16
	s_mov_b32 s22, s29
	s_mov_b32 s18, s36
	s_cbranch_scc1 .LBB7_44
.LBB7_41:                               ;   Parent Loop BB7_5 Depth=1
                                        ;     Parent Loop BB7_35 Depth=2
                                        ;       Parent Loop BB7_38 Depth=3
                                        ; =>      This Loop Header: Depth=4
                                        ;           Child Loop BB7_42 Depth 5
	s_wait_alu 0xfffe
	s_ashr_i32 s19, s18, 31
	s_wait_alu 0xfffe
	s_lshl_b64 s[20:21], s[18:19], 2
	s_mov_b32 s19, s22
	s_wait_alu 0xfffe
	v_add_co_u32 v10, vcc_lo, v30, s20
	s_wait_alu 0xfffd
	v_add_co_ci_u32_e64 v11, null, s21, v31, vcc_lo
	s_mov_b64 s[20:21], 0
	flat_load_b32 v10, v[10:11]
.LBB7_42:                               ;   Parent Loop BB7_5 Depth=1
                                        ;     Parent Loop BB7_35 Depth=2
                                        ;       Parent Loop BB7_38 Depth=3
                                        ;         Parent Loop BB7_41 Depth=4
                                        ; =>        This Inner Loop Header: Depth=5
	s_wait_alu 0xfffe
	v_mov_b32_e32 v11, s19
	s_mov_b32 m0, s20
	s_add_nc_u64 s[20:21], s[20:21], 1
	v_movrels_b32_e32 v14, v2
	s_add_co_i32 s19, s19, -4
	ds_load_b32 v11, v11
	s_wait_alu 0xfffe
	s_cmp_eq_u32 s28, s20
	s_wait_loadcnt_dscnt 0x0
	v_fma_f32 v11, -v10, v11, v14
	s_delay_alu instid0(VALU_DEP_1)
	v_movreld_b32_e32 v2, v11
	s_cbranch_scc0 .LBB7_42
; %bb.43:                               ;   in Loop: Header=BB7_41 Depth=4
	s_add_co_i32 s18, s18, -1
	s_sub_co_i32 s22, s22, 32
	s_wait_alu 0xfffe
	s_cmp_le_i32 s18, s16
	s_cbranch_scc0 .LBB7_41
.LBB7_44:                               ;   in Loop: Header=BB7_38 Depth=3
	s_mov_b64 s[18:19], 0
	s_mov_b32 s42, s31
	s_branch .LBB7_47
.LBB7_45:                               ;   in Loop: Header=BB7_47 Depth=4
	s_mov_b32 s20, s16
	s_mov_b64 s[24:25], 0
	s_mov_b64 s[22:23], s[16:17]
.LBB7_46:                               ;   in Loop: Header=BB7_47 Depth=4
	s_wait_alu 0xfffe
	s_mul_i32 s20, s20, 36
	s_mov_b32 m0, s24
	s_wait_alu 0xfffe
	v_mov_b32_e32 v10, s20
	v_movrels_b32_e32 v11, v2
	s_lshl_b64 s[20:21], s[22:23], 2
	s_add_nc_u64 s[18:19], s[18:19], 1
	s_add_co_i32 s42, s42, -4
	ds_load_b32 v10, v10
	s_wait_alu 0xfffe
	s_cmp_eq_u32 s18, s28
	s_wait_dscnt 0x0
	v_mul_f32_e32 v14, v11, v10
	v_add_co_u32 v10, vcc_lo, v30, s20
	s_wait_alu 0xfffd
	v_add_co_ci_u32_e64 v11, null, s21, v31, vcc_lo
	s_delay_alu instid0(VALU_DEP_3)
	v_movreld_b32_e32 v2, v14
	flat_store_b32 v[10:11], v14
	s_cbranch_scc1 .LBB7_37
.LBB7_47:                               ;   Parent Loop BB7_5 Depth=1
                                        ;     Parent Loop BB7_35 Depth=2
                                        ;       Parent Loop BB7_38 Depth=3
                                        ; =>      This Loop Header: Depth=4
                                        ;           Child Loop BB7_49 Depth 5
	s_wait_alu 0xfffe
	s_cmp_eq_u32 s18, 0
	s_cbranch_scc1 .LBB7_45
; %bb.48:                               ;   in Loop: Header=BB7_47 Depth=4
	s_mov_b64 s[20:21], 0
	s_mov_b32 s22, s42
.LBB7_49:                               ;   Parent Loop BB7_5 Depth=1
                                        ;     Parent Loop BB7_35 Depth=2
                                        ;       Parent Loop BB7_38 Depth=3
                                        ;         Parent Loop BB7_47 Depth=4
                                        ; =>        This Inner Loop Header: Depth=5
	s_wait_alu 0xfffe
	v_mov_b32_e32 v10, s22
	s_mov_b32 m0, s20
	s_add_nc_u64 s[20:21], s[20:21], 1
	v_movrels_b32_e32 v11, v2
	s_mov_b32 m0, s18
	ds_load_b32 v10, v10
	v_movrels_b32_e32 v14, v2
	s_sub_co_i32 s22, s22, 32
	s_wait_alu 0xfffe
	s_cmp_eq_u32 s18, s20
	s_wait_dscnt 0x0
	v_fma_f32 v10, -v11, v10, v14
	s_delay_alu instid0(VALU_DEP_1)
	v_movreld_b32_e32 v2, v10
	s_cbranch_scc0 .LBB7_49
; %bb.50:                               ;   in Loop: Header=BB7_47 Depth=4
	s_sub_co_i32 s20, s16, s18
	s_mov_b64 s[24:25], s[18:19]
	s_wait_alu 0xfffe
	s_ashr_i32 s21, s20, 31
	s_wait_alu 0xfffe
	s_mov_b64 s[22:23], s[20:21]
	s_branch .LBB7_46
.LBB7_51:                               ;   in Loop: Header=BB7_35 Depth=2
	s_cmp_gt_i32 s16, -1
	s_cselect_b32 s18, -1, 0
	s_add_co_i32 s17, s14, 1
	s_cmp_lt_u32 s14, 2
	s_cselect_b32 s14, -1, 0
	s_wait_alu 0xfffe
	s_and_b32 s14, s18, s14
	s_delay_alu instid0(SALU_CYCLE_1)
	s_and_not1_b32 vcc_lo, exec_lo, s14
	s_wait_alu 0xfffe
	s_cbranch_vccnz .LBB7_2
; %bb.52:                               ;   in Loop: Header=BB7_35 Depth=2
	s_mov_b32 s14, s17
	s_branch .LBB7_35
.LBB7_53:
	s_endpgm
	.section	.rodata,"a",@progbits
	.p2align	6, 0x0
	.amdhsa_kernel _ZL30rocblas_trsm_small_left_deviceILi8ELi8ELb0EffPKPKfPKPfEv13rocblas_fill_18rocblas_operation_17rocblas_diagonal_iiT3_T4_lilT5_lili
		.amdhsa_group_segment_fixed_size 256
		.amdhsa_private_segment_fixed_size 0
		.amdhsa_kernarg_size 352
		.amdhsa_user_sgpr_count 2
		.amdhsa_user_sgpr_dispatch_ptr 0
		.amdhsa_user_sgpr_queue_ptr 0
		.amdhsa_user_sgpr_kernarg_segment_ptr 1
		.amdhsa_user_sgpr_dispatch_id 0
		.amdhsa_user_sgpr_private_segment_size 0
		.amdhsa_wavefront_size32 1
		.amdhsa_uses_dynamic_stack 0
		.amdhsa_enable_private_segment 0
		.amdhsa_system_sgpr_workgroup_id_x 1
		.amdhsa_system_sgpr_workgroup_id_y 0
		.amdhsa_system_sgpr_workgroup_id_z 1
		.amdhsa_system_sgpr_workgroup_info 0
		.amdhsa_system_vgpr_workitem_id 0
		.amdhsa_next_free_vgpr 35
		.amdhsa_next_free_sgpr 44
		.amdhsa_reserve_vcc 1
		.amdhsa_float_round_mode_32 0
		.amdhsa_float_round_mode_16_64 0
		.amdhsa_float_denorm_mode_32 3
		.amdhsa_float_denorm_mode_16_64 3
		.amdhsa_fp16_overflow 0
		.amdhsa_workgroup_processor_mode 1
		.amdhsa_memory_ordered 1
		.amdhsa_forward_progress 1
		.amdhsa_inst_pref_size 19
		.amdhsa_round_robin_scheduling 0
		.amdhsa_exception_fp_ieee_invalid_op 0
		.amdhsa_exception_fp_denorm_src 0
		.amdhsa_exception_fp_ieee_div_zero 0
		.amdhsa_exception_fp_ieee_overflow 0
		.amdhsa_exception_fp_ieee_underflow 0
		.amdhsa_exception_fp_ieee_inexact 0
		.amdhsa_exception_int_div_zero 0
	.end_amdhsa_kernel
	.section	.text._ZL30rocblas_trsm_small_left_deviceILi8ELi8ELb0EffPKPKfPKPfEv13rocblas_fill_18rocblas_operation_17rocblas_diagonal_iiT3_T4_lilT5_lili,"axG",@progbits,_ZL30rocblas_trsm_small_left_deviceILi8ELi8ELb0EffPKPKfPKPfEv13rocblas_fill_18rocblas_operation_17rocblas_diagonal_iiT3_T4_lilT5_lili,comdat
.Lfunc_end7:
	.size	_ZL30rocblas_trsm_small_left_deviceILi8ELi8ELb0EffPKPKfPKPfEv13rocblas_fill_18rocblas_operation_17rocblas_diagonal_iiT3_T4_lilT5_lili, .Lfunc_end7-_ZL30rocblas_trsm_small_left_deviceILi8ELi8ELb0EffPKPKfPKPfEv13rocblas_fill_18rocblas_operation_17rocblas_diagonal_iiT3_T4_lilT5_lili
                                        ; -- End function
	.set _ZL30rocblas_trsm_small_left_deviceILi8ELi8ELb0EffPKPKfPKPfEv13rocblas_fill_18rocblas_operation_17rocblas_diagonal_iiT3_T4_lilT5_lili.num_vgpr, 35
	.set _ZL30rocblas_trsm_small_left_deviceILi8ELi8ELb0EffPKPKfPKPfEv13rocblas_fill_18rocblas_operation_17rocblas_diagonal_iiT3_T4_lilT5_lili.num_agpr, 0
	.set _ZL30rocblas_trsm_small_left_deviceILi8ELi8ELb0EffPKPKfPKPfEv13rocblas_fill_18rocblas_operation_17rocblas_diagonal_iiT3_T4_lilT5_lili.numbered_sgpr, 44
	.set _ZL30rocblas_trsm_small_left_deviceILi8ELi8ELb0EffPKPKfPKPfEv13rocblas_fill_18rocblas_operation_17rocblas_diagonal_iiT3_T4_lilT5_lili.num_named_barrier, 0
	.set _ZL30rocblas_trsm_small_left_deviceILi8ELi8ELb0EffPKPKfPKPfEv13rocblas_fill_18rocblas_operation_17rocblas_diagonal_iiT3_T4_lilT5_lili.private_seg_size, 0
	.set _ZL30rocblas_trsm_small_left_deviceILi8ELi8ELb0EffPKPKfPKPfEv13rocblas_fill_18rocblas_operation_17rocblas_diagonal_iiT3_T4_lilT5_lili.uses_vcc, 1
	.set _ZL30rocblas_trsm_small_left_deviceILi8ELi8ELb0EffPKPKfPKPfEv13rocblas_fill_18rocblas_operation_17rocblas_diagonal_iiT3_T4_lilT5_lili.uses_flat_scratch, 0
	.set _ZL30rocblas_trsm_small_left_deviceILi8ELi8ELb0EffPKPKfPKPfEv13rocblas_fill_18rocblas_operation_17rocblas_diagonal_iiT3_T4_lilT5_lili.has_dyn_sized_stack, 0
	.set _ZL30rocblas_trsm_small_left_deviceILi8ELi8ELb0EffPKPKfPKPfEv13rocblas_fill_18rocblas_operation_17rocblas_diagonal_iiT3_T4_lilT5_lili.has_recursion, 0
	.set _ZL30rocblas_trsm_small_left_deviceILi8ELi8ELb0EffPKPKfPKPfEv13rocblas_fill_18rocblas_operation_17rocblas_diagonal_iiT3_T4_lilT5_lili.has_indirect_call, 0
	.section	.AMDGPU.csdata,"",@progbits
; Kernel info:
; codeLenInByte = 2336
; TotalNumSgprs: 46
; NumVgprs: 35
; ScratchSize: 0
; MemoryBound: 0
; FloatMode: 240
; IeeeMode: 1
; LDSByteSize: 256 bytes/workgroup (compile time only)
; SGPRBlocks: 0
; VGPRBlocks: 4
; NumSGPRsForWavesPerEU: 46
; NumVGPRsForWavesPerEU: 35
; Occupancy: 16
; WaveLimiterHint : 1
; COMPUTE_PGM_RSRC2:SCRATCH_EN: 0
; COMPUTE_PGM_RSRC2:USER_SGPR: 2
; COMPUTE_PGM_RSRC2:TRAP_HANDLER: 0
; COMPUTE_PGM_RSRC2:TGID_X_EN: 1
; COMPUTE_PGM_RSRC2:TGID_Y_EN: 0
; COMPUTE_PGM_RSRC2:TGID_Z_EN: 1
; COMPUTE_PGM_RSRC2:TIDIG_COMP_CNT: 0
	.section	.text._ZL38rocblas_trsm_small_left_device_sharedBILi8ELi8ELb1EffPKPKfPKPfEv13rocblas_fill_18rocblas_operation_17rocblas_diagonal_iiT3_T4_lilT5_lili,"axG",@progbits,_ZL38rocblas_trsm_small_left_device_sharedBILi8ELi8ELb1EffPKPKfPKPfEv13rocblas_fill_18rocblas_operation_17rocblas_diagonal_iiT3_T4_lilT5_lili,comdat
	.globl	_ZL38rocblas_trsm_small_left_device_sharedBILi8ELi8ELb1EffPKPKfPKPfEv13rocblas_fill_18rocblas_operation_17rocblas_diagonal_iiT3_T4_lilT5_lili ; -- Begin function _ZL38rocblas_trsm_small_left_device_sharedBILi8ELi8ELb1EffPKPKfPKPfEv13rocblas_fill_18rocblas_operation_17rocblas_diagonal_iiT3_T4_lilT5_lili
	.p2align	8
	.type	_ZL38rocblas_trsm_small_left_device_sharedBILi8ELi8ELb1EffPKPKfPKPfEv13rocblas_fill_18rocblas_operation_17rocblas_diagonal_iiT3_T4_lilT5_lili,@function
_ZL38rocblas_trsm_small_left_device_sharedBILi8ELi8ELb1EffPKPKfPKPfEv13rocblas_fill_18rocblas_operation_17rocblas_diagonal_iiT3_T4_lilT5_lili: ; @_ZL38rocblas_trsm_small_left_device_sharedBILi8ELi8ELb1EffPKPKfPKPfEv13rocblas_fill_18rocblas_operation_17rocblas_diagonal_iiT3_T4_lilT5_lili
; %bb.0:
	s_load_b32 s24, s[0:1], 0x58
	s_lshr_b32 s2, ttmp7, 16
	s_wait_kmcnt 0x0
	s_cmp_ge_u32 s2, s24
	s_cbranch_scc1 .LBB8_56
; %bb.1:
	s_clause 0x6
	s_load_b32 s18, s[0:1], 0x28
	s_load_b32 s20, s[0:1], 0x48
	s_load_b128 s[12:15], s[0:1], 0x4
	s_load_b32 s3, s[0:1], 0x60
	s_load_b128 s[4:7], s[0:1], 0x18
	s_load_b128 s[8:11], s[0:1], 0x38
	s_load_b32 s1, s[0:1], 0x14
	v_dual_mov_b32 v1, 0 :: v_dual_lshlrev_b32 v20, 2, v0
	s_lshl_b32 s22, ttmp9, 3
	v_lshlrev_b32_e32 v11, 5, v0
	s_mov_b32 s17, 0
	s_delay_alu instid0(VALU_DEP_2)
	v_or_b32_e32 v21, 0x100, v20
	v_dual_mov_b32 v7, v1 :: v_dual_mov_b32 v8, v1
	v_dual_mov_b32 v2, v1 :: v_dual_mov_b32 v3, v1
	;; [unrolled: 1-line block ×3, first 2 shown]
	v_mov_b32_e32 v6, v1
	s_wait_kmcnt 0x0
	s_ashr_i32 s19, s18, 31
	s_ashr_i32 s21, s20, 31
	s_min_i32 s25, s14, 8
	s_add_co_i32 s3, s3, -1
	s_sub_co_i32 s0, s15, s22
	s_add_co_i32 s26, s25, -1
	v_mad_co_i64_i32 v[9:10], null, s20, v0, 0
	s_cmp_ge_u32 ttmp9, s3
	s_cselect_b32 s3, s0, 8
	s_ashr_i32 s23, s22, 31
	s_cmp_lg_u32 s13, 0x84
	v_cmp_gt_i32_e32 vcc_lo, s3, v0
	s_cselect_b32 s27, -1, 0
	s_cmp_gt_i32 s14, 0
	v_cmp_gt_i32_e64 s0, s25, v0
	s_cselect_b32 s3, -1, 0
	s_cmp_lg_u32 s12, 0x6f
	v_lshlrev_b32_e32 v0, 2, v0
	v_lshlrev_b64_e32 v[18:19], 2, v[9:10]
	v_mov_b32_e32 v9, v8
	v_mov_b32_e32 v8, v7
	v_dual_mov_b32 v7, v6 :: v_dual_add_nc_u32 v22, v20, v11
	v_mov_b32_e32 v6, v5
	v_mov_b32_e32 v5, v4
	;; [unrolled: 1-line block ×5, first 2 shown]
	s_mul_u64 s[14:15], s[20:21], s[22:23]
	s_cselect_b32 s28, -1, 0
	s_lshl_b32 s30, s25, 2
	s_wait_alu 0xfffe
	s_and_b32 s29, vcc_lo, s3
	s_lshl_b64 s[12:13], s[18:19], 2
	s_add_co_i32 s30, s30, -4
	s_lshl_b64 s[6:7], s[6:7], 2
	s_lshl_b64 s[10:11], s[10:11], 2
	;; [unrolled: 1-line block ×3, first 2 shown]
	s_branch .LBB8_3
.LBB8_2:                                ;   in Loop: Header=BB8_3 Depth=1
	s_wait_alu 0xfffe
	s_or_b32 exec_lo, exec_lo, s3
	v_dual_mov_b32 v2, v10 :: v_dual_mov_b32 v3, v11
	v_dual_mov_b32 v4, v12 :: v_dual_mov_b32 v5, v13
	;; [unrolled: 1-line block ×4, first 2 shown]
	s_add_co_i32 s2, s2, 0x10000
	s_wait_alu 0xfffe
	s_cmp_lt_u32 s2, s24
	s_cbranch_scc0 .LBB8_56
.LBB8_3:                                ; =>This Loop Header: Depth=1
                                        ;     Child Loop BB8_5 Depth 2
                                        ;     Child Loop BB8_11 Depth 2
                                        ;     Child Loop BB8_14 Depth 2
                                        ;       Child Loop BB8_17 Depth 3
                                        ;         Child Loop BB8_18 Depth 4
                                        ;         Child Loop BB8_20 Depth 4
                                        ;           Child Loop BB8_21 Depth 5
                                        ;         Child Loop BB8_26 Depth 4
                                        ;           Child Loop BB8_28 Depth 5
                                        ;     Child Loop BB8_34 Depth 2
                                        ;       Child Loop BB8_37 Depth 3
                                        ;         Child Loop BB8_38 Depth 4
                                        ;         Child Loop BB8_41 Depth 4
                                        ;           Child Loop BB8_42 Depth 5
                                        ;         Child Loop BB8_47 Depth 4
                                        ;           Child Loop BB8_49 Depth 5
                                        ;     Child Loop BB8_55 Depth 2
	s_mov_b32 s3, s17
	s_wait_alu 0xfffe
	s_lshl_b64 s[18:19], s[2:3], 3
	s_wait_alu 0xfffe
	s_add_nc_u64 s[20:21], s[8:9], s[18:19]
	global_load_b64 v[10:11], v1, s[20:21]
	s_and_saveexec_b32 s3, s0
	s_cbranch_execz .LBB8_9
; %bb.4:                                ;   in Loop: Header=BB8_3 Depth=1
	s_add_nc_u64 s[18:19], s[4:5], s[18:19]
	v_mov_b32_e32 v14, v20
	global_load_b64 v[12:13], v1, s[18:19]
	s_mov_b32 s16, s25
	s_wait_loadcnt 0x0
	v_add_co_u32 v12, vcc_lo, v12, s6
	s_wait_alu 0xfffd
	v_add_co_ci_u32_e64 v13, null, s7, v13, vcc_lo
	s_delay_alu instid0(VALU_DEP_2) | instskip(SKIP_1) | instid1(VALU_DEP_2)
	v_add_co_u32 v12, vcc_lo, v12, v0
	s_wait_alu 0xfffd
	v_add_co_ci_u32_e64 v13, null, 0, v13, vcc_lo
.LBB8_5:                                ;   Parent Loop BB8_3 Depth=1
                                        ; =>  This Inner Loop Header: Depth=2
	flat_load_b32 v15, v[12:13]
	v_add_co_u32 v12, vcc_lo, v12, s12
	s_wait_alu 0xfffd
	v_add_co_ci_u32_e64 v13, null, s13, v13, vcc_lo
	s_add_co_i32 s16, s16, -1
	s_delay_alu instid0(SALU_CYCLE_1)
	s_cmp_eq_u32 s16, 0
	s_wait_loadcnt_dscnt 0x0
	ds_store_b32 v14, v15
	v_add_nc_u32_e32 v14, 32, v14
	s_cbranch_scc0 .LBB8_5
; %bb.6:                                ;   in Loop: Header=BB8_3 Depth=1
	v_mov_b32_e32 v12, 1.0
	s_and_b32 vcc_lo, exec_lo, s27
	s_wait_alu 0xfffe
	s_cbranch_vccz .LBB8_8
; %bb.7:                                ;   in Loop: Header=BB8_3 Depth=1
	ds_load_b32 v12, v22
	s_wait_dscnt 0x0
	v_div_scale_f32 v13, null, v12, v12, 1.0
	s_delay_alu instid0(VALU_DEP_1) | instskip(NEXT) | instid1(TRANS32_DEP_1)
	v_rcp_f32_e32 v14, v13
	v_fma_f32 v15, -v13, v14, 1.0
	s_delay_alu instid0(VALU_DEP_1) | instskip(SKIP_1) | instid1(VALU_DEP_1)
	v_fmac_f32_e32 v14, v15, v14
	v_div_scale_f32 v15, vcc_lo, 1.0, v12, 1.0
	v_mul_f32_e32 v16, v15, v14
	s_delay_alu instid0(VALU_DEP_1) | instskip(NEXT) | instid1(VALU_DEP_1)
	v_fma_f32 v17, -v13, v16, v15
	v_fmac_f32_e32 v16, v17, v14
	s_delay_alu instid0(VALU_DEP_1) | instskip(SKIP_1) | instid1(VALU_DEP_1)
	v_fma_f32 v13, -v13, v16, v15
	s_wait_alu 0xfffd
	v_div_fmas_f32 v13, v13, v14, v16
	s_delay_alu instid0(VALU_DEP_1)
	v_div_fixup_f32 v12, v13, v12, 1.0
.LBB8_8:                                ;   in Loop: Header=BB8_3 Depth=1
	ds_store_b32 v22, v12
.LBB8_9:                                ;   in Loop: Header=BB8_3 Depth=1
	s_wait_alu 0xfffe
	s_or_b32 exec_lo, exec_lo, s3
	s_wait_loadcnt 0x0
	v_add_co_u32 v10, vcc_lo, v10, s10
	s_wait_alu 0xfffd
	v_add_co_ci_u32_e64 v11, null, s11, v11, vcc_lo
	s_delay_alu instid0(VALU_DEP_2) | instskip(SKIP_1) | instid1(VALU_DEP_2)
	v_add_co_u32 v23, vcc_lo, v10, s14
	s_wait_alu 0xfffd
	v_add_co_ci_u32_e64 v24, null, s15, v11, vcc_lo
	s_and_saveexec_b32 s3, s29
	s_cbranch_execz .LBB8_12
; %bb.10:                               ;   in Loop: Header=BB8_3 Depth=1
	v_add_co_u32 v10, vcc_lo, v23, v18
	s_wait_alu 0xfffd
	v_add_co_ci_u32_e64 v11, null, v24, v19, vcc_lo
	v_mov_b32_e32 v12, v21
	s_mov_b32 s16, s25
.LBB8_11:                               ;   Parent Loop BB8_3 Depth=1
                                        ; =>  This Inner Loop Header: Depth=2
	flat_load_b32 v13, v[10:11]
	v_add_co_u32 v10, vcc_lo, v10, 4
	s_wait_alu 0xfffd
	v_add_co_ci_u32_e64 v11, null, 0, v11, vcc_lo
	s_add_co_i32 s16, s16, -1
	s_delay_alu instid0(SALU_CYCLE_1)
	s_cmp_lg_u32 s16, 0
	s_wait_loadcnt_dscnt 0x0
	v_mul_f32_e32 v13, s1, v13
	ds_store_b32 v12, v13
	v_add_nc_u32_e32 v12, 32, v12
	s_cbranch_scc1 .LBB8_11
.LBB8_12:                               ;   in Loop: Header=BB8_3 Depth=1
	s_wait_alu 0xfffe
	s_or_b32 exec_lo, exec_lo, s3
	s_delay_alu instid0(SALU_CYCLE_1)
	s_and_not1_b32 vcc_lo, exec_lo, s28
	s_mov_b32 s3, -1
	s_wait_dscnt 0x0
	; wave barrier
	global_inv scope:SCOPE_SE
                                        ; implicit-def: $vgpr10_vgpr11_vgpr12_vgpr13_vgpr14_vgpr15_vgpr16_vgpr17
	s_wait_alu 0xfffe
	s_cbranch_vccnz .LBB8_32
; %bb.13:                               ;   in Loop: Header=BB8_3 Depth=1
	v_dual_mov_b32 v17, v9 :: v_dual_mov_b32 v16, v8
	v_dual_mov_b32 v15, v7 :: v_dual_mov_b32 v14, v6
	;; [unrolled: 1-line block ×4, first 2 shown]
	s_mov_b32 s16, 0
	s_mov_b32 s3, s26
.LBB8_14:                               ;   Parent Loop BB8_3 Depth=1
                                        ; =>  This Loop Header: Depth=2
                                        ;       Child Loop BB8_17 Depth 3
                                        ;         Child Loop BB8_18 Depth 4
                                        ;         Child Loop BB8_20 Depth 4
                                        ;           Child Loop BB8_21 Depth 5
                                        ;         Child Loop BB8_26 Depth 4
                                        ;           Child Loop BB8_28 Depth 5
	s_getpc_b64 s[18:19]
	s_wait_alu 0xfffe
	s_sext_i32_i16 s19, s19
	s_add_co_u32 s18, s18, __const._ZL38rocblas_trsm_small_left_device_sharedBILi8ELi8ELb1EffPKPKfPKPfEv13rocblas_fill_18rocblas_operation_17rocblas_diagonal_iiT3_T4_lilT5_lili.step_sizes@rel32@lo+12
	s_wait_alu 0xfffe
	s_add_co_ci_u32 s19, s19, __const._ZL38rocblas_trsm_small_left_device_sharedBILi8ELi8ELb1EffPKPKfPKPfEv13rocblas_fill_18rocblas_operation_17rocblas_diagonal_iiT3_T4_lilT5_lili.step_sizes@rel32@hi+24
	s_lshl_b64 s[20:21], s[16:17], 2
	s_wait_alu 0xfffe
	s_add_nc_u64 s[18:19], s[18:19], s[20:21]
	s_load_b32 s31, s[18:19], 0x0
	s_wait_kmcnt 0x0
	s_add_co_i32 s33, s31, -1
	s_wait_alu 0xfffe
	s_cmp_lt_i32 s3, s33
	s_cbranch_scc1 .LBB8_29
; %bb.15:                               ;   in Loop: Header=BB8_14 Depth=2
	s_lshl_b32 s18, s3, 5
	s_lshl_b32 s19, s31, 5
	s_wait_alu 0xfffe
	v_add_nc_u32_e32 v25, s18, v21
	s_max_i32 s34, s31, 1
	s_sub_co_i32 s35, 0, s19
	s_add_co_i32 s36, s30, s18
	s_mul_i32 s37, s3, 36
	s_mul_i32 s38, s31, 0xffffffdc
	s_branch .LBB8_17
.LBB8_16:                               ;   in Loop: Header=BB8_17 Depth=3
	v_add_nc_u32_e32 v25, s35, v25
	s_sub_co_i32 s3, s3, s31
	s_add_co_i32 s36, s36, s35
	s_add_co_i32 s37, s37, s38
	s_wait_alu 0xfffe
	s_cmp_lt_i32 s3, s33
	s_cbranch_scc1 .LBB8_29
.LBB8_17:                               ;   Parent Loop BB8_3 Depth=1
                                        ;     Parent Loop BB8_14 Depth=2
                                        ; =>    This Loop Header: Depth=3
                                        ;         Child Loop BB8_18 Depth 4
                                        ;         Child Loop BB8_20 Depth 4
                                        ;           Child Loop BB8_21 Depth 5
                                        ;         Child Loop BB8_26 Depth 4
                                        ;           Child Loop BB8_28 Depth 5
	v_mov_b32_e32 v26, v25
	s_mov_b64 s[18:19], 0
.LBB8_18:                               ;   Parent Loop BB8_3 Depth=1
                                        ;     Parent Loop BB8_14 Depth=2
                                        ;       Parent Loop BB8_17 Depth=3
                                        ; =>      This Inner Loop Header: Depth=4
	ds_load_b32 v27, v26
	v_subrev_nc_u32_e32 v26, 32, v26
	s_wait_alu 0xfffe
	s_mov_b32 m0, s18
	s_add_nc_u64 s[18:19], s[18:19], 1
	s_wait_alu 0xfffe
	s_cmp_eq_u32 s34, s18
	s_wait_dscnt 0x0
	v_movreld_b32_e32 v10, v27
	s_cbranch_scc0 .LBB8_18
; %bb.19:                               ;   in Loop: Header=BB8_17 Depth=3
	s_cmp_le_i32 s26, s3
	s_mov_b32 s20, s36
	s_mov_b32 s21, s26
	s_cbranch_scc1 .LBB8_23
.LBB8_20:                               ;   Parent Loop BB8_3 Depth=1
                                        ;     Parent Loop BB8_14 Depth=2
                                        ;       Parent Loop BB8_17 Depth=3
                                        ; =>      This Loop Header: Depth=4
                                        ;           Child Loop BB8_21 Depth 5
	s_wait_alu 0xfffe
	v_lshl_add_u32 v26, s21, 5, v21
	s_mov_b64 s[18:19], 0
	s_mov_b32 s22, s20
	ds_load_b32 v26, v26
.LBB8_21:                               ;   Parent Loop BB8_3 Depth=1
                                        ;     Parent Loop BB8_14 Depth=2
                                        ;       Parent Loop BB8_17 Depth=3
                                        ;         Parent Loop BB8_20 Depth=4
                                        ; =>        This Inner Loop Header: Depth=5
	s_wait_alu 0xfffe
	v_mov_b32_e32 v27, s22
	s_mov_b32 m0, s18
	s_add_nc_u64 s[18:19], s[18:19], 1
	v_movrels_b32_e32 v28, v10
	s_sub_co_i32 s22, s22, 32
	ds_load_b32 v27, v27
	s_wait_alu 0xfffe
	s_cmp_eq_u32 s34, s18
	s_wait_dscnt 0x0
	v_fma_f32 v27, -v26, v27, v28
	s_delay_alu instid0(VALU_DEP_1)
	v_movreld_b32_e32 v10, v27
	s_cbranch_scc0 .LBB8_21
; %bb.22:                               ;   in Loop: Header=BB8_20 Depth=4
	s_add_co_i32 s21, s21, -1
	s_add_co_i32 s20, s20, -4
	s_wait_alu 0xfffe
	s_cmp_le_i32 s21, s3
	s_cbranch_scc0 .LBB8_20
.LBB8_23:                               ;   in Loop: Header=BB8_17 Depth=3
	s_lshl_b32 s39, s3, 5
	s_mov_b64 s[18:19], 0
	s_mov_b32 s40, s37
	s_branch .LBB8_26
.LBB8_24:                               ;   in Loop: Header=BB8_26 Depth=4
	s_mov_b32 s42, s3
	s_mov_b64 s[20:21], 0
	s_mov_b32 s41, s39
.LBB8_25:                               ;   in Loop: Header=BB8_26 Depth=4
	s_wait_alu 0xfffe
	s_mov_b32 m0, s20
	s_mul_i32 s20, s42, 36
	v_movrels_b32_e32 v27, v10
	s_wait_alu 0xfffe
	v_mov_b32_e32 v26, s20
	s_add_nc_u64 s[18:19], s[18:19], 1
	s_sub_co_i32 s40, s40, 32
	s_wait_alu 0xfffe
	s_cmp_eq_u32 s18, s34
	ds_load_b32 v26, v26
	s_wait_dscnt 0x0
	v_dual_mul_f32 v26, v27, v26 :: v_dual_add_nc_u32 v27, s41, v21
	s_delay_alu instid0(VALU_DEP_1)
	v_movreld_b32_e32 v10, v26
	ds_store_b32 v27, v26
	s_cbranch_scc1 .LBB8_16
.LBB8_26:                               ;   Parent Loop BB8_3 Depth=1
                                        ;     Parent Loop BB8_14 Depth=2
                                        ;       Parent Loop BB8_17 Depth=3
                                        ; =>      This Loop Header: Depth=4
                                        ;           Child Loop BB8_28 Depth 5
	s_wait_alu 0xfffe
	s_cmp_eq_u32 s18, 0
	s_cbranch_scc1 .LBB8_24
; %bb.27:                               ;   in Loop: Header=BB8_26 Depth=4
	s_sub_co_i32 s42, s3, s18
	s_mov_b64 s[20:21], s[18:19]
	s_mov_b64 s[22:23], 0
	s_lshl_b32 s41, s42, 5
	s_mov_b32 s21, s40
.LBB8_28:                               ;   Parent Loop BB8_3 Depth=1
                                        ;     Parent Loop BB8_14 Depth=2
                                        ;       Parent Loop BB8_17 Depth=3
                                        ;         Parent Loop BB8_26 Depth=4
                                        ; =>        This Inner Loop Header: Depth=5
	s_wait_alu 0xfffe
	v_mov_b32_e32 v26, s21
	s_mov_b32 m0, s22
	s_add_nc_u64 s[22:23], s[22:23], 1
	v_movrels_b32_e32 v27, v10
	s_mov_b32 m0, s18
	ds_load_b32 v26, v26
	v_movrels_b32_e32 v28, v10
	s_add_co_i32 s21, s21, -4
	s_wait_alu 0xfffe
	s_cmp_eq_u32 s18, s22
	s_wait_dscnt 0x0
	v_fma_f32 v26, -v27, v26, v28
	s_delay_alu instid0(VALU_DEP_1)
	v_movreld_b32_e32 v10, v26
	s_cbranch_scc0 .LBB8_28
	s_branch .LBB8_25
.LBB8_29:                               ;   in Loop: Header=BB8_14 Depth=2
	s_cmp_gt_i32 s3, -1
	s_cselect_b32 s19, -1, 0
	s_add_co_i32 s18, s16, 1
	s_cmp_lt_u32 s16, 2
	s_cselect_b32 s16, -1, 0
	s_wait_alu 0xfffe
	s_and_b32 s16, s19, s16
	s_delay_alu instid0(SALU_CYCLE_1)
	s_and_b32 vcc_lo, exec_lo, s16
	s_wait_alu 0xfffe
	s_cbranch_vccz .LBB8_31
; %bb.30:                               ;   in Loop: Header=BB8_14 Depth=2
	s_mov_b32 s16, s18
	s_branch .LBB8_14
.LBB8_31:                               ;   in Loop: Header=BB8_3 Depth=1
	s_mov_b32 s3, 0
.LBB8_32:                               ;   in Loop: Header=BB8_3 Depth=1
	s_wait_alu 0xfffe
	s_and_b32 vcc_lo, exec_lo, s3
	s_wait_alu 0xfffe
	s_cbranch_vccz .LBB8_53
; %bb.33:                               ;   in Loop: Header=BB8_3 Depth=1
	s_mov_b32 s3, 0
	s_wait_alu 0xfffe
	s_mov_b32 s16, s3
.LBB8_34:                               ;   Parent Loop BB8_3 Depth=1
                                        ; =>  This Loop Header: Depth=2
                                        ;       Child Loop BB8_37 Depth 3
                                        ;         Child Loop BB8_38 Depth 4
                                        ;         Child Loop BB8_41 Depth 4
                                        ;           Child Loop BB8_42 Depth 5
                                        ;         Child Loop BB8_47 Depth 4
                                        ;           Child Loop BB8_49 Depth 5
	s_getpc_b64 s[18:19]
	s_wait_alu 0xfffe
	s_sext_i32_i16 s19, s19
	s_add_co_u32 s18, s18, __const._ZL38rocblas_trsm_small_left_device_sharedBILi8ELi8ELb1EffPKPKfPKPfEv13rocblas_fill_18rocblas_operation_17rocblas_diagonal_iiT3_T4_lilT5_lili.step_sizes@rel32@lo+12
	s_wait_alu 0xfffe
	s_add_co_ci_u32 s19, s19, __const._ZL38rocblas_trsm_small_left_device_sharedBILi8ELi8ELb1EffPKPKfPKPfEv13rocblas_fill_18rocblas_operation_17rocblas_diagonal_iiT3_T4_lilT5_lili.step_sizes@rel32@hi+24
	s_lshl_b64 s[20:21], s[16:17], 2
	s_wait_alu 0xfffe
	s_add_nc_u64 s[18:19], s[18:19], s[20:21]
	s_load_b32 s22, s[18:19], 0x0
	s_wait_kmcnt 0x0
	s_add_co_i32 s23, s22, -1
	s_wait_alu 0xfffe
	s_add_co_i32 s18, s23, s3
	s_wait_alu 0xfffe
	s_cmp_ge_i32 s18, s25
	s_cbranch_scc1 .LBB8_50
; %bb.35:                               ;   in Loop: Header=BB8_34 Depth=2
	v_lshl_add_u32 v10, s3, 5, v21
	s_max_i32 s31, s22, 1
	s_lshl_b32 s33, s22, 5
	s_lshl_b32 s34, s3, 2
	;; [unrolled: 1-line block ×3, first 2 shown]
	s_mul_i32 s36, s3, 36
	s_mul_i32 s37, s22, 36
	s_branch .LBB8_37
.LBB8_36:                               ;   in Loop: Header=BB8_37 Depth=3
	s_add_co_i32 s3, s3, s22
	v_add_nc_u32_e32 v10, s33, v10
	s_wait_alu 0xfffe
	s_add_co_i32 s18, s23, s3
	s_add_co_i32 s34, s34, s35
	;; [unrolled: 1-line block ×3, first 2 shown]
	s_wait_alu 0xfffe
	s_cmp_ge_i32 s18, s25
	s_cbranch_scc1 .LBB8_50
.LBB8_37:                               ;   Parent Loop BB8_3 Depth=1
                                        ;     Parent Loop BB8_34 Depth=2
                                        ; =>    This Loop Header: Depth=3
                                        ;         Child Loop BB8_38 Depth 4
                                        ;         Child Loop BB8_41 Depth 4
                                        ;           Child Loop BB8_42 Depth 5
                                        ;         Child Loop BB8_47 Depth 4
                                        ;           Child Loop BB8_49 Depth 5
	v_mov_b32_e32 v11, v10
	s_mov_b64 s[18:19], 0
.LBB8_38:                               ;   Parent Loop BB8_3 Depth=1
                                        ;     Parent Loop BB8_34 Depth=2
                                        ;       Parent Loop BB8_37 Depth=3
                                        ; =>      This Inner Loop Header: Depth=4
	ds_load_b32 v12, v11
	v_add_nc_u32_e32 v11, 32, v11
	s_wait_alu 0xfffe
	s_mov_b32 m0, s18
	s_add_nc_u64 s[18:19], s[18:19], 1
	s_wait_alu 0xfffe
	s_cmp_eq_u32 s31, s18
	s_wait_dscnt 0x0
	v_movreld_b32_e32 v2, v12
	s_cbranch_scc0 .LBB8_38
; %bb.39:                               ;   in Loop: Header=BB8_37 Depth=3
	s_cmp_lt_i32 s3, 1
	s_cbranch_scc1 .LBB8_44
; %bb.40:                               ;   in Loop: Header=BB8_37 Depth=3
	s_mov_b32 s20, 0
	s_mov_b32 s21, s34
.LBB8_41:                               ;   Parent Loop BB8_3 Depth=1
                                        ;     Parent Loop BB8_34 Depth=2
                                        ;       Parent Loop BB8_37 Depth=3
                                        ; =>      This Loop Header: Depth=4
                                        ;           Child Loop BB8_42 Depth 5
	s_wait_alu 0xfffe
	v_lshl_add_u32 v11, s20, 5, v21
	s_mov_b64 s[18:19], 0
	s_mov_b32 s38, s21
	ds_load_b32 v11, v11
.LBB8_42:                               ;   Parent Loop BB8_3 Depth=1
                                        ;     Parent Loop BB8_34 Depth=2
                                        ;       Parent Loop BB8_37 Depth=3
                                        ;         Parent Loop BB8_41 Depth=4
                                        ; =>        This Inner Loop Header: Depth=5
	s_wait_alu 0xfffe
	v_mov_b32_e32 v12, s38
	s_mov_b32 m0, s18
	s_add_nc_u64 s[18:19], s[18:19], 1
	v_movrels_b32_e32 v13, v2
	s_add_co_i32 s38, s38, 4
	ds_load_b32 v12, v12
	s_wait_alu 0xfffe
	s_cmp_eq_u32 s31, s18
	s_wait_dscnt 0x0
	v_fma_f32 v12, -v11, v12, v13
	s_delay_alu instid0(VALU_DEP_1)
	v_movreld_b32_e32 v2, v12
	s_cbranch_scc0 .LBB8_42
; %bb.43:                               ;   in Loop: Header=BB8_41 Depth=4
	s_add_co_i32 s20, s20, 1
	s_add_co_i32 s21, s21, 32
	s_wait_alu 0xfffe
	s_cmp_eq_u32 s20, s3
	s_cbranch_scc0 .LBB8_41
.LBB8_44:                               ;   in Loop: Header=BB8_37 Depth=3
	s_mov_b64 s[18:19], 0
	s_mov_b32 s38, s36
	s_branch .LBB8_47
.LBB8_45:                               ;   in Loop: Header=BB8_47 Depth=4
	s_mov_b64 s[20:21], s[18:19]
.LBB8_46:                               ;   in Loop: Header=BB8_47 Depth=4
	s_wait_alu 0xfffe
	s_mov_b32 m0, s20
	s_add_co_i32 s20, s18, s3
	v_movrels_b32_e32 v12, v2
	s_wait_alu 0xfffe
	s_mul_i32 s21, s20, 36
	s_add_nc_u64 s[18:19], s[18:19], 1
	s_wait_alu 0xfffe
	v_mov_b32_e32 v11, s21
	s_add_co_i32 s38, s38, 4
	s_cmp_eq_u32 s18, s31
	ds_load_b32 v11, v11
	s_wait_dscnt 0x0
	v_mul_f32_e32 v11, v12, v11
	v_lshl_add_u32 v12, s20, 5, v21
	s_delay_alu instid0(VALU_DEP_2)
	v_movreld_b32_e32 v2, v11
	ds_store_b32 v12, v11
	s_cbranch_scc1 .LBB8_36
.LBB8_47:                               ;   Parent Loop BB8_3 Depth=1
                                        ;     Parent Loop BB8_34 Depth=2
                                        ;       Parent Loop BB8_37 Depth=3
                                        ; =>      This Loop Header: Depth=4
                                        ;           Child Loop BB8_49 Depth 5
	s_mov_b64 s[20:21], 0
	s_wait_alu 0xfffe
	s_cmp_eq_u32 s18, 0
	s_cbranch_scc1 .LBB8_46
; %bb.48:                               ;   in Loop: Header=BB8_47 Depth=4
	s_mov_b32 s39, s38
.LBB8_49:                               ;   Parent Loop BB8_3 Depth=1
                                        ;     Parent Loop BB8_34 Depth=2
                                        ;       Parent Loop BB8_37 Depth=3
                                        ;         Parent Loop BB8_47 Depth=4
                                        ; =>        This Inner Loop Header: Depth=5
	s_wait_alu 0xfffe
	v_mov_b32_e32 v11, s39
	s_mov_b32 m0, s20
	s_add_nc_u64 s[20:21], s[20:21], 1
	v_movrels_b32_e32 v12, v2
	s_mov_b32 m0, s18
	ds_load_b32 v11, v11
	v_movrels_b32_e32 v13, v2
	s_add_co_i32 s39, s39, 32
	s_wait_alu 0xfffe
	s_cmp_eq_u32 s18, s20
	s_wait_dscnt 0x0
	v_fma_f32 v11, -v12, v11, v13
	s_delay_alu instid0(VALU_DEP_1)
	v_movreld_b32_e32 v2, v11
	s_cbranch_scc0 .LBB8_49
	s_branch .LBB8_45
.LBB8_50:                               ;   in Loop: Header=BB8_34 Depth=2
	s_cmp_lt_i32 s3, s25
	s_cselect_b32 s19, -1, 0
	s_add_co_i32 s18, s16, 1
	s_cmp_lt_u32 s16, 2
	s_cselect_b32 s16, -1, 0
	s_wait_alu 0xfffe
	s_and_b32 s16, s19, s16
	s_delay_alu instid0(SALU_CYCLE_1)
	s_and_not1_b32 vcc_lo, exec_lo, s16
	s_wait_alu 0xfffe
	s_cbranch_vccnz .LBB8_52
; %bb.51:                               ;   in Loop: Header=BB8_34 Depth=2
	s_mov_b32 s16, s18
	s_branch .LBB8_34
.LBB8_52:                               ;   in Loop: Header=BB8_3 Depth=1
	v_dual_mov_b32 v17, v9 :: v_dual_mov_b32 v16, v8
	v_dual_mov_b32 v15, v7 :: v_dual_mov_b32 v14, v6
	;; [unrolled: 1-line block ×4, first 2 shown]
.LBB8_53:                               ;   in Loop: Header=BB8_3 Depth=1
	; wave barrier
	s_wait_loadcnt_dscnt 0x0
	global_inv scope:SCOPE_SE
	s_and_saveexec_b32 s3, s29
	s_cbranch_execz .LBB8_2
; %bb.54:                               ;   in Loop: Header=BB8_3 Depth=1
	v_add_co_u32 v2, vcc_lo, v23, v18
	s_wait_alu 0xfffd
	v_add_co_ci_u32_e64 v3, null, v24, v19, vcc_lo
	v_mov_b32_e32 v4, v21
	s_mov_b32 s16, s25
.LBB8_55:                               ;   Parent Loop BB8_3 Depth=1
                                        ; =>  This Inner Loop Header: Depth=2
	ds_load_b32 v5, v4
	v_add_nc_u32_e32 v4, 32, v4
	s_add_co_i32 s16, s16, -1
	s_delay_alu instid0(SALU_CYCLE_1)
	s_cmp_lg_u32 s16, 0
	s_wait_dscnt 0x0
	flat_store_b32 v[2:3], v5
	v_add_co_u32 v2, vcc_lo, v2, 4
	s_wait_alu 0xfffd
	v_add_co_ci_u32_e64 v3, null, 0, v3, vcc_lo
	s_cbranch_scc1 .LBB8_55
	s_branch .LBB8_2
.LBB8_56:
	s_endpgm
	.section	.rodata,"a",@progbits
	.p2align	6, 0x0
	.amdhsa_kernel _ZL38rocblas_trsm_small_left_device_sharedBILi8ELi8ELb1EffPKPKfPKPfEv13rocblas_fill_18rocblas_operation_17rocblas_diagonal_iiT3_T4_lilT5_lili
		.amdhsa_group_segment_fixed_size 512
		.amdhsa_private_segment_fixed_size 0
		.amdhsa_kernarg_size 352
		.amdhsa_user_sgpr_count 2
		.amdhsa_user_sgpr_dispatch_ptr 0
		.amdhsa_user_sgpr_queue_ptr 0
		.amdhsa_user_sgpr_kernarg_segment_ptr 1
		.amdhsa_user_sgpr_dispatch_id 0
		.amdhsa_user_sgpr_private_segment_size 0
		.amdhsa_wavefront_size32 1
		.amdhsa_uses_dynamic_stack 0
		.amdhsa_enable_private_segment 0
		.amdhsa_system_sgpr_workgroup_id_x 1
		.amdhsa_system_sgpr_workgroup_id_y 0
		.amdhsa_system_sgpr_workgroup_id_z 1
		.amdhsa_system_sgpr_workgroup_info 0
		.amdhsa_system_vgpr_workitem_id 0
		.amdhsa_next_free_vgpr 29
		.amdhsa_next_free_sgpr 43
		.amdhsa_reserve_vcc 1
		.amdhsa_float_round_mode_32 0
		.amdhsa_float_round_mode_16_64 0
		.amdhsa_float_denorm_mode_32 3
		.amdhsa_float_denorm_mode_16_64 3
		.amdhsa_fp16_overflow 0
		.amdhsa_workgroup_processor_mode 1
		.amdhsa_memory_ordered 1
		.amdhsa_forward_progress 1
		.amdhsa_inst_pref_size 18
		.amdhsa_round_robin_scheduling 0
		.amdhsa_exception_fp_ieee_invalid_op 0
		.amdhsa_exception_fp_denorm_src 0
		.amdhsa_exception_fp_ieee_div_zero 0
		.amdhsa_exception_fp_ieee_overflow 0
		.amdhsa_exception_fp_ieee_underflow 0
		.amdhsa_exception_fp_ieee_inexact 0
		.amdhsa_exception_int_div_zero 0
	.end_amdhsa_kernel
	.section	.text._ZL38rocblas_trsm_small_left_device_sharedBILi8ELi8ELb1EffPKPKfPKPfEv13rocblas_fill_18rocblas_operation_17rocblas_diagonal_iiT3_T4_lilT5_lili,"axG",@progbits,_ZL38rocblas_trsm_small_left_device_sharedBILi8ELi8ELb1EffPKPKfPKPfEv13rocblas_fill_18rocblas_operation_17rocblas_diagonal_iiT3_T4_lilT5_lili,comdat
.Lfunc_end8:
	.size	_ZL38rocblas_trsm_small_left_device_sharedBILi8ELi8ELb1EffPKPKfPKPfEv13rocblas_fill_18rocblas_operation_17rocblas_diagonal_iiT3_T4_lilT5_lili, .Lfunc_end8-_ZL38rocblas_trsm_small_left_device_sharedBILi8ELi8ELb1EffPKPKfPKPfEv13rocblas_fill_18rocblas_operation_17rocblas_diagonal_iiT3_T4_lilT5_lili
                                        ; -- End function
	.set _ZL38rocblas_trsm_small_left_device_sharedBILi8ELi8ELb1EffPKPKfPKPfEv13rocblas_fill_18rocblas_operation_17rocblas_diagonal_iiT3_T4_lilT5_lili.num_vgpr, 29
	.set _ZL38rocblas_trsm_small_left_device_sharedBILi8ELi8ELb1EffPKPKfPKPfEv13rocblas_fill_18rocblas_operation_17rocblas_diagonal_iiT3_T4_lilT5_lili.num_agpr, 0
	.set _ZL38rocblas_trsm_small_left_device_sharedBILi8ELi8ELb1EffPKPKfPKPfEv13rocblas_fill_18rocblas_operation_17rocblas_diagonal_iiT3_T4_lilT5_lili.numbered_sgpr, 43
	.set _ZL38rocblas_trsm_small_left_device_sharedBILi8ELi8ELb1EffPKPKfPKPfEv13rocblas_fill_18rocblas_operation_17rocblas_diagonal_iiT3_T4_lilT5_lili.num_named_barrier, 0
	.set _ZL38rocblas_trsm_small_left_device_sharedBILi8ELi8ELb1EffPKPKfPKPfEv13rocblas_fill_18rocblas_operation_17rocblas_diagonal_iiT3_T4_lilT5_lili.private_seg_size, 0
	.set _ZL38rocblas_trsm_small_left_device_sharedBILi8ELi8ELb1EffPKPKfPKPfEv13rocblas_fill_18rocblas_operation_17rocblas_diagonal_iiT3_T4_lilT5_lili.uses_vcc, 1
	.set _ZL38rocblas_trsm_small_left_device_sharedBILi8ELi8ELb1EffPKPKfPKPfEv13rocblas_fill_18rocblas_operation_17rocblas_diagonal_iiT3_T4_lilT5_lili.uses_flat_scratch, 0
	.set _ZL38rocblas_trsm_small_left_device_sharedBILi8ELi8ELb1EffPKPKfPKPfEv13rocblas_fill_18rocblas_operation_17rocblas_diagonal_iiT3_T4_lilT5_lili.has_dyn_sized_stack, 0
	.set _ZL38rocblas_trsm_small_left_device_sharedBILi8ELi8ELb1EffPKPKfPKPfEv13rocblas_fill_18rocblas_operation_17rocblas_diagonal_iiT3_T4_lilT5_lili.has_recursion, 0
	.set _ZL38rocblas_trsm_small_left_device_sharedBILi8ELi8ELb1EffPKPKfPKPfEv13rocblas_fill_18rocblas_operation_17rocblas_diagonal_iiT3_T4_lilT5_lili.has_indirect_call, 0
	.section	.AMDGPU.csdata,"",@progbits
; Kernel info:
; codeLenInByte = 2296
; TotalNumSgprs: 45
; NumVgprs: 29
; ScratchSize: 0
; MemoryBound: 0
; FloatMode: 240
; IeeeMode: 1
; LDSByteSize: 512 bytes/workgroup (compile time only)
; SGPRBlocks: 0
; VGPRBlocks: 3
; NumSGPRsForWavesPerEU: 45
; NumVGPRsForWavesPerEU: 29
; Occupancy: 16
; WaveLimiterHint : 0
; COMPUTE_PGM_RSRC2:SCRATCH_EN: 0
; COMPUTE_PGM_RSRC2:USER_SGPR: 2
; COMPUTE_PGM_RSRC2:TRAP_HANDLER: 0
; COMPUTE_PGM_RSRC2:TGID_X_EN: 1
; COMPUTE_PGM_RSRC2:TGID_Y_EN: 0
; COMPUTE_PGM_RSRC2:TGID_Z_EN: 1
; COMPUTE_PGM_RSRC2:TIDIG_COMP_CNT: 0
	.section	.text._ZL30rocblas_trsm_small_left_deviceILi8ELi8ELb1EffPKPKfPKPfEv13rocblas_fill_18rocblas_operation_17rocblas_diagonal_iiT3_T4_lilT5_lili,"axG",@progbits,_ZL30rocblas_trsm_small_left_deviceILi8ELi8ELb1EffPKPKfPKPfEv13rocblas_fill_18rocblas_operation_17rocblas_diagonal_iiT3_T4_lilT5_lili,comdat
	.globl	_ZL30rocblas_trsm_small_left_deviceILi8ELi8ELb1EffPKPKfPKPfEv13rocblas_fill_18rocblas_operation_17rocblas_diagonal_iiT3_T4_lilT5_lili ; -- Begin function _ZL30rocblas_trsm_small_left_deviceILi8ELi8ELb1EffPKPKfPKPfEv13rocblas_fill_18rocblas_operation_17rocblas_diagonal_iiT3_T4_lilT5_lili
	.p2align	8
	.type	_ZL30rocblas_trsm_small_left_deviceILi8ELi8ELb1EffPKPKfPKPfEv13rocblas_fill_18rocblas_operation_17rocblas_diagonal_iiT3_T4_lilT5_lili,@function
_ZL30rocblas_trsm_small_left_deviceILi8ELi8ELb1EffPKPKfPKPfEv13rocblas_fill_18rocblas_operation_17rocblas_diagonal_iiT3_T4_lilT5_lili: ; @_ZL30rocblas_trsm_small_left_deviceILi8ELi8ELb1EffPKPKfPKPfEv13rocblas_fill_18rocblas_operation_17rocblas_diagonal_iiT3_T4_lilT5_lili
; %bb.0:
	s_load_b32 s28, s[0:1], 0x58
	s_lshr_b32 s2, ttmp7, 16
	s_wait_kmcnt 0x0
	s_cmp_ge_u32 s2, s28
	s_cbranch_scc1 .LBB9_53
; %bb.1:
	s_clause 0x6
	s_load_b32 s16, s[0:1], 0x28
	s_load_b128 s[12:15], s[0:1], 0x4
	s_load_b32 s3, s[0:1], 0x60
	s_load_b32 s18, s[0:1], 0x48
	s_load_b128 s[4:7], s[0:1], 0x18
	s_load_b128 s[8:11], s[0:1], 0x38
	s_load_b32 s29, s[0:1], 0x14
	s_lshl_b32 s0, ttmp9, 3
	v_dual_mov_b32 v1, 0 :: v_dual_lshlrev_b32 v24, 2, v0
	v_or_b32_e32 v2, s0, v0
	v_lshlrev_b32_e32 v9, 5, v0
	s_mov_b32 s36, 0
	s_delay_alu instid0(VALU_DEP_3)
	v_dual_mov_b32 v7, v1 :: v_dual_mov_b32 v8, v1
	v_dual_mov_b32 v5, v1 :: v_dual_mov_b32 v6, v1
	v_mov_b32_e32 v4, v1
	s_wait_kmcnt 0x0
	s_ashr_i32 s17, s16, 31
	s_min_i32 s30, s14, 8
	s_add_co_i32 s3, s3, -1
	v_mad_co_i64_i32 v[2:3], null, s18, v2, 0
	s_sub_co_i32 s0, s15, s0
	s_add_co_i32 s31, s30, -1
	s_wait_alu 0xfffe
	s_cmp_ge_u32 ttmp9, s3
	s_mov_b32 s15, 0
	s_cselect_b32 s1, s0, 8
	s_cmp_lg_u32 s13, 0x84
	v_lshlrev_b64_e32 v[18:19], 2, v[2:3]
	s_cselect_b32 s33, -1, 0
	s_cmp_lg_u32 s12, 0x6f
	v_mov_b32_e32 v2, v1
	s_cselect_b32 s34, -1, 0
	s_lshl_b64 s[10:11], s[10:11], 2
	v_mov_b32_e32 v3, v1
	v_add_co_u32 v25, vcc_lo, v18, s10
	v_cmp_gt_i32_e64 s0, s30, v0
	s_wait_alu 0xfffe
	v_cmp_gt_i32_e64 s1, s1, v0
	v_lshlrev_b32_e32 v0, 2, v0
	v_add_nc_u32_e32 v27, v24, v9
	v_mov_b32_e32 v9, v8
	v_add_co_ci_u32_e64 v26, null, s11, v19, vcc_lo
	v_mov_b32_e32 v8, v7
	v_mov_b32_e32 v7, v6
	;; [unrolled: 1-line block ×7, first 2 shown]
	s_lshl_b32 s35, s30, 2
	s_lshl_b64 s[12:13], s[16:17], 2
	s_add_co_i32 s35, s35, -4
	s_lshl_b64 s[6:7], s[6:7], 2
	s_branch .LBB9_5
.LBB9_2:                                ;   in Loop: Header=BB9_5 Depth=1
	v_dual_mov_b32 v17, v9 :: v_dual_mov_b32 v16, v8
	v_dual_mov_b32 v15, v7 :: v_dual_mov_b32 v14, v6
	;; [unrolled: 1-line block ×4, first 2 shown]
.LBB9_3:                                ;   in Loop: Header=BB9_5 Depth=1
	s_add_co_i32 s2, s2, 0x10000
	s_delay_alu instid0(SALU_CYCLE_1) | instskip(SKIP_1) | instid1(SALU_CYCLE_1)
	s_cmp_ge_u32 s2, s28
	s_cselect_b32 s14, -1, 0
	s_or_not1_b32 s14, s14, exec_lo
.LBB9_4:                                ;   in Loop: Header=BB9_5 Depth=1
	s_or_b32 exec_lo, exec_lo, s3
	v_dual_mov_b32 v2, v10 :: v_dual_mov_b32 v3, v11
	v_dual_mov_b32 v4, v12 :: v_dual_mov_b32 v5, v13
	;; [unrolled: 1-line block ×4, first 2 shown]
	s_and_b32 s3, exec_lo, s14
	s_delay_alu instid0(SALU_CYCLE_1) | instskip(NEXT) | instid1(SALU_CYCLE_1)
	s_or_b32 s36, s3, s36
	s_and_not1_b32 exec_lo, exec_lo, s36
	s_cbranch_execz .LBB9_53
.LBB9_5:                                ; =>This Loop Header: Depth=1
                                        ;     Child Loop BB9_7 Depth 2
                                        ;     Child Loop BB9_14 Depth 2
                                        ;       Child Loop BB9_17 Depth 3
                                        ;         Child Loop BB9_18 Depth 4
                                        ;         Child Loop BB9_20 Depth 4
                                        ;           Child Loop BB9_21 Depth 5
                                        ;         Child Loop BB9_26 Depth 4
                                        ;           Child Loop BB9_28 Depth 5
                                        ;     Child Loop BB9_35 Depth 2
                                        ;       Child Loop BB9_38 Depth 3
                                        ;         Child Loop BB9_39 Depth 4
                                        ;         Child Loop BB9_42 Depth 4
                                        ;           Child Loop BB9_43 Depth 5
                                        ;         Child Loop BB9_48 Depth 4
                                        ;           Child Loop BB9_50 Depth 5
	s_mov_b32 s3, s15
	s_delay_alu instid0(SALU_CYCLE_1) | instskip(NEXT) | instid1(SALU_CYCLE_1)
	s_lshl_b64 s[16:17], s[2:3], 3
	s_add_nc_u64 s[18:19], s[8:9], s[16:17]
	global_load_b64 v[20:21], v1, s[18:19]
	s_and_saveexec_b32 s3, s0
	s_cbranch_execz .LBB9_11
; %bb.6:                                ;   in Loop: Header=BB9_5 Depth=1
	s_add_nc_u64 s[16:17], s[4:5], s[16:17]
	v_mov_b32_e32 v12, v24
	global_load_b64 v[10:11], v1, s[16:17]
	s_mov_b32 s14, s30
	s_wait_loadcnt 0x0
	v_add_co_u32 v10, vcc_lo, v10, s6
	s_wait_alu 0xfffd
	v_add_co_ci_u32_e64 v11, null, s7, v11, vcc_lo
	s_delay_alu instid0(VALU_DEP_2) | instskip(SKIP_1) | instid1(VALU_DEP_2)
	v_add_co_u32 v10, vcc_lo, v10, v0
	s_wait_alu 0xfffd
	v_add_co_ci_u32_e64 v11, null, 0, v11, vcc_lo
.LBB9_7:                                ;   Parent Loop BB9_5 Depth=1
                                        ; =>  This Inner Loop Header: Depth=2
	flat_load_b32 v13, v[10:11]
	v_add_co_u32 v10, vcc_lo, v10, s12
	s_wait_alu 0xfffd
	v_add_co_ci_u32_e64 v11, null, s13, v11, vcc_lo
	s_add_co_i32 s14, s14, -1
	s_delay_alu instid0(SALU_CYCLE_1)
	s_cmp_eq_u32 s14, 0
	s_wait_loadcnt_dscnt 0x0
	ds_store_b32 v12, v13
	v_add_nc_u32_e32 v12, 32, v12
	s_cbranch_scc0 .LBB9_7
; %bb.8:                                ;   in Loop: Header=BB9_5 Depth=1
	v_mov_b32_e32 v10, 1.0
	s_and_b32 vcc_lo, exec_lo, s33
	s_wait_alu 0xfffe
	s_cbranch_vccz .LBB9_10
; %bb.9:                                ;   in Loop: Header=BB9_5 Depth=1
	ds_load_b32 v10, v27
	s_wait_dscnt 0x0
	v_div_scale_f32 v11, null, v10, v10, 1.0
	s_delay_alu instid0(VALU_DEP_1) | instskip(NEXT) | instid1(TRANS32_DEP_1)
	v_rcp_f32_e32 v12, v11
	v_fma_f32 v13, -v11, v12, 1.0
	s_delay_alu instid0(VALU_DEP_1) | instskip(SKIP_1) | instid1(VALU_DEP_1)
	v_fmac_f32_e32 v12, v13, v12
	v_div_scale_f32 v13, vcc_lo, 1.0, v10, 1.0
	v_mul_f32_e32 v14, v13, v12
	s_delay_alu instid0(VALU_DEP_1) | instskip(NEXT) | instid1(VALU_DEP_1)
	v_fma_f32 v15, -v11, v14, v13
	v_fmac_f32_e32 v14, v15, v12
	s_delay_alu instid0(VALU_DEP_1) | instskip(SKIP_1) | instid1(VALU_DEP_1)
	v_fma_f32 v11, -v11, v14, v13
	s_wait_alu 0xfffd
	v_div_fmas_f32 v11, v11, v12, v14
	s_delay_alu instid0(VALU_DEP_1)
	v_div_fixup_f32 v10, v11, v10, 1.0
.LBB9_10:                               ;   in Loop: Header=BB9_5 Depth=1
	ds_store_b32 v27, v10
.LBB9_11:                               ;   in Loop: Header=BB9_5 Depth=1
	s_or_b32 exec_lo, exec_lo, s3
	s_mov_b32 s14, -1
	; wave barrier
	s_wait_loadcnt_dscnt 0x0
	global_inv scope:SCOPE_SE
                                        ; implicit-def: $vgpr10_vgpr11_vgpr12_vgpr13_vgpr14_vgpr15_vgpr16_vgpr17
	s_and_saveexec_b32 s3, s1
	s_cbranch_execz .LBB9_4
; %bb.12:                               ;   in Loop: Header=BB9_5 Depth=1
	v_add_co_u32 v10, vcc_lo, v20, s10
	s_wait_alu 0xfffd
	v_add_co_ci_u32_e64 v11, null, s11, v21, vcc_lo
	s_delay_alu instid0(VALU_DEP_2) | instskip(SKIP_1) | instid1(VALU_DEP_2)
	v_add_co_u32 v28, vcc_lo, v10, v18
	s_wait_alu 0xfffd
	v_add_co_ci_u32_e64 v29, null, v11, v19, vcc_lo
	s_and_not1_b32 vcc_lo, exec_lo, s34
                                        ; implicit-def: $vgpr10_vgpr11_vgpr12_vgpr13_vgpr14_vgpr15_vgpr16_vgpr17
	s_wait_alu 0xfffe
	s_cbranch_vccnz .LBB9_33
; %bb.13:                               ;   in Loop: Header=BB9_5 Depth=1
	v_add_co_u32 v30, vcc_lo, v20, v25
	v_dual_mov_b32 v17, v9 :: v_dual_mov_b32 v16, v8
	s_wait_alu 0xfffd
	v_add_co_ci_u32_e64 v31, null, v21, v26, vcc_lo
	v_dual_mov_b32 v15, v7 :: v_dual_mov_b32 v14, v6
	v_dual_mov_b32 v13, v5 :: v_dual_mov_b32 v12, v4
	;; [unrolled: 1-line block ×3, first 2 shown]
	s_mov_b32 s14, 0
	s_mov_b32 s16, s31
.LBB9_14:                               ;   Parent Loop BB9_5 Depth=1
                                        ; =>  This Loop Header: Depth=2
                                        ;       Child Loop BB9_17 Depth 3
                                        ;         Child Loop BB9_18 Depth 4
                                        ;         Child Loop BB9_20 Depth 4
                                        ;           Child Loop BB9_21 Depth 5
                                        ;         Child Loop BB9_26 Depth 4
                                        ;           Child Loop BB9_28 Depth 5
	s_getpc_b64 s[18:19]
	s_wait_alu 0xfffe
	s_sext_i32_i16 s19, s19
	s_add_co_u32 s18, s18, __const._ZL30rocblas_trsm_small_left_deviceILi8ELi8ELb1EffPKPKfPKPfEv13rocblas_fill_18rocblas_operation_17rocblas_diagonal_iiT3_T4_lilT5_lili.step_sizes@rel32@lo+12
	s_wait_alu 0xfffe
	s_add_co_ci_u32 s19, s19, __const._ZL30rocblas_trsm_small_left_deviceILi8ELi8ELb1EffPKPKfPKPfEv13rocblas_fill_18rocblas_operation_17rocblas_diagonal_iiT3_T4_lilT5_lili.step_sizes@rel32@hi+24
	s_lshl_b64 s[20:21], s[14:15], 2
	s_wait_alu 0xfffe
	s_add_nc_u64 s[18:19], s[18:19], s[20:21]
	s_load_b32 s26, s[18:19], 0x0
	s_wait_kmcnt 0x0
	s_add_co_i32 s27, s26, -1
	s_wait_alu 0xfffe
	s_cmp_lt_i32 s16, s27
	s_cbranch_scc1 .LBB9_30
; %bb.15:                               ;   in Loop: Header=BB9_14 Depth=2
	s_lshl_b32 s17, s16, 5
	s_lshl_b32 s18, s26, 5
	s_max_i32 s37, s26, 1
	s_add_co_i32 s38, s35, s17
	s_wait_alu 0xfffe
	s_sub_co_i32 s39, 0, s18
	s_mul_i32 s40, s16, 36
	s_mul_i32 s41, s26, 0xffffffdc
	s_branch .LBB9_17
.LBB9_16:                               ;   in Loop: Header=BB9_17 Depth=3
	s_sub_co_i32 s16, s16, s26
	s_add_co_i32 s38, s38, s39
	s_add_co_i32 s40, s40, s41
	s_cmp_lt_i32 s16, s27
	s_cbranch_scc1 .LBB9_30
.LBB9_17:                               ;   Parent Loop BB9_5 Depth=1
                                        ;     Parent Loop BB9_14 Depth=2
                                        ; =>    This Loop Header: Depth=3
                                        ;         Child Loop BB9_18 Depth 4
                                        ;         Child Loop BB9_20 Depth 4
                                        ;           Child Loop BB9_21 Depth 5
                                        ;         Child Loop BB9_26 Depth 4
                                        ;           Child Loop BB9_28 Depth 5
	s_ashr_i32 s17, s16, 31
	s_delay_alu instid0(SALU_CYCLE_1)
	s_lshl_b64 s[18:19], s[16:17], 2
	s_wait_alu 0xfffe
	v_add_co_u32 v22, vcc_lo, v30, s18
	s_wait_alu 0xfffd
	v_add_co_ci_u32_e64 v23, null, s19, v31, vcc_lo
	s_mov_b64 s[18:19], 0
.LBB9_18:                               ;   Parent Loop BB9_5 Depth=1
                                        ;     Parent Loop BB9_14 Depth=2
                                        ;       Parent Loop BB9_17 Depth=3
                                        ; =>      This Inner Loop Header: Depth=4
	flat_load_b32 v32, v[22:23]
	v_add_co_u32 v22, vcc_lo, v22, -4
	s_wait_alu 0xfffd
	v_add_co_ci_u32_e64 v23, null, -1, v23, vcc_lo
	s_wait_alu 0xfffe
	s_mov_b32 m0, s18
	s_add_nc_u64 s[18:19], s[18:19], 1
	s_wait_alu 0xfffe
	s_cmp_eq_u32 s37, s18
	s_wait_loadcnt_dscnt 0x0
	v_mul_f32_e32 v32, s29, v32
	s_delay_alu instid0(VALU_DEP_1)
	v_movreld_b32_e32 v10, v32
	s_cbranch_scc0 .LBB9_18
; %bb.19:                               ;   in Loop: Header=BB9_17 Depth=3
	s_cmp_le_i32 s31, s16
	s_mov_b32 s22, s38
	s_mov_b32 s18, s31
	s_cbranch_scc1 .LBB9_23
.LBB9_20:                               ;   Parent Loop BB9_5 Depth=1
                                        ;     Parent Loop BB9_14 Depth=2
                                        ;       Parent Loop BB9_17 Depth=3
                                        ; =>      This Loop Header: Depth=4
                                        ;           Child Loop BB9_21 Depth 5
	s_wait_alu 0xfffe
	s_ashr_i32 s19, s18, 31
	s_wait_alu 0xfffe
	s_lshl_b64 s[20:21], s[18:19], 2
	s_mov_b32 s19, s22
	s_wait_alu 0xfffe
	v_add_co_u32 v22, vcc_lo, v28, s20
	s_wait_alu 0xfffd
	v_add_co_ci_u32_e64 v23, null, s21, v29, vcc_lo
	s_mov_b64 s[20:21], 0
	flat_load_b32 v22, v[22:23]
.LBB9_21:                               ;   Parent Loop BB9_5 Depth=1
                                        ;     Parent Loop BB9_14 Depth=2
                                        ;       Parent Loop BB9_17 Depth=3
                                        ;         Parent Loop BB9_20 Depth=4
                                        ; =>        This Inner Loop Header: Depth=5
	s_wait_alu 0xfffe
	v_mov_b32_e32 v23, s19
	s_mov_b32 m0, s20
	s_add_nc_u64 s[20:21], s[20:21], 1
	v_movrels_b32_e32 v32, v10
	s_sub_co_i32 s19, s19, 32
	ds_load_b32 v23, v23
	s_wait_alu 0xfffe
	s_cmp_eq_u32 s37, s20
	s_wait_loadcnt_dscnt 0x0
	v_fma_f32 v23, -v22, v23, v32
	s_delay_alu instid0(VALU_DEP_1)
	v_movreld_b32_e32 v10, v23
	s_cbranch_scc0 .LBB9_21
; %bb.22:                               ;   in Loop: Header=BB9_20 Depth=4
	s_add_co_i32 s18, s18, -1
	s_add_co_i32 s22, s22, -4
	s_wait_alu 0xfffe
	s_cmp_le_i32 s18, s16
	s_cbranch_scc0 .LBB9_20
.LBB9_23:                               ;   in Loop: Header=BB9_17 Depth=3
	s_mov_b64 s[18:19], 0
	s_mov_b32 s42, s40
	s_branch .LBB9_26
.LBB9_24:                               ;   in Loop: Header=BB9_26 Depth=4
	s_mov_b32 s22, s16
	s_mov_b64 s[20:21], 0
	s_mov_b64 s[24:25], s[16:17]
.LBB9_25:                               ;   in Loop: Header=BB9_26 Depth=4
	s_wait_alu 0xfffe
	s_mov_b32 m0, s20
	s_mul_i32 s20, s22, 36
	v_movrels_b32_e32 v23, v10
	s_wait_alu 0xfffe
	v_mov_b32_e32 v22, s20
	s_lshl_b64 s[20:21], s[24:25], 2
	s_add_nc_u64 s[18:19], s[18:19], 1
	s_sub_co_i32 s42, s42, 32
	s_wait_alu 0xfffe
	s_cmp_eq_u32 s18, s37
	ds_load_b32 v22, v22
	s_wait_dscnt 0x0
	v_mul_f32_e32 v32, v23, v22
	v_add_co_u32 v22, vcc_lo, v28, s20
	s_wait_alu 0xfffd
	v_add_co_ci_u32_e64 v23, null, s21, v29, vcc_lo
	s_delay_alu instid0(VALU_DEP_3)
	v_movreld_b32_e32 v10, v32
	flat_store_b32 v[22:23], v32
	s_cbranch_scc1 .LBB9_16
.LBB9_26:                               ;   Parent Loop BB9_5 Depth=1
                                        ;     Parent Loop BB9_14 Depth=2
                                        ;       Parent Loop BB9_17 Depth=3
                                        ; =>      This Loop Header: Depth=4
                                        ;           Child Loop BB9_28 Depth 5
	s_wait_alu 0xfffe
	s_cmp_eq_u32 s18, 0
	s_cbranch_scc1 .LBB9_24
; %bb.27:                               ;   in Loop: Header=BB9_26 Depth=4
	s_mov_b64 s[20:21], s[18:19]
	s_mov_b64 s[22:23], 0
	s_mov_b32 s21, s42
.LBB9_28:                               ;   Parent Loop BB9_5 Depth=1
                                        ;     Parent Loop BB9_14 Depth=2
                                        ;       Parent Loop BB9_17 Depth=3
                                        ;         Parent Loop BB9_26 Depth=4
                                        ; =>        This Inner Loop Header: Depth=5
	s_wait_alu 0xfffe
	v_mov_b32_e32 v22, s21
	s_mov_b32 m0, s22
	s_add_nc_u64 s[22:23], s[22:23], 1
	v_movrels_b32_e32 v23, v10
	s_mov_b32 m0, s18
	ds_load_b32 v22, v22
	v_movrels_b32_e32 v32, v10
	s_add_co_i32 s21, s21, -4
	s_wait_alu 0xfffe
	s_cmp_eq_u32 s18, s22
	s_wait_dscnt 0x0
	v_fma_f32 v22, -v23, v22, v32
	s_delay_alu instid0(VALU_DEP_1)
	v_movreld_b32_e32 v10, v22
	s_cbranch_scc0 .LBB9_28
; %bb.29:                               ;   in Loop: Header=BB9_26 Depth=4
	s_sub_co_i32 s22, s16, s18
	s_wait_alu 0xfffe
	s_ashr_i32 s23, s22, 31
	s_wait_alu 0xfffe
	s_mov_b64 s[24:25], s[22:23]
	s_branch .LBB9_25
.LBB9_30:                               ;   in Loop: Header=BB9_14 Depth=2
	s_cmp_gt_i32 s16, -1
	s_cselect_b32 s18, -1, 0
	s_add_co_i32 s17, s14, 1
	s_cmp_lt_u32 s14, 2
	s_cselect_b32 s14, -1, 0
	s_wait_alu 0xfffe
	s_and_b32 s14, s18, s14
	s_delay_alu instid0(SALU_CYCLE_1)
	s_and_b32 vcc_lo, exec_lo, s14
	s_wait_alu 0xfffe
	s_cbranch_vccz .LBB9_32
; %bb.31:                               ;   in Loop: Header=BB9_14 Depth=2
	s_mov_b32 s14, s17
	s_branch .LBB9_14
.LBB9_32:                               ;   in Loop: Header=BB9_5 Depth=1
	s_mov_b32 s14, 0
.LBB9_33:                               ;   in Loop: Header=BB9_5 Depth=1
	s_delay_alu instid0(SALU_CYCLE_1)
	s_and_b32 vcc_lo, exec_lo, s14
	s_wait_alu 0xfffe
	s_cbranch_vccz .LBB9_3
; %bb.34:                               ;   in Loop: Header=BB9_5 Depth=1
	v_add_co_u32 v14, vcc_lo, v20, v25
	s_wait_alu 0xfffd
	v_add_co_ci_u32_e64 v15, null, v21, v26, vcc_lo
	s_mov_b32 s16, 0
	s_mov_b32 s18, 0
.LBB9_35:                               ;   Parent Loop BB9_5 Depth=1
                                        ; =>  This Loop Header: Depth=2
                                        ;       Child Loop BB9_38 Depth 3
                                        ;         Child Loop BB9_39 Depth 4
                                        ;         Child Loop BB9_42 Depth 4
                                        ;           Child Loop BB9_43 Depth 5
                                        ;         Child Loop BB9_48 Depth 4
                                        ;           Child Loop BB9_50 Depth 5
	s_mov_b32 s19, s15
	s_getpc_b64 s[20:21]
	s_wait_alu 0xfffe
	s_sext_i32_i16 s21, s21
	s_add_co_u32 s20, s20, __const._ZL30rocblas_trsm_small_left_deviceILi8ELi8ELb1EffPKPKfPKPfEv13rocblas_fill_18rocblas_operation_17rocblas_diagonal_iiT3_T4_lilT5_lili.step_sizes@rel32@lo+12
	s_wait_alu 0xfffe
	s_add_co_ci_u32 s21, s21, __const._ZL30rocblas_trsm_small_left_deviceILi8ELi8ELb1EffPKPKfPKPfEv13rocblas_fill_18rocblas_operation_17rocblas_diagonal_iiT3_T4_lilT5_lili.step_sizes@rel32@hi+24
	s_lshl_b64 s[22:23], s[18:19], 2
	s_wait_alu 0xfffe
	s_add_nc_u64 s[20:21], s[20:21], s[22:23]
	s_load_b32 s20, s[20:21], 0x0
	s_wait_kmcnt 0x0
	s_add_co_i32 s19, s20, -1
	s_wait_alu 0xfffe
	s_add_co_i32 s14, s19, s16
	s_delay_alu instid0(SALU_CYCLE_1)
	s_cmp_ge_i32 s14, s30
	s_cbranch_scc1 .LBB9_51
; %bb.36:                               ;   in Loop: Header=BB9_35 Depth=2
	s_ashr_i32 s17, s16, 31
	s_ashr_i32 s21, s20, 31
	s_lshl_b64 s[22:23], s[16:17], 2
	s_max_i32 s37, s20, 1
	s_wait_alu 0xfffe
	v_add_co_u32 v10, vcc_lo, v14, s22
	s_wait_alu 0xfffd
	v_add_co_ci_u32_e64 v11, null, s23, v15, vcc_lo
	s_lshl_b64 s[22:23], s[20:21], 2
	s_lshl_b32 s17, s16, 2
	s_lshl_b32 s21, s20, 2
	s_mul_i32 s38, s16, 36
	s_mul_i32 s39, s20, 36
	s_branch .LBB9_38
.LBB9_37:                               ;   in Loop: Header=BB9_38 Depth=3
	v_add_co_u32 v10, vcc_lo, v10, s22
	s_add_co_i32 s16, s16, s20
	s_wait_alu 0xfffd
	v_add_co_ci_u32_e64 v11, null, s23, v11, vcc_lo
	s_add_co_i32 s14, s19, s16
	s_add_co_i32 s17, s17, s21
	;; [unrolled: 1-line block ×3, first 2 shown]
	s_cmp_ge_i32 s14, s30
	s_cbranch_scc1 .LBB9_51
.LBB9_38:                               ;   Parent Loop BB9_5 Depth=1
                                        ;     Parent Loop BB9_35 Depth=2
                                        ; =>    This Loop Header: Depth=3
                                        ;         Child Loop BB9_39 Depth 4
                                        ;         Child Loop BB9_42 Depth 4
                                        ;           Child Loop BB9_43 Depth 5
                                        ;         Child Loop BB9_48 Depth 4
                                        ;           Child Loop BB9_50 Depth 5
	v_dual_mov_b32 v13, v11 :: v_dual_mov_b32 v12, v10
	s_mov_b64 s[24:25], 0
.LBB9_39:                               ;   Parent Loop BB9_5 Depth=1
                                        ;     Parent Loop BB9_35 Depth=2
                                        ;       Parent Loop BB9_38 Depth=3
                                        ; =>      This Inner Loop Header: Depth=4
	flat_load_b32 v16, v[12:13]
	v_add_co_u32 v12, vcc_lo, v12, 4
	s_wait_alu 0xfffd
	v_add_co_ci_u32_e64 v13, null, 0, v13, vcc_lo
	s_wait_alu 0xfffe
	s_mov_b32 m0, s24
	s_add_nc_u64 s[24:25], s[24:25], 1
	s_wait_alu 0xfffe
	s_cmp_eq_u32 s37, s24
	s_wait_loadcnt_dscnt 0x0
	v_mul_f32_e32 v16, s29, v16
	s_delay_alu instid0(VALU_DEP_1)
	v_movreld_b32_e32 v2, v16
	s_cbranch_scc0 .LBB9_39
; %bb.40:                               ;   in Loop: Header=BB9_38 Depth=3
	s_cmp_lt_i32 s16, 1
	s_cbranch_scc1 .LBB9_45
; %bb.41:                               ;   in Loop: Header=BB9_38 Depth=3
	s_mov_b32 s14, 0
	s_mov_b32 s26, s17
.LBB9_42:                               ;   Parent Loop BB9_5 Depth=1
                                        ;     Parent Loop BB9_35 Depth=2
                                        ;       Parent Loop BB9_38 Depth=3
                                        ; =>      This Loop Header: Depth=4
                                        ;           Child Loop BB9_43 Depth 5
	s_lshl_b64 s[24:25], s[14:15], 2
	s_wait_alu 0xfffe
	s_mov_b32 s27, s26
	v_add_co_u32 v12, vcc_lo, v28, s24
	s_wait_alu 0xfffd
	v_add_co_ci_u32_e64 v13, null, s25, v29, vcc_lo
	s_mov_b64 s[24:25], 0
	flat_load_b32 v12, v[12:13]
.LBB9_43:                               ;   Parent Loop BB9_5 Depth=1
                                        ;     Parent Loop BB9_35 Depth=2
                                        ;       Parent Loop BB9_38 Depth=3
                                        ;         Parent Loop BB9_42 Depth=4
                                        ; =>        This Inner Loop Header: Depth=5
	s_wait_alu 0xfffe
	v_mov_b32_e32 v13, s27
	s_mov_b32 m0, s24
	s_add_nc_u64 s[24:25], s[24:25], 1
	v_movrels_b32_e32 v16, v2
	s_add_co_i32 s27, s27, 4
	ds_load_b32 v13, v13
	s_wait_alu 0xfffe
	s_cmp_eq_u32 s37, s24
	s_wait_loadcnt_dscnt 0x0
	v_fma_f32 v13, -v12, v13, v16
	s_delay_alu instid0(VALU_DEP_1)
	v_movreld_b32_e32 v2, v13
	s_cbranch_scc0 .LBB9_43
; %bb.44:                               ;   in Loop: Header=BB9_42 Depth=4
	s_add_co_i32 s14, s14, 1
	s_add_co_i32 s26, s26, 32
	s_cmp_eq_u32 s14, s16
	s_cbranch_scc0 .LBB9_42
.LBB9_45:                               ;   in Loop: Header=BB9_38 Depth=3
	s_mov_b64 s[24:25], 0
	s_mov_b32 s14, s38
	s_branch .LBB9_48
.LBB9_46:                               ;   in Loop: Header=BB9_48 Depth=4
	s_mov_b64 s[26:27], s[24:25]
.LBB9_47:                               ;   in Loop: Header=BB9_48 Depth=4
	s_wait_alu 0xfffe
	s_mov_b32 m0, s26
	s_add_co_i32 s26, s24, s16
	v_movrels_b32_e32 v13, v2
	s_wait_alu 0xfffe
	s_mul_i32 s27, s26, 36
	s_add_nc_u64 s[24:25], s[24:25], 1
	s_wait_alu 0xfffe
	v_mov_b32_e32 v12, s27
	s_ashr_i32 s27, s26, 31
	s_add_co_i32 s14, s14, 4
	s_wait_alu 0xfffe
	s_lshl_b64 s[26:27], s[26:27], 2
	s_cmp_eq_u32 s24, s37
	ds_load_b32 v12, v12
	s_wait_dscnt 0x0
	v_mul_f32_e32 v16, v13, v12
	s_wait_alu 0xfffe
	v_add_co_u32 v12, vcc_lo, v28, s26
	s_wait_alu 0xfffd
	v_add_co_ci_u32_e64 v13, null, s27, v29, vcc_lo
	v_movreld_b32_e32 v2, v16
	flat_store_b32 v[12:13], v16
	s_cbranch_scc1 .LBB9_37
.LBB9_48:                               ;   Parent Loop BB9_5 Depth=1
                                        ;     Parent Loop BB9_35 Depth=2
                                        ;       Parent Loop BB9_38 Depth=3
                                        ; =>      This Loop Header: Depth=4
                                        ;           Child Loop BB9_50 Depth 5
	s_mov_b64 s[26:27], 0
	s_wait_alu 0xfffe
	s_cmp_eq_u32 s24, 0
	s_cbranch_scc1 .LBB9_47
; %bb.49:                               ;   in Loop: Header=BB9_48 Depth=4
	s_mov_b32 s40, s14
.LBB9_50:                               ;   Parent Loop BB9_5 Depth=1
                                        ;     Parent Loop BB9_35 Depth=2
                                        ;       Parent Loop BB9_38 Depth=3
                                        ;         Parent Loop BB9_48 Depth=4
                                        ; =>        This Inner Loop Header: Depth=5
	s_wait_alu 0xfffe
	v_mov_b32_e32 v12, s40
	s_mov_b32 m0, s26
	s_add_nc_u64 s[26:27], s[26:27], 1
	v_movrels_b32_e32 v13, v2
	s_mov_b32 m0, s24
	ds_load_b32 v12, v12
	v_movrels_b32_e32 v16, v2
	s_add_co_i32 s40, s40, 32
	s_wait_alu 0xfffe
	s_cmp_eq_u32 s24, s26
	s_wait_dscnt 0x0
	v_fma_f32 v12, -v13, v12, v16
	s_delay_alu instid0(VALU_DEP_1)
	v_movreld_b32_e32 v2, v12
	s_cbranch_scc0 .LBB9_50
	s_branch .LBB9_46
.LBB9_51:                               ;   in Loop: Header=BB9_35 Depth=2
	s_cmp_lt_i32 s16, s30
	s_cselect_b32 s17, -1, 0
	s_add_co_i32 s14, s18, 1
	s_cmp_lt_u32 s18, 2
	s_cselect_b32 s18, -1, 0
	s_wait_alu 0xfffe
	s_and_b32 s17, s17, s18
	s_delay_alu instid0(SALU_CYCLE_1)
	s_and_not1_b32 vcc_lo, exec_lo, s17
	s_wait_alu 0xfffe
	s_cbranch_vccnz .LBB9_2
; %bb.52:                               ;   in Loop: Header=BB9_35 Depth=2
	s_mov_b32 s18, s14
	s_branch .LBB9_35
.LBB9_53:
	s_endpgm
	.section	.rodata,"a",@progbits
	.p2align	6, 0x0
	.amdhsa_kernel _ZL30rocblas_trsm_small_left_deviceILi8ELi8ELb1EffPKPKfPKPfEv13rocblas_fill_18rocblas_operation_17rocblas_diagonal_iiT3_T4_lilT5_lili
		.amdhsa_group_segment_fixed_size 256
		.amdhsa_private_segment_fixed_size 0
		.amdhsa_kernarg_size 352
		.amdhsa_user_sgpr_count 2
		.amdhsa_user_sgpr_dispatch_ptr 0
		.amdhsa_user_sgpr_queue_ptr 0
		.amdhsa_user_sgpr_kernarg_segment_ptr 1
		.amdhsa_user_sgpr_dispatch_id 0
		.amdhsa_user_sgpr_private_segment_size 0
		.amdhsa_wavefront_size32 1
		.amdhsa_uses_dynamic_stack 0
		.amdhsa_enable_private_segment 0
		.amdhsa_system_sgpr_workgroup_id_x 1
		.amdhsa_system_sgpr_workgroup_id_y 0
		.amdhsa_system_sgpr_workgroup_id_z 1
		.amdhsa_system_sgpr_workgroup_info 0
		.amdhsa_system_vgpr_workitem_id 0
		.amdhsa_next_free_vgpr 33
		.amdhsa_next_free_sgpr 43
		.amdhsa_reserve_vcc 1
		.amdhsa_float_round_mode_32 0
		.amdhsa_float_round_mode_16_64 0
		.amdhsa_float_denorm_mode_32 3
		.amdhsa_float_denorm_mode_16_64 3
		.amdhsa_fp16_overflow 0
		.amdhsa_workgroup_processor_mode 1
		.amdhsa_memory_ordered 1
		.amdhsa_forward_progress 1
		.amdhsa_inst_pref_size 19
		.amdhsa_round_robin_scheduling 0
		.amdhsa_exception_fp_ieee_invalid_op 0
		.amdhsa_exception_fp_denorm_src 0
		.amdhsa_exception_fp_ieee_div_zero 0
		.amdhsa_exception_fp_ieee_overflow 0
		.amdhsa_exception_fp_ieee_underflow 0
		.amdhsa_exception_fp_ieee_inexact 0
		.amdhsa_exception_int_div_zero 0
	.end_amdhsa_kernel
	.section	.text._ZL30rocblas_trsm_small_left_deviceILi8ELi8ELb1EffPKPKfPKPfEv13rocblas_fill_18rocblas_operation_17rocblas_diagonal_iiT3_T4_lilT5_lili,"axG",@progbits,_ZL30rocblas_trsm_small_left_deviceILi8ELi8ELb1EffPKPKfPKPfEv13rocblas_fill_18rocblas_operation_17rocblas_diagonal_iiT3_T4_lilT5_lili,comdat
.Lfunc_end9:
	.size	_ZL30rocblas_trsm_small_left_deviceILi8ELi8ELb1EffPKPKfPKPfEv13rocblas_fill_18rocblas_operation_17rocblas_diagonal_iiT3_T4_lilT5_lili, .Lfunc_end9-_ZL30rocblas_trsm_small_left_deviceILi8ELi8ELb1EffPKPKfPKPfEv13rocblas_fill_18rocblas_operation_17rocblas_diagonal_iiT3_T4_lilT5_lili
                                        ; -- End function
	.set _ZL30rocblas_trsm_small_left_deviceILi8ELi8ELb1EffPKPKfPKPfEv13rocblas_fill_18rocblas_operation_17rocblas_diagonal_iiT3_T4_lilT5_lili.num_vgpr, 33
	.set _ZL30rocblas_trsm_small_left_deviceILi8ELi8ELb1EffPKPKfPKPfEv13rocblas_fill_18rocblas_operation_17rocblas_diagonal_iiT3_T4_lilT5_lili.num_agpr, 0
	.set _ZL30rocblas_trsm_small_left_deviceILi8ELi8ELb1EffPKPKfPKPfEv13rocblas_fill_18rocblas_operation_17rocblas_diagonal_iiT3_T4_lilT5_lili.numbered_sgpr, 43
	.set _ZL30rocblas_trsm_small_left_deviceILi8ELi8ELb1EffPKPKfPKPfEv13rocblas_fill_18rocblas_operation_17rocblas_diagonal_iiT3_T4_lilT5_lili.num_named_barrier, 0
	.set _ZL30rocblas_trsm_small_left_deviceILi8ELi8ELb1EffPKPKfPKPfEv13rocblas_fill_18rocblas_operation_17rocblas_diagonal_iiT3_T4_lilT5_lili.private_seg_size, 0
	.set _ZL30rocblas_trsm_small_left_deviceILi8ELi8ELb1EffPKPKfPKPfEv13rocblas_fill_18rocblas_operation_17rocblas_diagonal_iiT3_T4_lilT5_lili.uses_vcc, 1
	.set _ZL30rocblas_trsm_small_left_deviceILi8ELi8ELb1EffPKPKfPKPfEv13rocblas_fill_18rocblas_operation_17rocblas_diagonal_iiT3_T4_lilT5_lili.uses_flat_scratch, 0
	.set _ZL30rocblas_trsm_small_left_deviceILi8ELi8ELb1EffPKPKfPKPfEv13rocblas_fill_18rocblas_operation_17rocblas_diagonal_iiT3_T4_lilT5_lili.has_dyn_sized_stack, 0
	.set _ZL30rocblas_trsm_small_left_deviceILi8ELi8ELb1EffPKPKfPKPfEv13rocblas_fill_18rocblas_operation_17rocblas_diagonal_iiT3_T4_lilT5_lili.has_recursion, 0
	.set _ZL30rocblas_trsm_small_left_deviceILi8ELi8ELb1EffPKPKfPKPfEv13rocblas_fill_18rocblas_operation_17rocblas_diagonal_iiT3_T4_lilT5_lili.has_indirect_call, 0
	.section	.AMDGPU.csdata,"",@progbits
; Kernel info:
; codeLenInByte = 2336
; TotalNumSgprs: 45
; NumVgprs: 33
; ScratchSize: 0
; MemoryBound: 0
; FloatMode: 240
; IeeeMode: 1
; LDSByteSize: 256 bytes/workgroup (compile time only)
; SGPRBlocks: 0
; VGPRBlocks: 4
; NumSGPRsForWavesPerEU: 45
; NumVGPRsForWavesPerEU: 33
; Occupancy: 16
; WaveLimiterHint : 1
; COMPUTE_PGM_RSRC2:SCRATCH_EN: 0
; COMPUTE_PGM_RSRC2:USER_SGPR: 2
; COMPUTE_PGM_RSRC2:TRAP_HANDLER: 0
; COMPUTE_PGM_RSRC2:TGID_X_EN: 1
; COMPUTE_PGM_RSRC2:TGID_Y_EN: 0
; COMPUTE_PGM_RSRC2:TGID_Z_EN: 1
; COMPUTE_PGM_RSRC2:TIDIG_COMP_CNT: 0
	.section	.text._ZL31rocblas_trsm_small_right_deviceIffPKPKfPKPfLi8EEv13rocblas_fill_18rocblas_operation_17rocblas_diagonal_iiT0_T1_lilT2_lili,"axG",@progbits,_ZL31rocblas_trsm_small_right_deviceIffPKPKfPKPfLi8EEv13rocblas_fill_18rocblas_operation_17rocblas_diagonal_iiT0_T1_lilT2_lili,comdat
	.globl	_ZL31rocblas_trsm_small_right_deviceIffPKPKfPKPfLi8EEv13rocblas_fill_18rocblas_operation_17rocblas_diagonal_iiT0_T1_lilT2_lili ; -- Begin function _ZL31rocblas_trsm_small_right_deviceIffPKPKfPKPfLi8EEv13rocblas_fill_18rocblas_operation_17rocblas_diagonal_iiT0_T1_lilT2_lili
	.p2align	8
	.type	_ZL31rocblas_trsm_small_right_deviceIffPKPKfPKPfLi8EEv13rocblas_fill_18rocblas_operation_17rocblas_diagonal_iiT0_T1_lilT2_lili,@function
_ZL31rocblas_trsm_small_right_deviceIffPKPKfPKPfLi8EEv13rocblas_fill_18rocblas_operation_17rocblas_diagonal_iiT0_T1_lilT2_lili: ; @_ZL31rocblas_trsm_small_right_deviceIffPKPKfPKPfLi8EEv13rocblas_fill_18rocblas_operation_17rocblas_diagonal_iiT0_T1_lilT2_lili
; %bb.0:
	s_load_b32 s22, s[0:1], 0x58
	s_lshr_b32 s2, ttmp7, 16
	s_wait_kmcnt 0x0
	s_cmp_ge_u32 s2, s22
	s_cbranch_scc1 .LBB10_82
; %bb.1:
	s_clause 0x6
	s_load_b32 s20, s[0:1], 0x28
	s_load_b32 s30, s[0:1], 0x48
	s_load_b128 s[12:15], s[0:1], 0x0
	s_load_b64 s[16:17], s[0:1], 0x10
	s_load_b32 s3, s[0:1], 0x60
	s_load_b128 s[4:7], s[0:1], 0x18
	s_load_b128 s[8:11], s[0:1], 0x38
	s_mov_b32 s18, ttmp9
	v_dual_mov_b32 v5, 0 :: v_dual_lshlrev_b32 v4, 2, v0
	v_dual_mov_b32 v10, 1.0 :: v_dual_lshlrev_b32 v1, 5, v0
	v_lshlrev_b32_e32 v11, 2, v0
	s_delay_alu instid0(VALU_DEP_3) | instskip(NEXT) | instid1(VALU_DEP_3)
	v_or_b32_e32 v6, 0x100, v4
	v_add_nc_u32_e32 v9, v4, v1
	s_wait_kmcnt 0x0
	s_ashr_i32 s21, s20, 31
	s_ashr_i32 s31, s30, 31
	s_cmp_lg_u32 s12, 0x7a
	s_cselect_b32 s25, -1, 0
	s_min_i32 s1, s16, 8
	s_lshl_b32 s0, ttmp9, 3
	s_add_co_i32 s3, s3, -1
	s_add_co_i32 s23, s1, -1
	s_sub_co_i32 s0, s15, s0
	s_cmp_ge_u32 ttmp9, s3
	s_mul_i32 s33, s1, 36
	s_cselect_b32 s15, s0, 8
	s_ashr_i32 s19, ttmp9, 31
	v_cmp_gt_i32_e32 vcc_lo, s15, v0
	s_lshl_b64 s[18:19], s[18:19], 5
	s_cmp_eq_u32 s14, 0x84
	v_cmp_gt_i32_e64 s0, s1, v0
	s_cselect_b32 s24, -1, 0
	s_cmp_gt_i32 s16, 0
	s_mov_b32 s3, 0
	s_cselect_b32 s14, -1, 0
	s_cmp_lg_u32 s13, 0x6f
	s_cselect_b32 s13, -1, 0
	s_cmp_lg_u32 s12, 0x79
	s_cselect_b32 s12, -1, 0
	s_or_b32 s25, s25, s13
	s_or_b32 s26, s12, s13
	s_cmp_gt_i32 s16, 3
	v_cndmask_b32_e64 v7, 0, 1, s12
	s_cselect_b32 s27, -1, 0
	s_lshl_b64 s[12:13], s[20:21], 2
	s_lshl_b32 s20, s1, 5
	s_lshl_b32 s21, s1, 2
	v_or_b32_e32 v2, s20, v4
	s_wait_alu 0xfffe
	s_and_b32 s28, vcc_lo, s14
	s_lshl_b64 s[14:15], s[30:31], 2
	s_sub_co_i32 s29, s33, 48
	s_sub_co_i32 s30, s20, 32
	v_add_nc_u32_e32 v8, 0xe0, v2
	s_sub_co_i32 s31, s20, 36
	s_addk_co_i32 s33, 0xff7c
	s_add_co_i32 s34, s21, -4
	s_sub_co_i32 s35, s21, 36
	s_lshl_b64 s[6:7], s[6:7], 2
	s_lshl_b64 s[10:11], s[10:11], 2
	s_branch .LBB10_3
.LBB10_2:                               ;   in Loop: Header=BB10_3 Depth=1
	s_wait_alu 0xfffe
	s_or_b32 exec_lo, exec_lo, s20
	s_add_co_i32 s2, s2, 0x10000
	s_delay_alu instid0(SALU_CYCLE_1)
	s_cmp_lt_u32 s2, s22
	s_cbranch_scc0 .LBB10_82
.LBB10_3:                               ; =>This Loop Header: Depth=1
                                        ;     Child Loop BB10_5 Depth 2
                                        ;     Child Loop BB10_10 Depth 2
	;; [unrolled: 1-line block ×3, first 2 shown]
                                        ;       Child Loop BB10_17 Depth 3
                                        ;     Child Loop BB10_23 Depth 2
                                        ;       Child Loop BB10_24 Depth 3
                                        ;     Child Loop BB10_28 Depth 2
	;; [unrolled: 2-line block ×3, first 2 shown]
                                        ;     Child Loop BB10_41 Depth 2
                                        ;       Child Loop BB10_42 Depth 3
                                        ;       Child Loop BB10_44 Depth 3
                                        ;     Child Loop BB10_48 Depth 2
                                        ;       Child Loop BB10_49 Depth 3
                                        ;     Child Loop BB10_57 Depth 2
                                        ;     Child Loop BB10_62 Depth 2
                                        ;       Child Loop BB10_63 Depth 3
                                        ;       Child Loop BB10_65 Depth 3
                                        ;     Child Loop BB10_70 Depth 2
                                        ;       Child Loop BB10_71 Depth 3
                                        ;     Child Loop BB10_77 Depth 2
                                        ;       Child Loop BB10_78 Depth 3
                                        ;     Child Loop BB10_81 Depth 2
	s_lshl_b64 s[20:21], s[2:3], 3
	s_wait_alu 0xfffe
	s_add_nc_u64 s[36:37], s[8:9], s[20:21]
	global_load_b64 v[0:1], v5, s[36:37]
	s_and_saveexec_b32 s36, s0
	s_cbranch_execz .LBB10_8
; %bb.4:                                ;   in Loop: Header=BB10_3 Depth=1
	s_add_nc_u64 s[20:21], s[4:5], s[20:21]
	v_mov_b32_e32 v12, v4
	global_load_b64 v[2:3], v5, s[20:21]
	s_mov_b32 s20, s1
	s_wait_loadcnt 0x0
	v_add_co_u32 v2, vcc_lo, v2, s6
	s_wait_alu 0xfffd
	v_add_co_ci_u32_e64 v3, null, s7, v3, vcc_lo
	s_delay_alu instid0(VALU_DEP_2) | instskip(SKIP_1) | instid1(VALU_DEP_2)
	v_add_co_u32 v2, vcc_lo, v2, v11
	s_wait_alu 0xfffd
	v_add_co_ci_u32_e64 v3, null, 0, v3, vcc_lo
.LBB10_5:                               ;   Parent Loop BB10_3 Depth=1
                                        ; =>  This Inner Loop Header: Depth=2
	flat_load_b32 v13, v[2:3]
	v_add_co_u32 v2, vcc_lo, v2, s12
	s_wait_alu 0xfffd
	v_add_co_ci_u32_e64 v3, null, s13, v3, vcc_lo
	s_wait_alu 0xfffe
	s_add_co_i32 s20, s20, -1
	s_wait_alu 0xfffe
	s_cmp_eq_u32 s20, 0
	s_wait_loadcnt_dscnt 0x0
	ds_store_b32 v12, v13
	v_add_nc_u32_e32 v12, 32, v12
	s_cbranch_scc0 .LBB10_5
; %bb.6:                                ;   in Loop: Header=BB10_3 Depth=1
	s_and_b32 vcc_lo, exec_lo, s24
	s_wait_alu 0xfffe
	s_cbranch_vccz .LBB10_8
; %bb.7:                                ;   in Loop: Header=BB10_3 Depth=1
	ds_store_b32 v9, v10
.LBB10_8:                               ;   in Loop: Header=BB10_3 Depth=1
	s_wait_alu 0xfffe
	s_or_b32 exec_lo, exec_lo, s36
	s_wait_loadcnt 0x0
	v_add_co_u32 v0, vcc_lo, v0, s10
	s_wait_alu 0xfffd
	v_add_co_ci_u32_e64 v1, null, s11, v1, vcc_lo
	s_delay_alu instid0(VALU_DEP_2) | instskip(SKIP_1) | instid1(VALU_DEP_2)
	v_add_co_u32 v2, vcc_lo, v0, s18
	s_wait_alu 0xfffd
	v_add_co_ci_u32_e64 v3, null, s19, v1, vcc_lo
	s_and_saveexec_b32 s20, s28
	s_cbranch_execz .LBB10_11
; %bb.9:                                ;   in Loop: Header=BB10_3 Depth=1
	v_add_co_u32 v0, vcc_lo, v2, v11
	s_wait_alu 0xfffd
	v_add_co_ci_u32_e64 v1, null, 0, v3, vcc_lo
	v_mov_b32_e32 v12, v6
	s_mov_b32 s21, s16
.LBB10_10:                              ;   Parent Loop BB10_3 Depth=1
                                        ; =>  This Inner Loop Header: Depth=2
	flat_load_b32 v13, v[0:1]
	v_add_co_u32 v0, vcc_lo, v0, s14
	s_wait_alu 0xfffd
	v_add_co_ci_u32_e64 v1, null, s15, v1, vcc_lo
	s_wait_alu 0xfffe
	s_add_co_i32 s21, s21, -1
	s_wait_alu 0xfffe
	s_cmp_lg_u32 s21, 0
	s_wait_loadcnt_dscnt 0x0
	v_mul_f32_e32 v13, s17, v13
	ds_store_b32 v12, v13
	v_add_nc_u32_e32 v12, 32, v12
	s_cbranch_scc1 .LBB10_10
.LBB10_11:                              ;   in Loop: Header=BB10_3 Depth=1
	s_wait_alu 0xfffe
	s_or_b32 exec_lo, exec_lo, s20
	s_delay_alu instid0(SALU_CYCLE_1)
	s_and_b32 vcc_lo, exec_lo, s26
	s_mov_b32 s20, -1
	s_wait_dscnt 0x0
	; wave barrier
	global_inv scope:SCOPE_SE
	s_wait_alu 0xfffe
	s_cbranch_vccz .LBB10_67
; %bb.12:                               ;   in Loop: Header=BB10_3 Depth=1
	s_and_b32 vcc_lo, exec_lo, s25
	s_wait_alu 0xfffe
	s_cbranch_vccz .LBB10_46
; %bb.13:                               ;   in Loop: Header=BB10_3 Depth=1
	v_cmp_ne_u32_e32 vcc_lo, 1, v7
	s_cbranch_vccnz .LBB10_26
; %bb.14:                               ;   in Loop: Header=BB10_3 Depth=1
	s_and_not1_b32 vcc_lo, exec_lo, s27
	s_mov_b32 s36, 0
	s_wait_alu 0xfffe
	s_cbranch_vccnz .LBB10_20
; %bb.15:                               ;   in Loop: Header=BB10_3 Depth=1
	s_mov_b32 s20, 0
	s_mov_b32 s21, 0
.LBB10_16:                              ;   Parent Loop BB10_3 Depth=1
                                        ; =>  This Loop Header: Depth=2
                                        ;       Child Loop BB10_17 Depth 3
	s_wait_alu 0xfffe
	s_lshl_b32 s37, s21, 5
	s_or_b32 s36, s21, 1
	s_wait_alu 0xfffe
	v_add_nc_u32_e32 v12, s37, v6
	s_or_b32 s38, s37, 0x60
	v_lshl_add_u32 v14, s36, 5, v6
	s_wait_alu 0xfffe
	v_dual_mov_b32 v16, v6 :: v_dual_add_nc_u32 v13, s38, v6
	ds_load_2addr_b32 v[0:1], v12 offset1:16
	ds_load_b32 v17, v14
	ds_load_b32 v15, v13
	s_cmp_eq_u32 s21, 0
	s_mov_b32 s38, s20
	s_mov_b32 s39, s21
	s_cbranch_scc1 .LBB10_18
.LBB10_17:                              ;   Parent Loop BB10_3 Depth=1
                                        ;     Parent Loop BB10_16 Depth=2
                                        ; =>    This Inner Loop Header: Depth=3
	s_wait_alu 0xfffe
	v_mov_b32_e32 v18, s38
	s_add_co_i32 s39, s39, -1
	s_add_co_i32 s38, s38, 32
	s_wait_alu 0xfffe
	s_cmp_eq_u32 s39, 0
	ds_load_b32 v22, v16
	ds_load_b128 v[18:21], v18
	v_add_nc_u32_e32 v16, 32, v16
	s_wait_dscnt 0x0
	v_fma_f32 v0, -v22, v18, v0
	v_fma_f32 v17, -v22, v19, v17
	;; [unrolled: 1-line block ×4, first 2 shown]
	s_cbranch_scc0 .LBB10_17
.LBB10_18:                              ;   in Loop: Header=BB10_16 Depth=2
	s_lshl_b32 s38, s21, 2
	s_lshl_b32 s36, s36, 2
	s_wait_alu 0xfffe
	s_add_co_i32 s37, s38, s37
	s_add_co_i32 s20, s20, 16
	s_wait_alu 0xfffe
	v_mov_b32_e32 v24, s37
	s_add_co_i32 s37, s37, 36
	ds_load_b128 v[18:21], v24
	ds_load_2addr_b32 v[22:23], v24 offset0:9 offset1:10
	s_wait_alu 0xfffe
	s_sub_co_i32 s36, s37, s36
	s_wait_alu 0xfffe
	s_add_co_i32 s36, s36, s38
	s_wait_dscnt 0x1
	v_div_scale_f32 v25, null, v18, v18, v0
	v_div_scale_f32 v28, vcc_lo, v0, v18, v0
	s_delay_alu instid0(VALU_DEP_2) | instskip(NEXT) | instid1(TRANS32_DEP_1)
	v_rcp_f32_e32 v26, v25
	v_fma_f32 v27, -v25, v26, 1.0
	s_delay_alu instid0(VALU_DEP_1) | instskip(NEXT) | instid1(VALU_DEP_1)
	v_fmac_f32_e32 v26, v27, v26
	v_dual_mul_f32 v27, v28, v26 :: v_dual_add_nc_u32 v16, 64, v12
	s_delay_alu instid0(VALU_DEP_1) | instskip(NEXT) | instid1(VALU_DEP_1)
	v_fma_f32 v29, -v25, v27, v28
	v_fmac_f32_e32 v27, v29, v26
	s_delay_alu instid0(VALU_DEP_1) | instskip(SKIP_1) | instid1(VALU_DEP_1)
	v_fma_f32 v25, -v25, v27, v28
	s_wait_alu 0xfffd
	v_div_fmas_f32 v25, v25, v26, v27
	s_delay_alu instid0(VALU_DEP_1) | instskip(NEXT) | instid1(VALU_DEP_1)
	v_div_fixup_f32 v0, v25, v18, v0
	v_fma_f32 v19, -v0, v19, v17
	v_fma_f32 v1, -v0, v20, v1
	;; [unrolled: 1-line block ×3, first 2 shown]
	ds_load_b32 v20, v24 offset:108
	s_wait_dscnt 0x1
	v_div_scale_f32 v25, null, v22, v22, v19
	v_div_scale_f32 v27, vcc_lo, v19, v22, v19
	s_delay_alu instid0(VALU_DEP_2) | instskip(NEXT) | instid1(TRANS32_DEP_1)
	v_rcp_f32_e32 v26, v25
	v_fma_f32 v17, -v25, v26, 1.0
	s_delay_alu instid0(VALU_DEP_1) | instskip(NEXT) | instid1(VALU_DEP_1)
	v_fmac_f32_e32 v26, v17, v26
	v_mul_f32_e32 v28, v27, v26
	s_delay_alu instid0(VALU_DEP_1) | instskip(NEXT) | instid1(VALU_DEP_1)
	v_fma_f32 v17, -v25, v28, v27
	v_fmac_f32_e32 v28, v17, v26
	ds_load_b64 v[17:18], v24 offset:72
	v_fma_f32 v25, -v25, v28, v27
	s_wait_alu 0xfffd
	s_delay_alu instid0(VALU_DEP_1) | instskip(NEXT) | instid1(VALU_DEP_1)
	v_div_fmas_f32 v25, v25, v26, v28
	v_div_fixup_f32 v19, v25, v22, v19
	s_delay_alu instid0(VALU_DEP_1) | instskip(SKIP_1) | instid1(VALU_DEP_1)
	v_fma_f32 v1, -v19, v23, v1
	s_wait_dscnt 0x0
	v_div_scale_f32 v22, null, v17, v17, v1
	v_div_scale_f32 v25, vcc_lo, v1, v17, v1
	s_delay_alu instid0(VALU_DEP_2) | instskip(NEXT) | instid1(TRANS32_DEP_1)
	v_rcp_f32_e32 v23, v22
	v_fma_f32 v24, -v22, v23, 1.0
	s_wait_alu 0xfffe
	s_delay_alu instid0(VALU_DEP_1)
	v_dual_fmac_f32 v23, v24, v23 :: v_dual_mov_b32 v24, s36
	s_add_co_i32 s36, s21, 4
	s_add_co_i32 s21, s21, 7
	s_wait_alu 0xfffe
	s_cmp_ge_i32 s21, s1
	v_mul_f32_e32 v26, v25, v23
	ds_load_b32 v24, v24 offset:12
	v_fma_f32 v27, -v22, v26, v25
	s_delay_alu instid0(VALU_DEP_1) | instskip(NEXT) | instid1(VALU_DEP_1)
	v_fmac_f32_e32 v26, v27, v23
	v_fma_f32 v22, -v22, v26, v25
	s_wait_alu 0xfffd
	s_delay_alu instid0(VALU_DEP_1) | instskip(SKIP_2) | instid1(VALU_DEP_2)
	v_div_fmas_f32 v21, v22, v23, v26
	s_wait_dscnt 0x0
	v_fma_f32 v15, -v19, v24, v15
	v_div_fixup_f32 v1, v21, v17, v1
	s_delay_alu instid0(VALU_DEP_1) | instskip(NEXT) | instid1(VALU_DEP_1)
	v_fma_f32 v15, -v1, v18, v15
	v_div_scale_f32 v17, null, v20, v20, v15
	v_div_scale_f32 v22, vcc_lo, v15, v20, v15
	s_delay_alu instid0(VALU_DEP_2) | instskip(NEXT) | instid1(TRANS32_DEP_1)
	v_rcp_f32_e32 v18, v17
	v_fma_f32 v21, -v17, v18, 1.0
	s_delay_alu instid0(VALU_DEP_1) | instskip(NEXT) | instid1(VALU_DEP_1)
	v_fmac_f32_e32 v18, v21, v18
	v_mul_f32_e32 v21, v22, v18
	s_delay_alu instid0(VALU_DEP_1) | instskip(NEXT) | instid1(VALU_DEP_1)
	v_fma_f32 v23, -v17, v21, v22
	v_fmac_f32_e32 v21, v23, v18
	s_delay_alu instid0(VALU_DEP_1) | instskip(SKIP_1) | instid1(VALU_DEP_1)
	v_fma_f32 v17, -v17, v21, v22
	s_wait_alu 0xfffd
	v_div_fmas_f32 v17, v17, v18, v21
	s_delay_alu instid0(VALU_DEP_1)
	v_div_fixup_f32 v15, v17, v20, v15
	ds_store_b32 v12, v0
	ds_store_b32 v14, v19
	;; [unrolled: 1-line block ×4, first 2 shown]
	s_cbranch_scc1 .LBB10_20
; %bb.19:                               ;   in Loop: Header=BB10_16 Depth=2
	s_mov_b32 s21, s36
	s_branch .LBB10_16
.LBB10_20:                              ;   in Loop: Header=BB10_3 Depth=1
	s_cmp_ge_i32 s36, s1
	s_cbranch_scc1 .LBB10_25
; %bb.21:                               ;   in Loop: Header=BB10_3 Depth=1
	s_lshl_b32 s20, s36, 2
	s_branch .LBB10_23
.LBB10_22:                              ;   in Loop: Header=BB10_23 Depth=2
	s_lshl_b32 s37, s36, 2
	s_add_co_i32 s36, s36, 1
	s_wait_alu 0xfffe
	s_add_co_i32 s21, s37, s21
	s_add_co_i32 s20, s20, 4
	s_wait_alu 0xfffe
	v_mov_b32_e32 v12, s21
	s_cmp_ge_i32 s36, s1
	ds_load_b32 v12, v12
	s_wait_dscnt 0x0
	v_div_scale_f32 v13, null, v12, v12, v1
	s_delay_alu instid0(VALU_DEP_1) | instskip(NEXT) | instid1(TRANS32_DEP_1)
	v_rcp_f32_e32 v14, v13
	v_fma_f32 v15, -v13, v14, 1.0
	s_delay_alu instid0(VALU_DEP_1) | instskip(SKIP_1) | instid1(VALU_DEP_1)
	v_fmac_f32_e32 v14, v15, v14
	v_div_scale_f32 v15, vcc_lo, v1, v12, v1
	v_mul_f32_e32 v16, v15, v14
	s_delay_alu instid0(VALU_DEP_1) | instskip(NEXT) | instid1(VALU_DEP_1)
	v_fma_f32 v17, -v13, v16, v15
	v_fmac_f32_e32 v16, v17, v14
	s_delay_alu instid0(VALU_DEP_1) | instskip(SKIP_1) | instid1(VALU_DEP_1)
	v_fma_f32 v13, -v13, v16, v15
	s_wait_alu 0xfffd
	v_div_fmas_f32 v13, v13, v14, v16
	s_delay_alu instid0(VALU_DEP_1)
	v_div_fixup_f32 v1, v13, v12, v1
	ds_store_b32 v0, v1
	s_cbranch_scc1 .LBB10_25
.LBB10_23:                              ;   Parent Loop BB10_3 Depth=1
                                        ; =>  This Loop Header: Depth=2
                                        ;       Child Loop BB10_24 Depth 3
	s_lshl_b32 s21, s36, 5
	v_mov_b32_e32 v12, v6
	s_wait_alu 0xfffe
	v_add_nc_u32_e32 v0, s21, v6
	s_cmp_eq_u32 s36, 0
	s_mov_b32 s37, s20
	s_mov_b32 s38, s36
	ds_load_b32 v1, v0
	s_cbranch_scc1 .LBB10_22
.LBB10_24:                              ;   Parent Loop BB10_3 Depth=1
                                        ;     Parent Loop BB10_23 Depth=2
                                        ; =>    This Inner Loop Header: Depth=3
	s_wait_alu 0xfffe
	v_mov_b32_e32 v13, s37
	s_add_co_i32 s38, s38, -1
	s_add_co_i32 s37, s37, 32
	s_wait_alu 0xfffe
	s_cmp_eq_u32 s38, 0
	ds_load_b32 v14, v12
	ds_load_b32 v13, v13
	v_add_nc_u32_e32 v12, 32, v12
	s_wait_dscnt 0x0
	v_fma_f32 v1, -v14, v13, v1
	s_cbranch_scc0 .LBB10_24
	s_branch .LBB10_22
.LBB10_25:                              ;   in Loop: Header=BB10_3 Depth=1
	s_mov_b32 s20, 0
.LBB10_26:                              ;   in Loop: Header=BB10_3 Depth=1
	s_wait_alu 0xfffe
	s_and_b32 vcc_lo, exec_lo, s20
	s_wait_alu 0xfffe
	s_cbranch_vccz .LBB10_45
; %bb.27:                               ;   in Loop: Header=BB10_3 Depth=1
	s_mov_b32 s36, s23
	s_and_not1_b32 vcc_lo, exec_lo, s27
	s_mov_b32 s20, s29
	s_mov_b32 s21, s23
	s_wait_alu 0xfffe
	s_cbranch_vccnz .LBB10_32
.LBB10_28:                              ;   Parent Loop BB10_3 Depth=1
                                        ; =>  This Loop Header: Depth=2
                                        ;       Child Loop BB10_29 Depth 3
	s_wait_alu 0xfffe
	s_add_co_i32 s38, s21, -1
	s_add_co_i32 s39, s21, -3
	v_lshl_add_u32 v0, s21, 5, v6
	s_add_co_i32 s37, s21, -2
	s_wait_alu 0xfffe
	v_lshl_add_u32 v1, s38, 5, v6
	s_lshl_b32 s36, s39, 5
	v_lshl_add_u32 v12, s37, 5, v6
	s_wait_alu 0xfffe
	v_dual_mov_b32 v18, v8 :: v_dual_add_nc_u32 v13, s36, v6
	ds_load_b32 v17, v0
	ds_load_b32 v16, v1
	;; [unrolled: 1-line block ×4, first 2 shown]
	s_cmp_le_i32 s23, s21
	s_mov_b32 s40, s20
	s_mov_b32 s41, s23
	s_cbranch_scc1 .LBB10_30
.LBB10_29:                              ;   Parent Loop BB10_3 Depth=1
                                        ;     Parent Loop BB10_28 Depth=2
                                        ; =>    This Inner Loop Header: Depth=3
	s_wait_alu 0xfffe
	v_mov_b32_e32 v21, s40
	s_add_co_i32 s41, s41, -1
	s_sub_co_i32 s40, s40, 32
	s_wait_alu 0xfffe
	s_cmp_le_i32 s41, s21
	ds_load_b32 v23, v18
	ds_load_2addr_b32 v[19:20], v21 offset0:2 offset1:3
	ds_load_2addr_b32 v[21:22], v21 offset1:1
	v_subrev_nc_u32_e32 v18, 32, v18
	s_wait_dscnt 0x1
	v_fma_f32 v17, -v23, v20, v17
	v_fma_f32 v16, -v23, v19, v16
	s_wait_dscnt 0x0
	v_fma_f32 v15, -v23, v22, v15
	v_fma_f32 v14, -v23, v21, v14
	s_cbranch_scc0 .LBB10_29
.LBB10_30:                              ;   in Loop: Header=BB10_28 Depth=2
	s_lshl_b32 s40, s21, 2
	s_lshl_b32 s41, s21, 5
	;; [unrolled: 1-line block ×3, first 2 shown]
	s_wait_alu 0xfffe
	s_add_co_i32 s41, s40, s41
	s_add_co_i32 s36, s40, s36
	s_wait_alu 0xfffe
	s_add_co_i32 s42, s41, -4
	s_add_co_i32 s41, s41, -12
	s_wait_alu 0xfffe
	v_dual_mov_b32 v18, s42 :: v_dual_mov_b32 v21, s41
	s_lshl_b32 s42, s38, 5
	s_lshl_b32 s38, s38, 2
	s_wait_alu 0xfffe
	s_add_co_i32 s42, s40, s42
	ds_load_2addr_b32 v[18:19], v18 offset1:1
	s_wait_alu 0xfffe
	s_add_co_i32 s42, s42, -4
	s_add_co_i32 s36, s36, -12
	s_wait_alu 0xfffe
	s_sub_co_i32 s38, s42, s38
	s_add_co_i32 s20, s20, -16
	s_wait_alu 0xfffe
	s_add_co_i32 s38, s38, s39
	s_wait_dscnt 0x0
	v_div_scale_f32 v25, null, v19, v19, v17
	v_div_scale_f32 v28, vcc_lo, v17, v19, v17
	s_delay_alu instid0(VALU_DEP_2) | instskip(NEXT) | instid1(TRANS32_DEP_1)
	v_rcp_f32_e32 v26, v25
	v_fma_f32 v27, -v25, v26, 1.0
	s_delay_alu instid0(VALU_DEP_1) | instskip(NEXT) | instid1(VALU_DEP_1)
	v_fmac_f32_e32 v26, v27, v26
	v_dual_mov_b32 v20, s42 :: v_dual_mul_f32 v27, v28, v26
	s_delay_alu instid0(VALU_DEP_1)
	v_fma_f32 v29, -v25, v27, v28
	s_wait_alu 0xfffe
	v_mov_b32_e32 v22, s38
	s_lshl_b32 s38, s37, 5
	s_lshl_b32 s37, s37, 2
	s_wait_alu 0xfffe
	s_add_co_i32 s38, s40, s38
	v_fmac_f32_e32 v27, v29, v26
	ds_load_b32 v24, v20
	ds_load_2addr_b32 v[20:21], v21 offset1:1
	ds_load_2addr_b32 v[22:23], v22 offset1:1
	s_wait_alu 0xfffe
	s_sub_co_i32 s37, s38, s37
	s_wait_alu 0xfffe
	s_add_co_i32 s37, s37, s39
	v_fma_f32 v25, -v25, v27, v28
	s_wait_alu 0xfffe
	s_add_co_i32 s37, s37, -8
	s_wait_alu 0xfffd
	s_delay_alu instid0(VALU_DEP_1) | instskip(NEXT) | instid1(VALU_DEP_1)
	v_div_fmas_f32 v25, v25, v26, v27
	v_div_fixup_f32 v19, v25, v19, v17
	s_wait_alu 0xfffe
	v_mov_b32_e32 v17, s37
	s_delay_alu instid0(VALU_DEP_2)
	v_fma_f32 v18, -v19, v18, v16
	s_wait_dscnt 0x1
	v_fma_f32 v15, -v19, v21, v15
	v_fma_f32 v14, -v19, v20, v14
	v_mov_b32_e32 v21, s36
	s_add_co_i32 s36, s21, -4
	v_div_scale_f32 v25, null, v24, v24, v18
	v_div_scale_f32 v27, vcc_lo, v18, v24, v18
	s_cmp_lt_i32 s21, 7
	v_rcp_f32_e32 v26, v25
	ds_load_b32 v21, v21
	v_fma_f32 v16, -v25, v26, 1.0
	s_delay_alu instid0(VALU_DEP_1) | instskip(NEXT) | instid1(VALU_DEP_1)
	v_fmac_f32_e32 v26, v16, v26
	v_mul_f32_e32 v28, v27, v26
	s_delay_alu instid0(VALU_DEP_1) | instskip(NEXT) | instid1(VALU_DEP_1)
	v_fma_f32 v16, -v25, v28, v27
	v_fmac_f32_e32 v28, v16, v26
	ds_load_2addr_b32 v[16:17], v17 offset1:1
	v_fma_f32 v25, -v25, v28, v27
	s_wait_alu 0xfffd
	s_delay_alu instid0(VALU_DEP_1) | instskip(NEXT) | instid1(VALU_DEP_1)
	v_div_fmas_f32 v25, v25, v26, v28
	v_div_fixup_f32 v18, v25, v24, v18
	s_wait_dscnt 0x2
	s_delay_alu instid0(VALU_DEP_1) | instskip(SKIP_2) | instid1(VALU_DEP_2)
	v_fma_f32 v15, -v18, v23, v15
	v_fma_f32 v14, -v18, v22, v14
	s_wait_dscnt 0x0
	v_div_scale_f32 v23, null, v17, v17, v15
	v_div_scale_f32 v26, vcc_lo, v15, v17, v15
	s_delay_alu instid0(VALU_DEP_2) | instskip(NEXT) | instid1(TRANS32_DEP_1)
	v_rcp_f32_e32 v24, v23
	v_fma_f32 v25, -v23, v24, 1.0
	s_delay_alu instid0(VALU_DEP_1) | instskip(NEXT) | instid1(VALU_DEP_1)
	v_fmac_f32_e32 v24, v25, v24
	v_mul_f32_e32 v25, v26, v24
	s_delay_alu instid0(VALU_DEP_1) | instskip(NEXT) | instid1(VALU_DEP_1)
	v_fma_f32 v27, -v23, v25, v26
	v_fmac_f32_e32 v25, v27, v24
	s_delay_alu instid0(VALU_DEP_1) | instskip(SKIP_1) | instid1(VALU_DEP_1)
	v_fma_f32 v23, -v23, v25, v26
	s_wait_alu 0xfffd
	v_div_fmas_f32 v20, v23, v24, v25
	s_delay_alu instid0(VALU_DEP_1) | instskip(NEXT) | instid1(VALU_DEP_1)
	v_div_fixup_f32 v15, v20, v17, v15
	v_fma_f32 v14, -v15, v16, v14
	s_delay_alu instid0(VALU_DEP_1) | instskip(SKIP_1) | instid1(VALU_DEP_2)
	v_div_scale_f32 v16, null, v21, v21, v14
	v_div_scale_f32 v22, vcc_lo, v14, v21, v14
	v_rcp_f32_e32 v17, v16
	s_delay_alu instid0(TRANS32_DEP_1) | instskip(NEXT) | instid1(VALU_DEP_1)
	v_fma_f32 v20, -v16, v17, 1.0
	v_fmac_f32_e32 v17, v20, v17
	s_delay_alu instid0(VALU_DEP_1) | instskip(NEXT) | instid1(VALU_DEP_1)
	v_mul_f32_e32 v20, v22, v17
	v_fma_f32 v23, -v16, v20, v22
	s_delay_alu instid0(VALU_DEP_1) | instskip(NEXT) | instid1(VALU_DEP_1)
	v_fmac_f32_e32 v20, v23, v17
	v_fma_f32 v16, -v16, v20, v22
	s_wait_alu 0xfffd
	s_delay_alu instid0(VALU_DEP_1) | instskip(NEXT) | instid1(VALU_DEP_1)
	v_div_fmas_f32 v16, v16, v17, v20
	v_div_fixup_f32 v14, v16, v21, v14
	ds_store_b32 v0, v19
	ds_store_b32 v1, v18
	;; [unrolled: 1-line block ×4, first 2 shown]
	s_cbranch_scc1 .LBB10_32
; %bb.31:                               ;   in Loop: Header=BB10_28 Depth=2
	s_wait_alu 0xfffe
	s_mov_b32 s21, s36
	s_branch .LBB10_28
.LBB10_32:                              ;   in Loop: Header=BB10_3 Depth=1
	s_wait_alu 0xfffe
	s_cmp_lt_i32 s36, 0
	s_cbranch_scc1 .LBB10_45
; %bb.33:                               ;   in Loop: Header=BB10_3 Depth=1
	s_bitcmp1_b32 s36, 0
	s_cselect_b32 s20, -1, 0
	s_wait_alu 0xfffe
	s_and_b32 vcc_lo, exec_lo, s20
	s_mov_b32 s20, s36
	s_wait_alu 0xfffe
	s_cbranch_vccnz .LBB10_38
; %bb.34:                               ;   in Loop: Header=BB10_3 Depth=1
	s_lshl_b32 s20, s36, 5
	s_cmp_le_i32 s23, s36
	s_wait_alu 0xfffe
	v_add_nc_u32_e32 v0, s20, v6
	ds_load_b32 v1, v0
	s_cbranch_scc1 .LBB10_37
; %bb.35:                               ;   in Loop: Header=BB10_3 Depth=1
	v_mov_b32_e32 v12, v8
	s_lshl_b32 s21, s36, 2
	s_mov_b32 s37, s23
	s_wait_alu 0xfffe
	s_add_co_i32 s21, s30, s21
.LBB10_36:                              ;   Parent Loop BB10_3 Depth=1
                                        ; =>  This Inner Loop Header: Depth=2
	s_wait_alu 0xfffe
	v_mov_b32_e32 v13, s21
	s_add_co_i32 s37, s37, -1
	s_sub_co_i32 s21, s21, 32
	s_wait_alu 0xfffe
	s_cmp_gt_i32 s37, s36
	ds_load_b32 v14, v12
	ds_load_b32 v13, v13
	v_subrev_nc_u32_e32 v12, 32, v12
	s_wait_dscnt 0x0
	v_fma_f32 v1, -v14, v13, v1
	s_cbranch_scc1 .LBB10_36
.LBB10_37:                              ;   in Loop: Header=BB10_3 Depth=1
	s_lshl_b32 s21, s36, 2
	s_wait_alu 0xfffe
	s_add_co_i32 s20, s21, s20
	s_wait_alu 0xfffe
	v_mov_b32_e32 v12, s20
	s_add_co_i32 s20, s36, -1
	ds_load_b32 v12, v12
	s_wait_dscnt 0x0
	v_div_scale_f32 v13, null, v12, v12, v1
	s_delay_alu instid0(VALU_DEP_1) | instskip(NEXT) | instid1(TRANS32_DEP_1)
	v_rcp_f32_e32 v14, v13
	v_fma_f32 v15, -v13, v14, 1.0
	s_delay_alu instid0(VALU_DEP_1) | instskip(SKIP_1) | instid1(VALU_DEP_1)
	v_fmac_f32_e32 v14, v15, v14
	v_div_scale_f32 v15, vcc_lo, v1, v12, v1
	v_mul_f32_e32 v16, v15, v14
	s_delay_alu instid0(VALU_DEP_1) | instskip(NEXT) | instid1(VALU_DEP_1)
	v_fma_f32 v17, -v13, v16, v15
	v_fmac_f32_e32 v16, v17, v14
	s_delay_alu instid0(VALU_DEP_1) | instskip(SKIP_1) | instid1(VALU_DEP_1)
	v_fma_f32 v13, -v13, v16, v15
	s_wait_alu 0xfffd
	v_div_fmas_f32 v13, v13, v14, v16
	s_delay_alu instid0(VALU_DEP_1)
	v_div_fixup_f32 v1, v13, v12, v1
	ds_store_b32 v0, v1
.LBB10_38:                              ;   in Loop: Header=BB10_3 Depth=1
	s_cmp_eq_u32 s36, 0
	s_cbranch_scc1 .LBB10_45
; %bb.39:                               ;   in Loop: Header=BB10_3 Depth=1
	s_wait_alu 0xfffe
	s_lshl_b32 s36, s20, 2
	s_wait_alu 0xfffe
	s_add_co_i32 s21, s30, s36
	s_add_co_i32 s36, s31, s36
	s_branch .LBB10_41
.LBB10_40:                              ;   in Loop: Header=BB10_41 Depth=2
	s_add_co_i32 s37, s37, s38
	s_add_co_i32 s21, s21, -8
	s_wait_alu 0xfffe
	s_add_co_i32 s37, s37, -4
	s_add_co_i32 s36, s36, -8
	s_wait_alu 0xfffe
	v_mov_b32_e32 v0, s37
	s_add_co_i32 s37, s20, -2
	s_cmp_lt_i32 s20, 2
	s_wait_alu 0xfffe
	s_mov_b32 s20, s37
	ds_load_b32 v0, v0
	s_wait_dscnt 0x0
	v_div_scale_f32 v12, null, v0, v0, v13
	v_div_scale_f32 v16, vcc_lo, v13, v0, v13
	s_delay_alu instid0(VALU_DEP_2) | instskip(NEXT) | instid1(TRANS32_DEP_1)
	v_rcp_f32_e32 v14, v12
	v_fma_f32 v15, -v12, v14, 1.0
	s_delay_alu instid0(VALU_DEP_1) | instskip(NEXT) | instid1(VALU_DEP_1)
	v_fmac_f32_e32 v14, v15, v14
	v_mul_f32_e32 v15, v16, v14
	s_delay_alu instid0(VALU_DEP_1) | instskip(NEXT) | instid1(VALU_DEP_1)
	v_fma_f32 v17, -v12, v15, v16
	v_fmac_f32_e32 v15, v17, v14
	s_delay_alu instid0(VALU_DEP_1) | instskip(SKIP_1) | instid1(VALU_DEP_1)
	v_fma_f32 v12, -v12, v15, v16
	s_wait_alu 0xfffd
	v_div_fmas_f32 v12, v12, v14, v15
	s_delay_alu instid0(VALU_DEP_1)
	v_div_fixup_f32 v0, v12, v0, v13
	ds_store_b32 v1, v0
	s_cbranch_scc1 .LBB10_45
.LBB10_41:                              ;   Parent Loop BB10_3 Depth=1
                                        ; =>  This Loop Header: Depth=2
                                        ;       Child Loop BB10_42 Depth 3
                                        ;       Child Loop BB10_44 Depth 3
	s_wait_alu 0xfffe
	s_lshl_b32 s38, s20, 5
	s_cmp_le_i32 s23, s20
	s_wait_alu 0xfffe
	v_dual_mov_b32 v1, v8 :: v_dual_add_nc_u32 v0, s38, v6
	s_mov_b32 s37, s21
	s_mov_b32 s39, s23
	ds_load_b32 v12, v0
	s_cbranch_scc1 .LBB10_43
.LBB10_42:                              ;   Parent Loop BB10_3 Depth=1
                                        ;     Parent Loop BB10_41 Depth=2
                                        ; =>    This Inner Loop Header: Depth=3
	s_wait_alu 0xfffe
	v_mov_b32_e32 v13, s37
	s_add_co_i32 s39, s39, -1
	s_sub_co_i32 s37, s37, 32
	s_wait_alu 0xfffe
	s_cmp_le_i32 s39, s20
	ds_load_b32 v14, v1
	ds_load_b32 v13, v13
	v_subrev_nc_u32_e32 v1, 32, v1
	s_wait_dscnt 0x0
	v_fma_f32 v12, -v14, v13, v12
	s_cbranch_scc0 .LBB10_42
.LBB10_43:                              ;   in Loop: Header=BB10_41 Depth=2
	s_lshl_b32 s37, s20, 2
	s_mov_b32 s40, s1
	s_wait_alu 0xfffe
	s_add_co_i32 s39, s37, s38
	s_sub_co_i32 s38, s38, 32
	s_wait_alu 0xfffe
	v_mov_b32_e32 v1, s39
	s_cmp_le_i32 s1, s20
	s_mov_b32 s39, s36
	ds_load_b32 v14, v1
	s_wait_dscnt 0x0
	v_div_scale_f32 v15, null, v14, v14, v12
	s_delay_alu instid0(VALU_DEP_1) | instskip(NEXT) | instid1(TRANS32_DEP_1)
	v_rcp_f32_e32 v16, v15
	v_fma_f32 v17, -v15, v16, 1.0
	s_delay_alu instid0(VALU_DEP_1) | instskip(SKIP_1) | instid1(VALU_DEP_1)
	v_fmac_f32_e32 v16, v17, v16
	v_div_scale_f32 v17, vcc_lo, v12, v14, v12
	v_dual_mul_f32 v18, v17, v16 :: v_dual_add_nc_u32 v1, s38, v6
	ds_load_b32 v13, v1
	v_fma_f32 v19, -v15, v18, v17
	s_delay_alu instid0(VALU_DEP_1) | instskip(NEXT) | instid1(VALU_DEP_1)
	v_fmac_f32_e32 v18, v19, v16
	v_fma_f32 v15, -v15, v18, v17
	s_wait_alu 0xfffd
	s_delay_alu instid0(VALU_DEP_1) | instskip(NEXT) | instid1(VALU_DEP_1)
	v_div_fmas_f32 v15, v15, v16, v18
	v_div_fixup_f32 v14, v15, v14, v12
	v_mov_b32_e32 v12, v8
	ds_store_b32 v0, v14
	s_cbranch_scc1 .LBB10_40
.LBB10_44:                              ;   Parent Loop BB10_3 Depth=1
                                        ;     Parent Loop BB10_41 Depth=2
                                        ; =>    This Inner Loop Header: Depth=3
	s_wait_alu 0xfffe
	v_mov_b32_e32 v0, s39
	s_add_co_i32 s40, s40, -1
	s_sub_co_i32 s39, s39, 32
	s_wait_alu 0xfffe
	s_cmp_gt_i32 s40, s20
	ds_load_b32 v14, v12
	ds_load_b32 v0, v0
	v_subrev_nc_u32_e32 v12, 32, v12
	s_wait_dscnt 0x0
	v_fma_f32 v13, -v14, v0, v13
	s_cbranch_scc1 .LBB10_44
	s_branch .LBB10_40
.LBB10_45:                              ;   in Loop: Header=BB10_3 Depth=1
	s_mov_b32 s20, 0
.LBB10_46:                              ;   in Loop: Header=BB10_3 Depth=1
	s_wait_alu 0xfffe
	s_and_not1_b32 vcc_lo, exec_lo, s20
	s_wait_alu 0xfffe
	s_cbranch_vccnz .LBB10_66
; %bb.47:                               ;   in Loop: Header=BB10_3 Depth=1
	s_mov_b32 s36, s23
	s_and_not1_b32 vcc_lo, exec_lo, s27
	s_mov_b32 s20, s33
	s_mov_b32 s21, s23
	s_wait_alu 0xfffe
	s_cbranch_vccnz .LBB10_53
.LBB10_48:                              ;   Parent Loop BB10_3 Depth=1
                                        ; =>  This Loop Header: Depth=2
                                        ;       Child Loop BB10_49 Depth 3
	s_wait_alu 0xfffe
	s_add_co_i32 s39, s21, -1
	v_lshl_add_u32 v0, s21, 5, v6
	s_add_co_i32 s37, s21, -2
	s_wait_alu 0xfffe
	v_lshl_add_u32 v1, s39, 5, v6
	s_add_co_i32 s36, s21, -3
	v_lshl_add_u32 v12, s37, 5, v6
	s_wait_alu 0xfffe
	v_lshl_add_u32 v13, s36, 5, v6
	ds_load_b32 v17, v0
	ds_load_b32 v16, v1
	;; [unrolled: 1-line block ×4, first 2 shown]
	v_mov_b32_e32 v18, v8
	s_cmp_le_i32 s23, s21
	s_mov_b32 s38, s20
	s_mov_b32 s40, s23
	s_cbranch_scc1 .LBB10_50
.LBB10_49:                              ;   Parent Loop BB10_3 Depth=1
                                        ;     Parent Loop BB10_48 Depth=2
                                        ; =>    This Inner Loop Header: Depth=3
	s_wait_alu 0xfffe
	v_mov_b32_e32 v21, s38
	s_add_co_i32 s40, s40, -1
	s_add_co_i32 s38, s38, -4
	s_wait_alu 0xfffe
	s_cmp_le_i32 s40, s21
	ds_load_b32 v23, v18
	ds_load_2addr_b32 v[19:20], v21 offset0:16 offset1:24
	ds_load_2addr_b32 v[21:22], v21 offset1:8
	v_subrev_nc_u32_e32 v18, 32, v18
	s_wait_dscnt 0x1
	v_fma_f32 v17, -v23, v20, v17
	v_fma_f32 v16, -v23, v19, v16
	s_wait_dscnt 0x0
	v_fma_f32 v15, -v23, v22, v15
	v_fma_f32 v14, -v23, v21, v14
	s_cbranch_scc0 .LBB10_49
.LBB10_50:                              ;   in Loop: Header=BB10_48 Depth=2
	s_lshl_b32 s41, s39, 3
	s_lshl_b32 s40, s37, 3
	;; [unrolled: 1-line block ×3, first 2 shown]
; %bb.51:                               ;   in Loop: Header=BB10_48 Depth=2
	s_mul_i32 s42, s21, 36
	s_wait_alu 0xfffe
	s_lshl_b32 s40, s40, 2
	s_lshl_b32 s37, s37, 2
	;; [unrolled: 1-line block ×3, first 2 shown]
	s_wait_alu 0xfffe
	s_add_co_i32 s37, s40, s37
	s_wait_alu 0xfffe
	v_dual_mov_b32 v18, s42 :: v_dual_mov_b32 v21, s37
	s_lshl_b32 s39, s39, 2
	s_lshl_b32 s37, s38, 2
	s_wait_alu 0xfffe
	s_add_co_i32 s39, s41, s39
	ds_load_b32 v22, v18
	s_lshl_b32 s36, s36, 2
	s_lshl_b32 s42, s21, 2
	s_wait_alu 0xfffe
	s_add_co_i32 s36, s37, s36
	s_add_co_i32 s41, s40, s42
	;; [unrolled: 1-line block ×3, first 2 shown]
	s_wait_alu 0xfffe
	v_mov_b32_e32 v20, s41
	s_add_co_i32 s38, s38, -4
	s_addk_co_i32 s20, 0xff80
	s_wait_dscnt 0x0
	v_div_scale_f32 v24, null, v22, v22, v17
	v_div_scale_f32 v27, vcc_lo, v17, v22, v17
	s_delay_alu instid0(VALU_DEP_2) | instskip(NEXT) | instid1(TRANS32_DEP_1)
	v_rcp_f32_e32 v25, v24
	v_fma_f32 v26, -v24, v25, 1.0
	s_delay_alu instid0(VALU_DEP_1) | instskip(SKIP_4) | instid1(VALU_DEP_1)
	v_dual_mov_b32 v18, s39 :: v_dual_fmac_f32 v25, v26, v25
	ds_load_2addr_b32 v[18:19], v18 offset1:1
	ds_load_b32 v23, v20
	ds_load_2addr_b32 v[20:21], v21 offset1:1
	v_mul_f32_e32 v26, v27, v25
	v_fma_f32 v28, -v24, v26, v27
	s_delay_alu instid0(VALU_DEP_1) | instskip(NEXT) | instid1(VALU_DEP_1)
	v_fmac_f32_e32 v26, v28, v25
	v_fma_f32 v24, -v24, v26, v27
	s_wait_alu 0xfffd
	s_delay_alu instid0(VALU_DEP_1) | instskip(NEXT) | instid1(VALU_DEP_1)
	v_div_fmas_f32 v24, v24, v25, v26
	v_div_fixup_f32 v22, v24, v22, v17
	s_wait_dscnt 0x2
	s_delay_alu instid0(VALU_DEP_1) | instskip(SKIP_2) | instid1(VALU_DEP_2)
	v_fma_f32 v16, -v22, v19, v16
	s_wait_dscnt 0x1
	v_fma_f32 v15, -v22, v23, v15
	v_div_scale_f32 v17, null, v18, v18, v16
	v_div_scale_f32 v25, vcc_lo, v16, v18, v16
	s_delay_alu instid0(VALU_DEP_2) | instskip(NEXT) | instid1(TRANS32_DEP_1)
	v_rcp_f32_e32 v19, v17
	v_fma_f32 v24, -v17, v19, 1.0
	s_delay_alu instid0(VALU_DEP_1) | instskip(NEXT) | instid1(VALU_DEP_1)
	v_fmac_f32_e32 v19, v24, v19
	v_mul_f32_e32 v24, v25, v19
	s_delay_alu instid0(VALU_DEP_1) | instskip(NEXT) | instid1(VALU_DEP_1)
	v_fma_f32 v26, -v17, v24, v25
	v_fmac_f32_e32 v24, v26, v19
	s_delay_alu instid0(VALU_DEP_1) | instskip(SKIP_1) | instid1(VALU_DEP_1)
	v_fma_f32 v17, -v17, v24, v25
	s_wait_alu 0xfffd
	v_div_fmas_f32 v17, v17, v19, v24
	s_delay_alu instid0(VALU_DEP_1)
	v_div_fixup_f32 v19, v17, v18, v16
	s_wait_alu 0xfffe
	v_dual_mov_b32 v16, s38 :: v_dual_mov_b32 v17, s36
	s_add_co_i32 s36, s21, -4
	s_cmp_lt_i32 s21, 7
	s_wait_dscnt 0x0
	v_fma_f32 v21, -v19, v21, v15
	ds_load_2addr_b32 v[17:18], v17 offset1:1
	v_div_scale_f32 v23, null, v20, v20, v21
	v_div_scale_f32 v25, vcc_lo, v21, v20, v21
	s_delay_alu instid0(VALU_DEP_2) | instskip(NEXT) | instid1(TRANS32_DEP_1)
	v_rcp_f32_e32 v24, v23
	v_fma_f32 v15, -v23, v24, 1.0
	s_delay_alu instid0(VALU_DEP_1) | instskip(SKIP_2) | instid1(VALU_DEP_1)
	v_fmac_f32_e32 v24, v15, v24
	ds_load_2addr_b32 v[15:16], v16 offset1:1
	v_mul_f32_e32 v26, v25, v24
	v_fma_f32 v27, -v23, v26, v25
	s_delay_alu instid0(VALU_DEP_1) | instskip(NEXT) | instid1(VALU_DEP_1)
	v_fmac_f32_e32 v26, v27, v24
	v_fma_f32 v23, -v23, v26, v25
	s_wait_dscnt 0x0
	v_fma_f32 v14, -v22, v16, v14
	s_wait_alu 0xfffd
	s_delay_alu instid0(VALU_DEP_2) | instskip(NEXT) | instid1(VALU_DEP_2)
	v_div_fmas_f32 v16, v23, v24, v26
	v_fma_f32 v14, -v19, v15, v14
	s_delay_alu instid0(VALU_DEP_2) | instskip(NEXT) | instid1(VALU_DEP_1)
	v_div_fixup_f32 v15, v16, v20, v21
	v_fma_f32 v14, -v15, v18, v14
	s_delay_alu instid0(VALU_DEP_1) | instskip(SKIP_1) | instid1(VALU_DEP_2)
	v_div_scale_f32 v16, null, v17, v17, v14
	v_div_scale_f32 v21, vcc_lo, v14, v17, v14
	v_rcp_f32_e32 v18, v16
	s_delay_alu instid0(TRANS32_DEP_1) | instskip(NEXT) | instid1(VALU_DEP_1)
	v_fma_f32 v20, -v16, v18, 1.0
	v_fmac_f32_e32 v18, v20, v18
	s_delay_alu instid0(VALU_DEP_1) | instskip(NEXT) | instid1(VALU_DEP_1)
	v_mul_f32_e32 v20, v21, v18
	v_fma_f32 v23, -v16, v20, v21
	s_delay_alu instid0(VALU_DEP_1) | instskip(NEXT) | instid1(VALU_DEP_1)
	v_fmac_f32_e32 v20, v23, v18
	v_fma_f32 v16, -v16, v20, v21
	s_wait_alu 0xfffd
	s_delay_alu instid0(VALU_DEP_1) | instskip(NEXT) | instid1(VALU_DEP_1)
	v_div_fmas_f32 v16, v16, v18, v20
	v_div_fixup_f32 v14, v16, v17, v14
	ds_store_b32 v0, v22
	ds_store_b32 v1, v19
	;; [unrolled: 1-line block ×4, first 2 shown]
	s_cbranch_scc1 .LBB10_53
; %bb.52:                               ;   in Loop: Header=BB10_48 Depth=2
	s_wait_alu 0xfffe
	s_mov_b32 s21, s36
	s_branch .LBB10_48
.LBB10_53:                              ;   in Loop: Header=BB10_3 Depth=1
	s_wait_alu 0xfffe
	s_cmp_lt_i32 s36, 0
	s_cbranch_scc1 .LBB10_66
; %bb.54:                               ;   in Loop: Header=BB10_3 Depth=1
	s_bitcmp1_b32 s36, 0
	s_cselect_b32 s20, -1, 0
	s_wait_alu 0xfffe
	s_and_b32 vcc_lo, exec_lo, s20
	s_mov_b32 s20, s36
	s_wait_alu 0xfffe
	s_cbranch_vccnz .LBB10_59
; %bb.55:                               ;   in Loop: Header=BB10_3 Depth=1
	v_lshl_add_u32 v0, s36, 5, v6
	s_cmp_le_i32 s23, s36
	ds_load_b32 v1, v0
	s_cbranch_scc1 .LBB10_58
; %bb.56:                               ;   in Loop: Header=BB10_3 Depth=1
	v_mov_b32_e32 v12, v8
	s_lshl_b32 s20, s36, 5
	s_mov_b32 s21, s23
	s_wait_alu 0xfffe
	s_add_co_i32 s20, s34, s20
.LBB10_57:                              ;   Parent Loop BB10_3 Depth=1
                                        ; =>  This Inner Loop Header: Depth=2
	s_wait_alu 0xfffe
	v_mov_b32_e32 v13, s20
	s_add_co_i32 s21, s21, -1
	s_add_co_i32 s20, s20, -4
	s_wait_alu 0xfffe
	s_cmp_gt_u32 s21, s36
	ds_load_b32 v14, v12
	ds_load_b32 v13, v13
	v_subrev_nc_u32_e32 v12, 32, v12
	s_wait_dscnt 0x0
	v_fma_f32 v1, -v14, v13, v1
	s_cbranch_scc1 .LBB10_57
.LBB10_58:                              ;   in Loop: Header=BB10_3 Depth=1
	s_mul_i32 s20, s36, 36
	s_wait_alu 0xfffe
	v_mov_b32_e32 v12, s20
	s_add_co_i32 s20, s36, -1
	ds_load_b32 v12, v12
	s_wait_dscnt 0x0
	v_div_scale_f32 v13, null, v12, v12, v1
	s_delay_alu instid0(VALU_DEP_1) | instskip(NEXT) | instid1(TRANS32_DEP_1)
	v_rcp_f32_e32 v14, v13
	v_fma_f32 v15, -v13, v14, 1.0
	s_delay_alu instid0(VALU_DEP_1) | instskip(SKIP_1) | instid1(VALU_DEP_1)
	v_fmac_f32_e32 v14, v15, v14
	v_div_scale_f32 v15, vcc_lo, v1, v12, v1
	v_mul_f32_e32 v16, v15, v14
	s_delay_alu instid0(VALU_DEP_1) | instskip(NEXT) | instid1(VALU_DEP_1)
	v_fma_f32 v17, -v13, v16, v15
	v_fmac_f32_e32 v16, v17, v14
	s_delay_alu instid0(VALU_DEP_1) | instskip(SKIP_1) | instid1(VALU_DEP_1)
	v_fma_f32 v13, -v13, v16, v15
	s_wait_alu 0xfffd
	v_div_fmas_f32 v13, v13, v14, v16
	s_delay_alu instid0(VALU_DEP_1)
	v_div_fixup_f32 v1, v13, v12, v1
	ds_store_b32 v0, v1
.LBB10_59:                              ;   in Loop: Header=BB10_3 Depth=1
	s_cmp_eq_u32 s36, 0
	s_cbranch_scc1 .LBB10_66
; %bb.60:                               ;   in Loop: Header=BB10_3 Depth=1
	s_wait_alu 0xfffe
	s_lshl_b32 s36, s20, 5
	s_wait_alu 0xfffe
	s_add_co_i32 s21, s34, s36
	s_add_co_i32 s36, s35, s36
	s_branch .LBB10_62
.LBB10_61:                              ;   in Loop: Header=BB10_62 Depth=2
	s_sub_co_i32 s38, s38, 36
	s_add_co_i32 s20, s20, -2
	s_wait_alu 0xfffe
	v_mov_b32_e32 v0, s38
	s_sub_co_i32 s21, s21, 64
	s_sub_co_i32 s36, s36, 64
	s_cmp_eq_u32 s37, 0
	ds_load_b32 v0, v0
	s_wait_dscnt 0x0
	v_div_scale_f32 v12, null, v0, v0, v13
	v_div_scale_f32 v16, vcc_lo, v13, v0, v13
	s_delay_alu instid0(VALU_DEP_2) | instskip(NEXT) | instid1(TRANS32_DEP_1)
	v_rcp_f32_e32 v14, v12
	v_fma_f32 v15, -v12, v14, 1.0
	s_delay_alu instid0(VALU_DEP_1) | instskip(NEXT) | instid1(VALU_DEP_1)
	v_fmac_f32_e32 v14, v15, v14
	v_mul_f32_e32 v15, v16, v14
	s_delay_alu instid0(VALU_DEP_1) | instskip(NEXT) | instid1(VALU_DEP_1)
	v_fma_f32 v17, -v12, v15, v16
	v_fmac_f32_e32 v15, v17, v14
	s_delay_alu instid0(VALU_DEP_1) | instskip(SKIP_1) | instid1(VALU_DEP_1)
	v_fma_f32 v12, -v12, v15, v16
	s_wait_alu 0xfffd
	v_div_fmas_f32 v12, v12, v14, v15
	s_delay_alu instid0(VALU_DEP_1)
	v_div_fixup_f32 v0, v12, v0, v13
	ds_store_b32 v1, v0
	s_cbranch_scc1 .LBB10_66
.LBB10_62:                              ;   Parent Loop BB10_3 Depth=1
                                        ; =>  This Loop Header: Depth=2
                                        ;       Child Loop BB10_63 Depth 3
                                        ;       Child Loop BB10_65 Depth 3
	v_lshl_add_u32 v0, s20, 5, v6
	v_mov_b32_e32 v1, v8
	s_cmp_le_i32 s23, s20
	s_wait_alu 0xfffe
	s_mov_b32 s37, s21
	s_mov_b32 s38, s23
	ds_load_b32 v12, v0
	s_cbranch_scc1 .LBB10_64
.LBB10_63:                              ;   Parent Loop BB10_3 Depth=1
                                        ;     Parent Loop BB10_62 Depth=2
                                        ; =>    This Inner Loop Header: Depth=3
	s_wait_alu 0xfffe
	v_mov_b32_e32 v13, s37
	s_add_co_i32 s38, s38, -1
	s_add_co_i32 s37, s37, -4
	s_wait_alu 0xfffe
	s_cmp_le_u32 s38, s20
	ds_load_b32 v14, v1
	ds_load_b32 v13, v13
	v_subrev_nc_u32_e32 v1, 32, v1
	s_wait_dscnt 0x0
	v_fma_f32 v12, -v14, v13, v12
	s_cbranch_scc0 .LBB10_63
.LBB10_64:                              ;   in Loop: Header=BB10_62 Depth=2
	s_mul_i32 s38, s20, 36
	s_add_co_i32 s37, s20, -1
	s_wait_alu 0xfffe
	v_mov_b32_e32 v1, s38
	s_cmp_le_i32 s1, s20
	s_mov_b32 s39, s36
	s_mov_b32 s40, s23
	ds_load_b32 v14, v1
	v_lshl_add_u32 v1, s37, 5, v6
	ds_load_b32 v13, v1
	s_wait_dscnt 0x1
	v_div_scale_f32 v15, null, v14, v14, v12
	s_delay_alu instid0(VALU_DEP_1) | instskip(NEXT) | instid1(TRANS32_DEP_1)
	v_rcp_f32_e32 v16, v15
	v_fma_f32 v17, -v15, v16, 1.0
	s_delay_alu instid0(VALU_DEP_1) | instskip(SKIP_1) | instid1(VALU_DEP_1)
	v_fmac_f32_e32 v16, v17, v16
	v_div_scale_f32 v17, vcc_lo, v12, v14, v12
	v_mul_f32_e32 v18, v17, v16
	s_delay_alu instid0(VALU_DEP_1) | instskip(NEXT) | instid1(VALU_DEP_1)
	v_fma_f32 v19, -v15, v18, v17
	v_fmac_f32_e32 v18, v19, v16
	s_delay_alu instid0(VALU_DEP_1) | instskip(SKIP_1) | instid1(VALU_DEP_1)
	v_fma_f32 v15, -v15, v18, v17
	s_wait_alu 0xfffd
	v_div_fmas_f32 v15, v15, v16, v18
	s_delay_alu instid0(VALU_DEP_1)
	v_div_fixup_f32 v14, v15, v14, v12
	v_mov_b32_e32 v12, v8
	ds_store_b32 v0, v14
	s_cbranch_scc1 .LBB10_61
.LBB10_65:                              ;   Parent Loop BB10_3 Depth=1
                                        ;     Parent Loop BB10_62 Depth=2
                                        ; =>    This Inner Loop Header: Depth=3
	s_wait_alu 0xfffe
	v_mov_b32_e32 v0, s39
	s_add_co_i32 s40, s40, -1
	s_add_co_i32 s39, s39, -4
	s_wait_alu 0xfffe
	s_cmp_gt_u32 s40, s37
	ds_load_b32 v14, v12
	ds_load_b32 v0, v0
	v_subrev_nc_u32_e32 v12, 32, v12
	s_wait_dscnt 0x0
	v_fma_f32 v13, -v14, v0, v13
	s_cbranch_scc1 .LBB10_65
	s_branch .LBB10_61
.LBB10_66:                              ;   in Loop: Header=BB10_3 Depth=1
	s_mov_b32 s20, 0
.LBB10_67:                              ;   in Loop: Header=BB10_3 Depth=1
	s_wait_alu 0xfffe
	s_and_not1_b32 vcc_lo, exec_lo, s20
	s_wait_alu 0xfffe
	s_cbranch_vccnz .LBB10_79
; %bb.68:                               ;   in Loop: Header=BB10_3 Depth=1
	s_and_not1_b32 vcc_lo, exec_lo, s27
	s_mov_b32 s36, 0
	s_wait_alu 0xfffe
	s_cbranch_vccnz .LBB10_74
; %bb.69:                               ;   in Loop: Header=BB10_3 Depth=1
	s_mov_b32 s20, 0
	s_mov_b32 s21, 0
.LBB10_70:                              ;   Parent Loop BB10_3 Depth=1
                                        ; =>  This Loop Header: Depth=2
                                        ;       Child Loop BB10_71 Depth 3
	s_wait_alu 0xfffe
	s_or_b32 s37, s21, 1
	v_lshl_add_u32 v0, s21, 5, v6
	s_or_b32 s38, s21, 2
	s_or_b32 s36, s21, 3
	s_wait_alu 0xfffe
	v_lshl_add_u32 v1, s37, 5, v6
	v_lshl_add_u32 v12, s38, 5, v6
	v_lshl_add_u32 v13, s36, 5, v6
	ds_load_b32 v17, v0
	ds_load_b32 v16, v1
	;; [unrolled: 1-line block ×4, first 2 shown]
	v_mov_b32_e32 v18, v6
	s_cmp_eq_u32 s21, 0
	s_mov_b32 s39, s20
	s_mov_b32 s40, s21
	s_cbranch_scc1 .LBB10_72
.LBB10_71:                              ;   Parent Loop BB10_3 Depth=1
                                        ;     Parent Loop BB10_70 Depth=2
                                        ; =>    This Inner Loop Header: Depth=3
	s_wait_alu 0xfffe
	v_mov_b32_e32 v21, s39
	s_add_co_i32 s40, s40, -1
	s_add_co_i32 s39, s39, 4
	s_wait_alu 0xfffe
	s_cmp_eq_u32 s40, 0
	ds_load_b32 v23, v18
	ds_load_2addr_b32 v[19:20], v21 offset1:8
	ds_load_2addr_b32 v[21:22], v21 offset0:16 offset1:24
	v_add_nc_u32_e32 v18, 32, v18
	s_wait_dscnt 0x1
	v_fma_f32 v17, -v23, v19, v17
	v_fma_f32 v16, -v23, v20, v16
	s_wait_dscnt 0x0
	v_fma_f32 v15, -v23, v21, v15
	v_fma_f32 v14, -v23, v22, v14
	s_cbranch_scc0 .LBB10_71
.LBB10_72:                              ;   in Loop: Header=BB10_70 Depth=2
	s_lshl_b32 s39, s37, 3
	s_lshl_b32 s37, s38, 3
	s_mul_i32 s38, s21, 36
	s_wait_alu 0xfffe
	s_lshl_b32 s37, s37, 2
	v_mov_b32_e32 v18, s38
	s_lshl_b32 s38, s39, 2
	s_lshl_b32 s39, s21, 2
	;; [unrolled: 1-line block ×3, first 2 shown]
	s_wait_alu 0xfffe
	s_add_co_i32 s37, s37, s39
	s_add_co_i32 s38, s38, s39
	s_wait_alu 0xfffe
	v_mov_b32_e32 v19, s37
	ds_load_b32 v23, v18
	s_lshl_b32 s36, s36, 2
	s_addk_co_i32 s20, 0x80
	s_wait_alu 0xfffe
	s_add_co_i32 s36, s36, s39
	s_wait_dscnt 0x0
	v_div_scale_f32 v24, null, v23, v23, v17
	v_div_scale_f32 v27, vcc_lo, v17, v23, v17
	s_delay_alu instid0(VALU_DEP_2) | instskip(NEXT) | instid1(TRANS32_DEP_1)
	v_rcp_f32_e32 v25, v24
	v_fma_f32 v26, -v24, v25, 1.0
	s_delay_alu instid0(VALU_DEP_1) | instskip(SKIP_3) | instid1(VALU_DEP_1)
	v_dual_mov_b32 v18, s38 :: v_dual_fmac_f32 v25, v26, v25
	ds_load_b64 v[21:22], v18
	ds_load_b96 v[18:20], v19
	v_mul_f32_e32 v26, v27, v25
	v_fma_f32 v28, -v24, v26, v27
	s_delay_alu instid0(VALU_DEP_1) | instskip(NEXT) | instid1(VALU_DEP_1)
	v_fmac_f32_e32 v26, v28, v25
	v_fma_f32 v24, -v24, v26, v27
	s_wait_alu 0xfffd
	s_delay_alu instid0(VALU_DEP_1) | instskip(NEXT) | instid1(VALU_DEP_1)
	v_div_fmas_f32 v24, v24, v25, v26
	v_div_fixup_f32 v23, v24, v23, v17
	s_wait_dscnt 0x1
	s_delay_alu instid0(VALU_DEP_1) | instskip(SKIP_2) | instid1(VALU_DEP_2)
	v_fma_f32 v16, -v23, v21, v16
	s_wait_dscnt 0x0
	v_fma_f32 v15, -v23, v18, v15
	v_div_scale_f32 v17, null, v22, v22, v16
	v_div_scale_f32 v25, vcc_lo, v16, v22, v16
	s_delay_alu instid0(VALU_DEP_2) | instskip(NEXT) | instid1(TRANS32_DEP_1)
	v_rcp_f32_e32 v21, v17
	v_fma_f32 v24, -v17, v21, 1.0
	s_delay_alu instid0(VALU_DEP_1) | instskip(NEXT) | instid1(VALU_DEP_1)
	v_fmac_f32_e32 v21, v24, v21
	v_mul_f32_e32 v24, v25, v21
	s_delay_alu instid0(VALU_DEP_1) | instskip(NEXT) | instid1(VALU_DEP_1)
	v_fma_f32 v26, -v17, v24, v25
	v_fmac_f32_e32 v24, v26, v21
	s_delay_alu instid0(VALU_DEP_1) | instskip(SKIP_1) | instid1(VALU_DEP_1)
	v_fma_f32 v17, -v17, v24, v25
	s_wait_alu 0xfffd
	v_div_fmas_f32 v17, v17, v21, v24
	s_delay_alu instid0(VALU_DEP_1)
	v_div_fixup_f32 v21, v17, v22, v16
	s_wait_alu 0xfffe
	v_mov_b32_e32 v16, s36
	s_add_co_i32 s36, s21, 4
	s_add_co_i32 s21, s21, 7
	v_fma_f32 v19, -v21, v19, v15
	s_wait_alu 0xfffe
	s_cmp_ge_i32 s21, s1
	s_delay_alu instid0(VALU_DEP_1) | instskip(SKIP_1) | instid1(VALU_DEP_2)
	v_div_scale_f32 v22, null, v20, v20, v19
	v_div_scale_f32 v25, vcc_lo, v19, v20, v19
	v_rcp_f32_e32 v24, v22
	s_delay_alu instid0(TRANS32_DEP_1) | instskip(NEXT) | instid1(VALU_DEP_1)
	v_fma_f32 v15, -v22, v24, 1.0
	v_fmac_f32_e32 v24, v15, v24
	ds_load_b128 v[15:18], v16
	v_mul_f32_e32 v26, v25, v24
	s_delay_alu instid0(VALU_DEP_1) | instskip(NEXT) | instid1(VALU_DEP_1)
	v_fma_f32 v27, -v22, v26, v25
	v_fmac_f32_e32 v26, v27, v24
	s_delay_alu instid0(VALU_DEP_1) | instskip(SKIP_3) | instid1(VALU_DEP_2)
	v_fma_f32 v22, -v22, v26, v25
	s_wait_dscnt 0x0
	v_fma_f32 v14, -v23, v15, v14
	s_wait_alu 0xfffd
	v_div_fmas_f32 v15, v22, v24, v26
	s_delay_alu instid0(VALU_DEP_2) | instskip(NEXT) | instid1(VALU_DEP_2)
	v_fma_f32 v14, -v21, v16, v14
	v_div_fixup_f32 v15, v15, v20, v19
	s_delay_alu instid0(VALU_DEP_1) | instskip(NEXT) | instid1(VALU_DEP_1)
	v_fma_f32 v14, -v15, v17, v14
	v_div_scale_f32 v16, null, v18, v18, v14
	v_div_scale_f32 v20, vcc_lo, v14, v18, v14
	s_delay_alu instid0(VALU_DEP_2) | instskip(NEXT) | instid1(TRANS32_DEP_1)
	v_rcp_f32_e32 v17, v16
	v_fma_f32 v19, -v16, v17, 1.0
	s_delay_alu instid0(VALU_DEP_1) | instskip(NEXT) | instid1(VALU_DEP_1)
	v_fmac_f32_e32 v17, v19, v17
	v_mul_f32_e32 v19, v20, v17
	s_delay_alu instid0(VALU_DEP_1) | instskip(NEXT) | instid1(VALU_DEP_1)
	v_fma_f32 v22, -v16, v19, v20
	v_fmac_f32_e32 v19, v22, v17
	s_delay_alu instid0(VALU_DEP_1) | instskip(SKIP_1) | instid1(VALU_DEP_1)
	v_fma_f32 v16, -v16, v19, v20
	s_wait_alu 0xfffd
	v_div_fmas_f32 v16, v16, v17, v19
	s_delay_alu instid0(VALU_DEP_1)
	v_div_fixup_f32 v14, v16, v18, v14
	ds_store_b32 v0, v23
	ds_store_b32 v1, v21
	;; [unrolled: 1-line block ×4, first 2 shown]
	s_cbranch_scc1 .LBB10_74
; %bb.73:                               ;   in Loop: Header=BB10_70 Depth=2
	s_mov_b32 s21, s36
	s_branch .LBB10_70
.LBB10_74:                              ;   in Loop: Header=BB10_3 Depth=1
	s_cmp_ge_i32 s36, s1
	s_cbranch_scc1 .LBB10_79
; %bb.75:                               ;   in Loop: Header=BB10_3 Depth=1
	s_lshl_b32 s20, s36, 5
	s_branch .LBB10_77
.LBB10_76:                              ;   in Loop: Header=BB10_77 Depth=2
	s_mul_i32 s21, s36, 36
	s_add_co_i32 s36, s36, 1
	s_wait_alu 0xfffe
	v_mov_b32_e32 v12, s21
	s_add_co_i32 s20, s20, 32
	s_cmp_ge_i32 s36, s1
	ds_load_b32 v12, v12
	s_wait_dscnt 0x0
	v_div_scale_f32 v13, null, v12, v12, v1
	s_delay_alu instid0(VALU_DEP_1) | instskip(NEXT) | instid1(TRANS32_DEP_1)
	v_rcp_f32_e32 v14, v13
	v_fma_f32 v15, -v13, v14, 1.0
	s_delay_alu instid0(VALU_DEP_1) | instskip(SKIP_1) | instid1(VALU_DEP_1)
	v_fmac_f32_e32 v14, v15, v14
	v_div_scale_f32 v15, vcc_lo, v1, v12, v1
	v_mul_f32_e32 v16, v15, v14
	s_delay_alu instid0(VALU_DEP_1) | instskip(NEXT) | instid1(VALU_DEP_1)
	v_fma_f32 v17, -v13, v16, v15
	v_fmac_f32_e32 v16, v17, v14
	s_delay_alu instid0(VALU_DEP_1) | instskip(SKIP_1) | instid1(VALU_DEP_1)
	v_fma_f32 v13, -v13, v16, v15
	s_wait_alu 0xfffd
	v_div_fmas_f32 v13, v13, v14, v16
	s_delay_alu instid0(VALU_DEP_1)
	v_div_fixup_f32 v1, v13, v12, v1
	ds_store_b32 v0, v1
	s_cbranch_scc1 .LBB10_79
.LBB10_77:                              ;   Parent Loop BB10_3 Depth=1
                                        ; =>  This Loop Header: Depth=2
                                        ;       Child Loop BB10_78 Depth 3
	v_lshl_add_u32 v0, s36, 5, v6
	v_mov_b32_e32 v12, v6
	s_cmp_eq_u32 s36, 0
	s_wait_alu 0xfffe
	s_mov_b32 s21, s20
	s_mov_b32 s37, s36
	ds_load_b32 v1, v0
	s_cbranch_scc1 .LBB10_76
.LBB10_78:                              ;   Parent Loop BB10_3 Depth=1
                                        ;     Parent Loop BB10_77 Depth=2
                                        ; =>    This Inner Loop Header: Depth=3
	s_wait_alu 0xfffe
	v_mov_b32_e32 v13, s21
	s_add_co_i32 s37, s37, -1
	s_add_co_i32 s21, s21, 4
	s_wait_alu 0xfffe
	s_cmp_eq_u32 s37, 0
	ds_load_b32 v14, v12
	ds_load_b32 v13, v13
	v_add_nc_u32_e32 v12, 32, v12
	s_wait_dscnt 0x0
	v_fma_f32 v1, -v14, v13, v1
	s_cbranch_scc0 .LBB10_78
	s_branch .LBB10_76
.LBB10_79:                              ;   in Loop: Header=BB10_3 Depth=1
	s_and_saveexec_b32 s20, s28
	s_cbranch_execz .LBB10_2
; %bb.80:                               ;   in Loop: Header=BB10_3 Depth=1
	v_add_co_u32 v0, vcc_lo, v2, v11
	s_wait_alu 0xfffd
	v_add_co_ci_u32_e64 v1, null, 0, v3, vcc_lo
	v_mov_b32_e32 v2, v6
	s_mov_b32 s21, s16
.LBB10_81:                              ;   Parent Loop BB10_3 Depth=1
                                        ; =>  This Inner Loop Header: Depth=2
	ds_load_b32 v3, v2
	v_add_nc_u32_e32 v2, 32, v2
	s_wait_alu 0xfffe
	s_add_co_i32 s21, s21, -1
	s_wait_alu 0xfffe
	s_cmp_lg_u32 s21, 0
	s_wait_dscnt 0x0
	flat_store_b32 v[0:1], v3
	v_add_co_u32 v0, vcc_lo, v0, s14
	s_wait_alu 0xfffd
	v_add_co_ci_u32_e64 v1, null, s15, v1, vcc_lo
	s_cbranch_scc1 .LBB10_81
	s_branch .LBB10_2
.LBB10_82:
	s_endpgm
	.section	.rodata,"a",@progbits
	.p2align	6, 0x0
	.amdhsa_kernel _ZL31rocblas_trsm_small_right_deviceIffPKPKfPKPfLi8EEv13rocblas_fill_18rocblas_operation_17rocblas_diagonal_iiT0_T1_lilT2_lili
		.amdhsa_group_segment_fixed_size 512
		.amdhsa_private_segment_fixed_size 0
		.amdhsa_kernarg_size 352
		.amdhsa_user_sgpr_count 2
		.amdhsa_user_sgpr_dispatch_ptr 0
		.amdhsa_user_sgpr_queue_ptr 0
		.amdhsa_user_sgpr_kernarg_segment_ptr 1
		.amdhsa_user_sgpr_dispatch_id 0
		.amdhsa_user_sgpr_private_segment_size 0
		.amdhsa_wavefront_size32 1
		.amdhsa_uses_dynamic_stack 0
		.amdhsa_enable_private_segment 0
		.amdhsa_system_sgpr_workgroup_id_x 1
		.amdhsa_system_sgpr_workgroup_id_y 0
		.amdhsa_system_sgpr_workgroup_id_z 1
		.amdhsa_system_sgpr_workgroup_info 0
		.amdhsa_system_vgpr_workitem_id 0
		.amdhsa_next_free_vgpr 30
		.amdhsa_next_free_sgpr 43
		.amdhsa_reserve_vcc 1
		.amdhsa_float_round_mode_32 0
		.amdhsa_float_round_mode_16_64 0
		.amdhsa_float_denorm_mode_32 3
		.amdhsa_float_denorm_mode_16_64 3
		.amdhsa_fp16_overflow 0
		.amdhsa_workgroup_processor_mode 1
		.amdhsa_memory_ordered 1
		.amdhsa_forward_progress 1
		.amdhsa_inst_pref_size 52
		.amdhsa_round_robin_scheduling 0
		.amdhsa_exception_fp_ieee_invalid_op 0
		.amdhsa_exception_fp_denorm_src 0
		.amdhsa_exception_fp_ieee_div_zero 0
		.amdhsa_exception_fp_ieee_overflow 0
		.amdhsa_exception_fp_ieee_underflow 0
		.amdhsa_exception_fp_ieee_inexact 0
		.amdhsa_exception_int_div_zero 0
	.end_amdhsa_kernel
	.section	.text._ZL31rocblas_trsm_small_right_deviceIffPKPKfPKPfLi8EEv13rocblas_fill_18rocblas_operation_17rocblas_diagonal_iiT0_T1_lilT2_lili,"axG",@progbits,_ZL31rocblas_trsm_small_right_deviceIffPKPKfPKPfLi8EEv13rocblas_fill_18rocblas_operation_17rocblas_diagonal_iiT0_T1_lilT2_lili,comdat
.Lfunc_end10:
	.size	_ZL31rocblas_trsm_small_right_deviceIffPKPKfPKPfLi8EEv13rocblas_fill_18rocblas_operation_17rocblas_diagonal_iiT0_T1_lilT2_lili, .Lfunc_end10-_ZL31rocblas_trsm_small_right_deviceIffPKPKfPKPfLi8EEv13rocblas_fill_18rocblas_operation_17rocblas_diagonal_iiT0_T1_lilT2_lili
                                        ; -- End function
	.set _ZL31rocblas_trsm_small_right_deviceIffPKPKfPKPfLi8EEv13rocblas_fill_18rocblas_operation_17rocblas_diagonal_iiT0_T1_lilT2_lili.num_vgpr, 30
	.set _ZL31rocblas_trsm_small_right_deviceIffPKPKfPKPfLi8EEv13rocblas_fill_18rocblas_operation_17rocblas_diagonal_iiT0_T1_lilT2_lili.num_agpr, 0
	.set _ZL31rocblas_trsm_small_right_deviceIffPKPKfPKPfLi8EEv13rocblas_fill_18rocblas_operation_17rocblas_diagonal_iiT0_T1_lilT2_lili.numbered_sgpr, 43
	.set _ZL31rocblas_trsm_small_right_deviceIffPKPKfPKPfLi8EEv13rocblas_fill_18rocblas_operation_17rocblas_diagonal_iiT0_T1_lilT2_lili.num_named_barrier, 0
	.set _ZL31rocblas_trsm_small_right_deviceIffPKPKfPKPfLi8EEv13rocblas_fill_18rocblas_operation_17rocblas_diagonal_iiT0_T1_lilT2_lili.private_seg_size, 0
	.set _ZL31rocblas_trsm_small_right_deviceIffPKPKfPKPfLi8EEv13rocblas_fill_18rocblas_operation_17rocblas_diagonal_iiT0_T1_lilT2_lili.uses_vcc, 1
	.set _ZL31rocblas_trsm_small_right_deviceIffPKPKfPKPfLi8EEv13rocblas_fill_18rocblas_operation_17rocblas_diagonal_iiT0_T1_lilT2_lili.uses_flat_scratch, 0
	.set _ZL31rocblas_trsm_small_right_deviceIffPKPKfPKPfLi8EEv13rocblas_fill_18rocblas_operation_17rocblas_diagonal_iiT0_T1_lilT2_lili.has_dyn_sized_stack, 0
	.set _ZL31rocblas_trsm_small_right_deviceIffPKPKfPKPfLi8EEv13rocblas_fill_18rocblas_operation_17rocblas_diagonal_iiT0_T1_lilT2_lili.has_recursion, 0
	.set _ZL31rocblas_trsm_small_right_deviceIffPKPKfPKPfLi8EEv13rocblas_fill_18rocblas_operation_17rocblas_diagonal_iiT0_T1_lilT2_lili.has_indirect_call, 0
	.section	.AMDGPU.csdata,"",@progbits
; Kernel info:
; codeLenInByte = 6608
; TotalNumSgprs: 45
; NumVgprs: 30
; ScratchSize: 0
; MemoryBound: 0
; FloatMode: 240
; IeeeMode: 1
; LDSByteSize: 512 bytes/workgroup (compile time only)
; SGPRBlocks: 0
; VGPRBlocks: 3
; NumSGPRsForWavesPerEU: 45
; NumVGPRsForWavesPerEU: 30
; Occupancy: 16
; WaveLimiterHint : 0
; COMPUTE_PGM_RSRC2:SCRATCH_EN: 0
; COMPUTE_PGM_RSRC2:USER_SGPR: 2
; COMPUTE_PGM_RSRC2:TRAP_HANDLER: 0
; COMPUTE_PGM_RSRC2:TGID_X_EN: 1
; COMPUTE_PGM_RSRC2:TGID_Y_EN: 0
; COMPUTE_PGM_RSRC2:TGID_Z_EN: 1
; COMPUTE_PGM_RSRC2:TIDIG_COMP_CNT: 0
	.section	.text._ZL38rocblas_trsm_small_left_device_sharedBILi12ELi12ELb0EffPKPKfPKPfEv13rocblas_fill_18rocblas_operation_17rocblas_diagonal_iiT3_T4_lilT5_lili,"axG",@progbits,_ZL38rocblas_trsm_small_left_device_sharedBILi12ELi12ELb0EffPKPKfPKPfEv13rocblas_fill_18rocblas_operation_17rocblas_diagonal_iiT3_T4_lilT5_lili,comdat
	.globl	_ZL38rocblas_trsm_small_left_device_sharedBILi12ELi12ELb0EffPKPKfPKPfEv13rocblas_fill_18rocblas_operation_17rocblas_diagonal_iiT3_T4_lilT5_lili ; -- Begin function _ZL38rocblas_trsm_small_left_device_sharedBILi12ELi12ELb0EffPKPKfPKPfEv13rocblas_fill_18rocblas_operation_17rocblas_diagonal_iiT3_T4_lilT5_lili
	.p2align	8
	.type	_ZL38rocblas_trsm_small_left_device_sharedBILi12ELi12ELb0EffPKPKfPKPfEv13rocblas_fill_18rocblas_operation_17rocblas_diagonal_iiT3_T4_lilT5_lili,@function
_ZL38rocblas_trsm_small_left_device_sharedBILi12ELi12ELb0EffPKPKfPKPfEv13rocblas_fill_18rocblas_operation_17rocblas_diagonal_iiT3_T4_lilT5_lili: ; @_ZL38rocblas_trsm_small_left_device_sharedBILi12ELi12ELb0EffPKPKfPKPfEv13rocblas_fill_18rocblas_operation_17rocblas_diagonal_iiT3_T4_lilT5_lili
; %bb.0:
	s_load_b32 s24, s[0:1], 0x58
	s_lshr_b32 s2, ttmp7, 16
	s_wait_kmcnt 0x0
	s_cmp_ge_u32 s2, s24
	s_cbranch_scc1 .LBB11_57
; %bb.1:
	s_clause 0x6
	s_load_b32 s18, s[0:1], 0x28
	s_load_b32 s20, s[0:1], 0x48
	s_load_b128 s[12:15], s[0:1], 0x4
	s_load_b32 s3, s[0:1], 0x60
	s_load_b128 s[4:7], s[0:1], 0x18
	s_load_b128 s[8:11], s[0:1], 0x38
	s_load_b32 s1, s[0:1], 0x14
	s_mul_i32 s0, ttmp9, -12
	v_mov_b32_e32 v1, 0
	s_mul_i32 s22, ttmp9, 12
	v_lshlrev_b32_e32 v29, 2, v0
	v_mul_u32_u24_e32 v15, 48, v0
	s_mov_b32 s17, 0
	s_wait_kmcnt 0x0
	s_ashr_i32 s19, s18, 31
	s_ashr_i32 s21, s20, 31
	s_min_i32 s25, s14, 12
	s_add_co_i32 s3, s3, -1
	s_add_co_i32 s15, s15, s0
	s_add_co_i32 s26, s25, -1
	s_cmp_ge_u32 ttmp9, s3
	v_mad_co_i64_i32 v[13:14], null, s20, v0, 0
	s_cselect_b32 s3, s15, 12
	v_cmp_gt_i32_e64 s0, s25, v0
	s_ashr_i32 s23, s22, 31
	v_cmp_gt_i32_e32 vcc_lo, s3, v0
	v_dual_mov_b32 v11, v1 :: v_dual_lshlrev_b32 v0, 2, v0
	v_mov_b32_e32 v12, v1
	s_cmp_lg_u32 s13, 0x84
	v_mov_b32_e32 v2, v1
	s_cselect_b32 s27, -1, 0
	s_cmp_gt_i32 s14, 0
	v_dual_mov_b32 v3, v1 :: v_dual_mov_b32 v4, v1
	v_dual_mov_b32 v5, v1 :: v_dual_mov_b32 v6, v1
	;; [unrolled: 1-line block ×4, first 2 shown]
	s_cselect_b32 s3, -1, 0
	s_cmp_lg_u32 s12, 0x6f
	v_add_nc_u32_e32 v30, v29, v15
	v_lshlrev_b64_e32 v[27:28], 2, v[13:14]
	v_mov_b32_e32 v13, v12
	v_or_b32_e32 v26, 0x240, v29
	v_mov_b32_e32 v12, v11
	v_mov_b32_e32 v11, v10
	;; [unrolled: 1-line block ×11, first 2 shown]
	s_mul_u64 s[20:21], s[20:21], s[22:23]
	s_cselect_b32 s28, -1, 0
	s_wait_alu 0xfffe
	s_and_b32 s29, vcc_lo, s3
	s_mul_i32 s3, s25, 48
	s_lshl_b64 s[12:13], s[18:19], 2
	s_wait_alu 0xfffe
	s_sub_co_i32 s30, s3, 48
	s_lshl_b64 s[6:7], s[6:7], 2
	s_lshl_b64 s[10:11], s[10:11], 2
	;; [unrolled: 1-line block ×3, first 2 shown]
	s_branch .LBB11_3
.LBB11_2:                               ;   in Loop: Header=BB11_3 Depth=1
	s_wait_alu 0xfffe
	s_or_b32 exec_lo, exec_lo, s3
	v_dual_mov_b32 v2, v14 :: v_dual_mov_b32 v3, v15
	v_dual_mov_b32 v4, v16 :: v_dual_mov_b32 v5, v17
	;; [unrolled: 1-line block ×6, first 2 shown]
	s_add_co_i32 s2, s2, 0x10000
	s_wait_alu 0xfffe
	s_cmp_lt_u32 s2, s24
	s_cbranch_scc0 .LBB11_57
.LBB11_3:                               ; =>This Loop Header: Depth=1
                                        ;     Child Loop BB11_5 Depth 2
                                        ;     Child Loop BB11_11 Depth 2
	;; [unrolled: 1-line block ×3, first 2 shown]
                                        ;       Child Loop BB11_17 Depth 3
                                        ;         Child Loop BB11_18 Depth 4
                                        ;         Child Loop BB11_21 Depth 4
                                        ;           Child Loop BB11_22 Depth 5
                                        ;         Child Loop BB11_27 Depth 4
                                        ;           Child Loop BB11_29 Depth 5
                                        ;     Child Loop BB11_35 Depth 2
                                        ;       Child Loop BB11_38 Depth 3
                                        ;         Child Loop BB11_39 Depth 4
                                        ;         Child Loop BB11_41 Depth 4
                                        ;           Child Loop BB11_42 Depth 5
                                        ;         Child Loop BB11_47 Depth 4
                                        ;           Child Loop BB11_49 Depth 5
                                        ;     Child Loop BB11_56 Depth 2
	s_mov_b32 s3, s17
	s_wait_alu 0xfffe
	s_lshl_b64 s[18:19], s[2:3], 3
	s_delay_alu instid0(SALU_CYCLE_1)
	s_add_nc_u64 s[20:21], s[8:9], s[18:19]
	global_load_b64 v[14:15], v1, s[20:21]
	s_and_saveexec_b32 s3, s0
	s_cbranch_execz .LBB11_9
; %bb.4:                                ;   in Loop: Header=BB11_3 Depth=1
	s_add_nc_u64 s[18:19], s[4:5], s[18:19]
	v_mov_b32_e32 v18, v29
	global_load_b64 v[16:17], v1, s[18:19]
	s_mov_b32 s16, s25
	s_wait_loadcnt 0x0
	v_add_co_u32 v16, vcc_lo, v16, s6
	s_wait_alu 0xfffd
	v_add_co_ci_u32_e64 v17, null, s7, v17, vcc_lo
	s_delay_alu instid0(VALU_DEP_2) | instskip(SKIP_1) | instid1(VALU_DEP_2)
	v_add_co_u32 v16, vcc_lo, v16, v0
	s_wait_alu 0xfffd
	v_add_co_ci_u32_e64 v17, null, 0, v17, vcc_lo
.LBB11_5:                               ;   Parent Loop BB11_3 Depth=1
                                        ; =>  This Inner Loop Header: Depth=2
	flat_load_b32 v19, v[16:17]
	v_add_co_u32 v16, vcc_lo, v16, s12
	s_wait_alu 0xfffd
	v_add_co_ci_u32_e64 v17, null, s13, v17, vcc_lo
	s_add_co_i32 s16, s16, -1
	s_delay_alu instid0(SALU_CYCLE_1)
	s_cmp_eq_u32 s16, 0
	s_wait_loadcnt_dscnt 0x0
	ds_store_b32 v18, v19
	v_add_nc_u32_e32 v18, 48, v18
	s_cbranch_scc0 .LBB11_5
; %bb.6:                                ;   in Loop: Header=BB11_3 Depth=1
	v_mov_b32_e32 v16, 1.0
	s_and_b32 vcc_lo, exec_lo, s27
	s_wait_alu 0xfffe
	s_cbranch_vccz .LBB11_8
; %bb.7:                                ;   in Loop: Header=BB11_3 Depth=1
	ds_load_b32 v16, v30
	s_wait_dscnt 0x0
	v_div_scale_f32 v17, null, v16, v16, 1.0
	s_delay_alu instid0(VALU_DEP_1) | instskip(NEXT) | instid1(TRANS32_DEP_1)
	v_rcp_f32_e32 v18, v17
	v_fma_f32 v19, -v17, v18, 1.0
	s_delay_alu instid0(VALU_DEP_1) | instskip(SKIP_1) | instid1(VALU_DEP_1)
	v_fmac_f32_e32 v18, v19, v18
	v_div_scale_f32 v19, vcc_lo, 1.0, v16, 1.0
	v_mul_f32_e32 v20, v19, v18
	s_delay_alu instid0(VALU_DEP_1) | instskip(NEXT) | instid1(VALU_DEP_1)
	v_fma_f32 v21, -v17, v20, v19
	v_fmac_f32_e32 v20, v21, v18
	s_delay_alu instid0(VALU_DEP_1) | instskip(SKIP_1) | instid1(VALU_DEP_1)
	v_fma_f32 v17, -v17, v20, v19
	s_wait_alu 0xfffd
	v_div_fmas_f32 v17, v17, v18, v20
	s_delay_alu instid0(VALU_DEP_1)
	v_div_fixup_f32 v16, v17, v16, 1.0
.LBB11_8:                               ;   in Loop: Header=BB11_3 Depth=1
	ds_store_b32 v30, v16
.LBB11_9:                               ;   in Loop: Header=BB11_3 Depth=1
	s_wait_alu 0xfffe
	s_or_b32 exec_lo, exec_lo, s3
	s_wait_loadcnt 0x0
	v_add_co_u32 v14, vcc_lo, v14, s10
	s_wait_alu 0xfffd
	v_add_co_ci_u32_e64 v15, null, s11, v15, vcc_lo
	s_delay_alu instid0(VALU_DEP_2) | instskip(SKIP_1) | instid1(VALU_DEP_2)
	v_add_co_u32 v31, vcc_lo, v14, s14
	s_wait_alu 0xfffd
	v_add_co_ci_u32_e64 v32, null, s15, v15, vcc_lo
	s_and_saveexec_b32 s3, s29
	s_cbranch_execz .LBB11_12
; %bb.10:                               ;   in Loop: Header=BB11_3 Depth=1
	v_add_co_u32 v14, vcc_lo, v31, v27
	s_wait_alu 0xfffd
	v_add_co_ci_u32_e64 v15, null, v32, v28, vcc_lo
	v_mov_b32_e32 v16, v26
	s_mov_b32 s16, s25
.LBB11_11:                              ;   Parent Loop BB11_3 Depth=1
                                        ; =>  This Inner Loop Header: Depth=2
	flat_load_b32 v17, v[14:15]
	v_add_co_u32 v14, vcc_lo, v14, 4
	s_wait_alu 0xfffd
	v_add_co_ci_u32_e64 v15, null, 0, v15, vcc_lo
	s_add_co_i32 s16, s16, -1
	s_delay_alu instid0(SALU_CYCLE_1)
	s_cmp_lg_u32 s16, 0
	s_wait_loadcnt_dscnt 0x0
	v_mul_f32_e32 v17, s1, v17
	ds_store_b32 v16, v17
	v_add_nc_u32_e32 v16, 48, v16
	s_cbranch_scc1 .LBB11_11
.LBB11_12:                              ;   in Loop: Header=BB11_3 Depth=1
	s_wait_alu 0xfffe
	s_or_b32 exec_lo, exec_lo, s3
	s_delay_alu instid0(SALU_CYCLE_1)
	s_and_not1_b32 vcc_lo, exec_lo, s28
	s_mov_b32 s3, -1
	s_wait_dscnt 0x0
	; wave barrier
	global_inv scope:SCOPE_SE
                                        ; implicit-def: $vgpr14_vgpr15_vgpr16_vgpr17_vgpr18_vgpr19_vgpr20_vgpr21_vgpr22_vgpr23_vgpr24_vgpr25
	s_wait_alu 0xfffe
	s_cbranch_vccnz .LBB11_33
; %bb.13:                               ;   in Loop: Header=BB11_3 Depth=1
	v_dual_mov_b32 v25, v13 :: v_dual_mov_b32 v24, v12
	v_dual_mov_b32 v23, v11 :: v_dual_mov_b32 v22, v10
	;; [unrolled: 1-line block ×6, first 2 shown]
	s_mov_b32 s16, 0
	s_delay_alu instid0(SALU_CYCLE_1)
	s_mov_b32 s3, s16
.LBB11_14:                              ;   Parent Loop BB11_3 Depth=1
                                        ; =>  This Loop Header: Depth=2
                                        ;       Child Loop BB11_17 Depth 3
                                        ;         Child Loop BB11_18 Depth 4
                                        ;         Child Loop BB11_21 Depth 4
                                        ;           Child Loop BB11_22 Depth 5
                                        ;         Child Loop BB11_27 Depth 4
                                        ;           Child Loop BB11_29 Depth 5
	s_getpc_b64 s[18:19]
	s_sext_i32_i16 s19, s19
	s_add_co_u32 s18, s18, __const._ZL38rocblas_trsm_small_left_device_sharedBILi12ELi12ELb0EffPKPKfPKPfEv13rocblas_fill_18rocblas_operation_17rocblas_diagonal_iiT3_T4_lilT5_lili.step_sizes@rel32@lo+8
	s_add_co_ci_u32 s19, s19, __const._ZL38rocblas_trsm_small_left_device_sharedBILi12ELi12ELb0EffPKPKfPKPfEv13rocblas_fill_18rocblas_operation_17rocblas_diagonal_iiT3_T4_lilT5_lili.step_sizes@rel32@hi+16
	s_lshl_b64 s[20:21], s[16:17], 2
	s_wait_alu 0xfffe
	s_add_nc_u64 s[18:19], s[18:19], s[20:21]
	s_load_b32 s31, s[18:19], 0x0
	s_wait_kmcnt 0x0
	s_add_co_i32 s33, s31, -1
	s_wait_alu 0xfffe
	s_add_co_i32 s18, s33, s3
	s_delay_alu instid0(SALU_CYCLE_1)
	s_cmp_ge_i32 s18, s25
	s_cbranch_scc1 .LBB11_30
; %bb.15:                               ;   in Loop: Header=BB11_14 Depth=2
	s_mul_i32 s34, s3, 48
	s_max_i32 s35, s31, 1
	s_wait_alu 0xfffe
	v_add_nc_u32_e32 v33, s34, v26
	s_mul_i32 s36, s31, 48
	s_mul_i32 s37, s3, 52
	;; [unrolled: 1-line block ×3, first 2 shown]
	s_branch .LBB11_17
.LBB11_16:                              ;   in Loop: Header=BB11_17 Depth=3
	s_add_co_i32 s3, s3, s31
	v_add_nc_u32_e32 v33, s36, v33
	s_wait_alu 0xfffe
	s_add_co_i32 s18, s33, s3
	s_add_co_i32 s34, s34, s36
	;; [unrolled: 1-line block ×3, first 2 shown]
	s_cmp_ge_i32 s18, s25
	s_cbranch_scc1 .LBB11_30
.LBB11_17:                              ;   Parent Loop BB11_3 Depth=1
                                        ;     Parent Loop BB11_14 Depth=2
                                        ; =>    This Loop Header: Depth=3
                                        ;         Child Loop BB11_18 Depth 4
                                        ;         Child Loop BB11_21 Depth 4
                                        ;           Child Loop BB11_22 Depth 5
                                        ;         Child Loop BB11_27 Depth 4
                                        ;           Child Loop BB11_29 Depth 5
	v_mov_b32_e32 v34, v33
	s_mov_b64 s[18:19], 0
.LBB11_18:                              ;   Parent Loop BB11_3 Depth=1
                                        ;     Parent Loop BB11_14 Depth=2
                                        ;       Parent Loop BB11_17 Depth=3
                                        ; =>      This Inner Loop Header: Depth=4
	ds_load_b32 v35, v34
	v_add_nc_u32_e32 v34, 48, v34
	s_mov_b32 m0, s18
	s_add_nc_u64 s[18:19], s[18:19], 1
	s_delay_alu instid0(SALU_CYCLE_1)
	s_cmp_eq_u32 s35, s18
	s_wait_dscnt 0x0
	v_movreld_b32_e32 v14, v35
	s_cbranch_scc0 .LBB11_18
; %bb.19:                               ;   in Loop: Header=BB11_17 Depth=3
	s_cmp_lt_i32 s3, 1
	s_cbranch_scc1 .LBB11_24
; %bb.20:                               ;   in Loop: Header=BB11_17 Depth=3
	s_mov_b32 s20, 0
	s_wait_alu 0xfffe
	s_mov_b32 s21, s34
.LBB11_21:                              ;   Parent Loop BB11_3 Depth=1
                                        ;     Parent Loop BB11_14 Depth=2
                                        ;       Parent Loop BB11_17 Depth=3
                                        ; =>      This Loop Header: Depth=4
                                        ;           Child Loop BB11_22 Depth 5
	s_wait_alu 0xfffe
	v_mad_co_u64_u32 v[34:35], null, s20, 48, v[26:27]
	s_mov_b64 s[18:19], 0
	s_mov_b32 s22, s21
	ds_load_b32 v34, v34
.LBB11_22:                              ;   Parent Loop BB11_3 Depth=1
                                        ;     Parent Loop BB11_14 Depth=2
                                        ;       Parent Loop BB11_17 Depth=3
                                        ;         Parent Loop BB11_21 Depth=4
                                        ; =>        This Inner Loop Header: Depth=5
	s_wait_alu 0xfffe
	v_mov_b32_e32 v35, s22
	s_mov_b32 m0, s18
	s_add_nc_u64 s[18:19], s[18:19], 1
	v_movrels_b32_e32 v36, v14
	s_add_co_i32 s22, s22, 48
	ds_load_b32 v35, v35
	s_cmp_eq_u32 s35, s18
	s_wait_dscnt 0x0
	v_fma_f32 v35, -v34, v35, v36
	s_delay_alu instid0(VALU_DEP_1)
	v_movreld_b32_e32 v14, v35
	s_cbranch_scc0 .LBB11_22
; %bb.23:                               ;   in Loop: Header=BB11_21 Depth=4
	s_add_co_i32 s20, s20, 1
	s_add_co_i32 s21, s21, 4
	s_wait_alu 0xfffe
	s_cmp_eq_u32 s20, s3
	s_cbranch_scc0 .LBB11_21
.LBB11_24:                              ;   in Loop: Header=BB11_17 Depth=3
	s_mul_i32 s39, s3, 48
	s_mov_b64 s[18:19], 0
	s_wait_alu 0xfffe
	s_mov_b32 s40, s37
	s_branch .LBB11_27
.LBB11_25:                              ;   in Loop: Header=BB11_27 Depth=4
	s_mov_b32 s42, s3
	s_mov_b64 s[20:21], 0
	s_mov_b32 s41, s39
.LBB11_26:                              ;   in Loop: Header=BB11_27 Depth=4
	s_wait_alu 0xfffe
	s_mov_b32 m0, s20
	s_mul_i32 s20, s42, 52
	v_movrels_b32_e32 v35, v14
	s_wait_alu 0xfffe
	v_mov_b32_e32 v34, s20
	s_add_nc_u64 s[18:19], s[18:19], 1
	s_add_co_i32 s40, s40, 48
	s_cmp_eq_u32 s18, s35
	ds_load_b32 v34, v34
	s_wait_dscnt 0x0
	v_mul_f32_e32 v34, v35, v34
	v_add_nc_u32_e32 v35, s41, v26
	s_delay_alu instid0(VALU_DEP_2)
	v_movreld_b32_e32 v14, v34
	ds_store_b32 v35, v34
	s_cbranch_scc1 .LBB11_16
.LBB11_27:                              ;   Parent Loop BB11_3 Depth=1
                                        ;     Parent Loop BB11_14 Depth=2
                                        ;       Parent Loop BB11_17 Depth=3
                                        ; =>      This Loop Header: Depth=4
                                        ;           Child Loop BB11_29 Depth 5
	s_cmp_eq_u32 s18, 0
	s_cbranch_scc1 .LBB11_25
; %bb.28:                               ;   in Loop: Header=BB11_27 Depth=4
	s_add_co_i32 s42, s18, s3
	s_mov_b64 s[20:21], s[18:19]
	s_mov_b64 s[22:23], 0
	s_mul_i32 s41, s42, 48
	s_wait_alu 0xfffe
	s_mov_b32 s21, s40
.LBB11_29:                              ;   Parent Loop BB11_3 Depth=1
                                        ;     Parent Loop BB11_14 Depth=2
                                        ;       Parent Loop BB11_17 Depth=3
                                        ;         Parent Loop BB11_27 Depth=4
                                        ; =>        This Inner Loop Header: Depth=5
	s_wait_alu 0xfffe
	v_mov_b32_e32 v34, s21
	s_mov_b32 m0, s22
	s_add_nc_u64 s[22:23], s[22:23], 1
	v_movrels_b32_e32 v35, v14
	s_mov_b32 m0, s18
	ds_load_b32 v34, v34
	v_movrels_b32_e32 v36, v14
	s_add_co_i32 s21, s21, 4
	s_wait_alu 0xfffe
	s_cmp_eq_u32 s18, s22
	s_wait_dscnt 0x0
	v_fma_f32 v34, -v35, v34, v36
	s_delay_alu instid0(VALU_DEP_1)
	v_movreld_b32_e32 v14, v34
	s_cbranch_scc0 .LBB11_29
	s_branch .LBB11_26
.LBB11_30:                              ;   in Loop: Header=BB11_14 Depth=2
	s_cmp_lt_i32 s3, s25
	s_cselect_b32 s19, -1, 0
	s_add_co_i32 s18, s16, 1
	s_cmp_lt_u32 s16, 2
	s_cselect_b32 s16, -1, 0
	s_delay_alu instid0(SALU_CYCLE_1) | instskip(NEXT) | instid1(SALU_CYCLE_1)
	s_and_b32 s16, s19, s16
	s_and_b32 vcc_lo, exec_lo, s16
	s_wait_alu 0xfffe
	s_cbranch_vccz .LBB11_32
; %bb.31:                               ;   in Loop: Header=BB11_14 Depth=2
	s_mov_b32 s16, s18
	s_branch .LBB11_14
.LBB11_32:                              ;   in Loop: Header=BB11_3 Depth=1
	s_mov_b32 s3, 0
.LBB11_33:                              ;   in Loop: Header=BB11_3 Depth=1
	s_wait_alu 0xfffe
	s_and_b32 vcc_lo, exec_lo, s3
	s_wait_alu 0xfffe
	s_cbranch_vccz .LBB11_54
; %bb.34:                               ;   in Loop: Header=BB11_3 Depth=1
	s_mov_b32 s16, 0
	s_mov_b32 s3, s26
.LBB11_35:                              ;   Parent Loop BB11_3 Depth=1
                                        ; =>  This Loop Header: Depth=2
                                        ;       Child Loop BB11_38 Depth 3
                                        ;         Child Loop BB11_39 Depth 4
                                        ;         Child Loop BB11_41 Depth 4
                                        ;           Child Loop BB11_42 Depth 5
                                        ;         Child Loop BB11_47 Depth 4
                                        ;           Child Loop BB11_49 Depth 5
	s_getpc_b64 s[18:19]
	s_sext_i32_i16 s19, s19
	s_add_co_u32 s18, s18, __const._ZL38rocblas_trsm_small_left_device_sharedBILi12ELi12ELb0EffPKPKfPKPfEv13rocblas_fill_18rocblas_operation_17rocblas_diagonal_iiT3_T4_lilT5_lili.step_sizes@rel32@lo+8
	s_add_co_ci_u32 s19, s19, __const._ZL38rocblas_trsm_small_left_device_sharedBILi12ELi12ELb0EffPKPKfPKPfEv13rocblas_fill_18rocblas_operation_17rocblas_diagonal_iiT3_T4_lilT5_lili.step_sizes@rel32@hi+16
	s_lshl_b64 s[20:21], s[16:17], 2
	s_wait_alu 0xfffe
	s_add_nc_u64 s[18:19], s[18:19], s[20:21]
	s_load_b32 s22, s[18:19], 0x0
	s_wait_kmcnt 0x0
	s_add_co_i32 s23, s22, -1
	s_wait_alu 0xfffe
	s_cmp_lt_i32 s3, s23
	s_cbranch_scc1 .LBB11_51
; %bb.36:                               ;   in Loop: Header=BB11_35 Depth=2
	v_mad_co_u64_u32 v[14:15], null, s3, 48, v[26:27]
	s_lshl_b32 s18, s3, 2
	s_lshl_b32 s19, s22, 2
	s_max_i32 s31, s22, 1
	s_mul_i32 s33, s22, 0xffffffd0
	s_add_co_i32 s34, s30, s18
	s_sub_co_i32 s35, 0, s19
	s_mul_i32 s36, s3, 52
	s_mul_i32 s37, s22, 0xffffffcc
	s_branch .LBB11_38
.LBB11_37:                              ;   in Loop: Header=BB11_38 Depth=3
	v_add_nc_u32_e32 v14, s33, v14
	s_sub_co_i32 s3, s3, s22
	s_add_co_i32 s34, s34, s35
	s_add_co_i32 s36, s36, s37
	s_wait_alu 0xfffe
	s_cmp_lt_i32 s3, s23
	s_cbranch_scc1 .LBB11_51
.LBB11_38:                              ;   Parent Loop BB11_3 Depth=1
                                        ;     Parent Loop BB11_35 Depth=2
                                        ; =>    This Loop Header: Depth=3
                                        ;         Child Loop BB11_39 Depth 4
                                        ;         Child Loop BB11_41 Depth 4
                                        ;           Child Loop BB11_42 Depth 5
                                        ;         Child Loop BB11_47 Depth 4
                                        ;           Child Loop BB11_49 Depth 5
	v_mov_b32_e32 v15, v14
	s_mov_b64 s[18:19], 0
.LBB11_39:                              ;   Parent Loop BB11_3 Depth=1
                                        ;     Parent Loop BB11_35 Depth=2
                                        ;       Parent Loop BB11_38 Depth=3
                                        ; =>      This Inner Loop Header: Depth=4
	ds_load_b32 v16, v15
	v_subrev_nc_u32_e32 v15, 48, v15
	s_mov_b32 m0, s18
	s_add_nc_u64 s[18:19], s[18:19], 1
	s_delay_alu instid0(SALU_CYCLE_1)
	s_cmp_eq_u32 s31, s18
	s_wait_dscnt 0x0
	v_movreld_b32_e32 v2, v16
	s_cbranch_scc0 .LBB11_39
; %bb.40:                               ;   in Loop: Header=BB11_38 Depth=3
	s_cmp_le_i32 s26, s3
	s_wait_alu 0xfffe
	s_mov_b32 s20, s34
	s_mov_b32 s21, s26
	s_cbranch_scc1 .LBB11_44
.LBB11_41:                              ;   Parent Loop BB11_3 Depth=1
                                        ;     Parent Loop BB11_35 Depth=2
                                        ;       Parent Loop BB11_38 Depth=3
                                        ; =>      This Loop Header: Depth=4
                                        ;           Child Loop BB11_42 Depth 5
	s_wait_alu 0xfffe
	v_mad_co_u64_u32 v[15:16], null, s21, 48, v[26:27]
	s_mov_b64 s[18:19], 0
	s_mov_b32 s38, s20
	ds_load_b32 v15, v15
.LBB11_42:                              ;   Parent Loop BB11_3 Depth=1
                                        ;     Parent Loop BB11_35 Depth=2
                                        ;       Parent Loop BB11_38 Depth=3
                                        ;         Parent Loop BB11_41 Depth=4
                                        ; =>        This Inner Loop Header: Depth=5
	s_wait_alu 0xfffe
	v_mov_b32_e32 v16, s38
	s_mov_b32 m0, s18
	s_add_nc_u64 s[18:19], s[18:19], 1
	v_movrels_b32_e32 v17, v2
	s_add_co_i32 s38, s38, -4
	ds_load_b32 v16, v16
	s_cmp_eq_u32 s31, s18
	s_wait_dscnt 0x0
	v_fma_f32 v16, -v15, v16, v17
	s_delay_alu instid0(VALU_DEP_1)
	v_movreld_b32_e32 v2, v16
	s_cbranch_scc0 .LBB11_42
; %bb.43:                               ;   in Loop: Header=BB11_41 Depth=4
	s_add_co_i32 s21, s21, -1
	s_sub_co_i32 s20, s20, 48
	s_wait_alu 0xfffe
	s_cmp_le_i32 s21, s3
	s_cbranch_scc0 .LBB11_41
.LBB11_44:                              ;   in Loop: Header=BB11_38 Depth=3
	s_mov_b64 s[18:19], 0
	s_mov_b32 s38, s36
	s_branch .LBB11_47
.LBB11_45:                              ;   in Loop: Header=BB11_47 Depth=4
	s_mov_b32 s39, s3
	s_mov_b64 s[20:21], 0
.LBB11_46:                              ;   in Loop: Header=BB11_47 Depth=4
	s_wait_alu 0xfffe
	s_mov_b32 m0, s20
	s_mul_i32 s20, s39, 52
	v_movrels_b32_e32 v16, v2
	s_wait_alu 0xfffe
	v_mov_b32_e32 v15, s20
	s_add_nc_u64 s[18:19], s[18:19], 1
	s_add_co_i32 s38, s38, -4
	s_cmp_eq_u32 s18, s31
	ds_load_b32 v15, v15
	s_wait_dscnt 0x0
	v_mul_f32_e32 v17, v16, v15
	v_mad_co_u64_u32 v[15:16], null, s39, 48, v[26:27]
	s_delay_alu instid0(VALU_DEP_2)
	v_movreld_b32_e32 v2, v17
	ds_store_b32 v15, v17
	s_cbranch_scc1 .LBB11_37
.LBB11_47:                              ;   Parent Loop BB11_3 Depth=1
                                        ;     Parent Loop BB11_35 Depth=2
                                        ;       Parent Loop BB11_38 Depth=3
                                        ; =>      This Loop Header: Depth=4
                                        ;           Child Loop BB11_49 Depth 5
	s_cmp_eq_u32 s18, 0
	s_cbranch_scc1 .LBB11_45
; %bb.48:                               ;   in Loop: Header=BB11_47 Depth=4
	s_sub_co_i32 s39, s3, s18
	s_mov_b64 s[20:21], 0
	s_wait_alu 0xfffe
	s_mov_b32 s40, s38
.LBB11_49:                              ;   Parent Loop BB11_3 Depth=1
                                        ;     Parent Loop BB11_35 Depth=2
                                        ;       Parent Loop BB11_38 Depth=3
                                        ;         Parent Loop BB11_47 Depth=4
                                        ; =>        This Inner Loop Header: Depth=5
	s_wait_alu 0xfffe
	v_mov_b32_e32 v15, s40
	s_mov_b32 m0, s20
	s_add_nc_u64 s[20:21], s[20:21], 1
	v_movrels_b32_e32 v16, v2
	s_mov_b32 m0, s18
	ds_load_b32 v15, v15
	v_movrels_b32_e32 v17, v2
	s_sub_co_i32 s40, s40, 48
	s_wait_alu 0xfffe
	s_cmp_eq_u32 s18, s20
	s_wait_dscnt 0x0
	v_fma_f32 v15, -v16, v15, v17
	s_delay_alu instid0(VALU_DEP_1)
	v_movreld_b32_e32 v2, v15
	s_cbranch_scc0 .LBB11_49
; %bb.50:                               ;   in Loop: Header=BB11_47 Depth=4
	s_mov_b64 s[20:21], s[18:19]
	s_branch .LBB11_46
.LBB11_51:                              ;   in Loop: Header=BB11_35 Depth=2
	s_cmp_gt_i32 s3, -1
	s_cselect_b32 s19, -1, 0
	s_add_co_i32 s18, s16, 1
	s_cmp_lt_u32 s16, 2
	s_cselect_b32 s16, -1, 0
	s_delay_alu instid0(SALU_CYCLE_1) | instskip(NEXT) | instid1(SALU_CYCLE_1)
	s_and_b32 s16, s19, s16
	s_and_not1_b32 vcc_lo, exec_lo, s16
	s_wait_alu 0xfffe
	s_cbranch_vccnz .LBB11_53
; %bb.52:                               ;   in Loop: Header=BB11_35 Depth=2
	s_mov_b32 s16, s18
	s_branch .LBB11_35
.LBB11_53:                              ;   in Loop: Header=BB11_3 Depth=1
	v_dual_mov_b32 v25, v13 :: v_dual_mov_b32 v24, v12
	v_dual_mov_b32 v23, v11 :: v_dual_mov_b32 v22, v10
	;; [unrolled: 1-line block ×6, first 2 shown]
.LBB11_54:                              ;   in Loop: Header=BB11_3 Depth=1
	; wave barrier
	s_wait_loadcnt_dscnt 0x0
	global_inv scope:SCOPE_SE
	s_and_saveexec_b32 s3, s29
	s_cbranch_execz .LBB11_2
; %bb.55:                               ;   in Loop: Header=BB11_3 Depth=1
	v_add_co_u32 v2, vcc_lo, v31, v27
	s_wait_alu 0xfffd
	v_add_co_ci_u32_e64 v3, null, v32, v28, vcc_lo
	v_mov_b32_e32 v4, v26
	s_mov_b32 s16, s25
.LBB11_56:                              ;   Parent Loop BB11_3 Depth=1
                                        ; =>  This Inner Loop Header: Depth=2
	ds_load_b32 v5, v4
	v_add_nc_u32_e32 v4, 48, v4
	s_add_co_i32 s16, s16, -1
	s_delay_alu instid0(SALU_CYCLE_1)
	s_cmp_lg_u32 s16, 0
	s_wait_dscnt 0x0
	flat_store_b32 v[2:3], v5
	v_add_co_u32 v2, vcc_lo, v2, 4
	s_wait_alu 0xfffd
	v_add_co_ci_u32_e64 v3, null, 0, v3, vcc_lo
	s_cbranch_scc1 .LBB11_56
	s_branch .LBB11_2
.LBB11_57:
	s_endpgm
	.section	.rodata,"a",@progbits
	.p2align	6, 0x0
	.amdhsa_kernel _ZL38rocblas_trsm_small_left_device_sharedBILi12ELi12ELb0EffPKPKfPKPfEv13rocblas_fill_18rocblas_operation_17rocblas_diagonal_iiT3_T4_lilT5_lili
		.amdhsa_group_segment_fixed_size 1152
		.amdhsa_private_segment_fixed_size 0
		.amdhsa_kernarg_size 352
		.amdhsa_user_sgpr_count 2
		.amdhsa_user_sgpr_dispatch_ptr 0
		.amdhsa_user_sgpr_queue_ptr 0
		.amdhsa_user_sgpr_kernarg_segment_ptr 1
		.amdhsa_user_sgpr_dispatch_id 0
		.amdhsa_user_sgpr_private_segment_size 0
		.amdhsa_wavefront_size32 1
		.amdhsa_uses_dynamic_stack 0
		.amdhsa_enable_private_segment 0
		.amdhsa_system_sgpr_workgroup_id_x 1
		.amdhsa_system_sgpr_workgroup_id_y 0
		.amdhsa_system_sgpr_workgroup_id_z 1
		.amdhsa_system_sgpr_workgroup_info 0
		.amdhsa_system_vgpr_workitem_id 0
		.amdhsa_next_free_vgpr 37
		.amdhsa_next_free_sgpr 43
		.amdhsa_reserve_vcc 1
		.amdhsa_float_round_mode_32 0
		.amdhsa_float_round_mode_16_64 0
		.amdhsa_float_denorm_mode_32 3
		.amdhsa_float_denorm_mode_16_64 3
		.amdhsa_fp16_overflow 0
		.amdhsa_workgroup_processor_mode 1
		.amdhsa_memory_ordered 1
		.amdhsa_forward_progress 1
		.amdhsa_inst_pref_size 19
		.amdhsa_round_robin_scheduling 0
		.amdhsa_exception_fp_ieee_invalid_op 0
		.amdhsa_exception_fp_denorm_src 0
		.amdhsa_exception_fp_ieee_div_zero 0
		.amdhsa_exception_fp_ieee_overflow 0
		.amdhsa_exception_fp_ieee_underflow 0
		.amdhsa_exception_fp_ieee_inexact 0
		.amdhsa_exception_int_div_zero 0
	.end_amdhsa_kernel
	.section	.text._ZL38rocblas_trsm_small_left_device_sharedBILi12ELi12ELb0EffPKPKfPKPfEv13rocblas_fill_18rocblas_operation_17rocblas_diagonal_iiT3_T4_lilT5_lili,"axG",@progbits,_ZL38rocblas_trsm_small_left_device_sharedBILi12ELi12ELb0EffPKPKfPKPfEv13rocblas_fill_18rocblas_operation_17rocblas_diagonal_iiT3_T4_lilT5_lili,comdat
.Lfunc_end11:
	.size	_ZL38rocblas_trsm_small_left_device_sharedBILi12ELi12ELb0EffPKPKfPKPfEv13rocblas_fill_18rocblas_operation_17rocblas_diagonal_iiT3_T4_lilT5_lili, .Lfunc_end11-_ZL38rocblas_trsm_small_left_device_sharedBILi12ELi12ELb0EffPKPKfPKPfEv13rocblas_fill_18rocblas_operation_17rocblas_diagonal_iiT3_T4_lilT5_lili
                                        ; -- End function
	.set _ZL38rocblas_trsm_small_left_device_sharedBILi12ELi12ELb0EffPKPKfPKPfEv13rocblas_fill_18rocblas_operation_17rocblas_diagonal_iiT3_T4_lilT5_lili.num_vgpr, 37
	.set _ZL38rocblas_trsm_small_left_device_sharedBILi12ELi12ELb0EffPKPKfPKPfEv13rocblas_fill_18rocblas_operation_17rocblas_diagonal_iiT3_T4_lilT5_lili.num_agpr, 0
	.set _ZL38rocblas_trsm_small_left_device_sharedBILi12ELi12ELb0EffPKPKfPKPfEv13rocblas_fill_18rocblas_operation_17rocblas_diagonal_iiT3_T4_lilT5_lili.numbered_sgpr, 43
	.set _ZL38rocblas_trsm_small_left_device_sharedBILi12ELi12ELb0EffPKPKfPKPfEv13rocblas_fill_18rocblas_operation_17rocblas_diagonal_iiT3_T4_lilT5_lili.num_named_barrier, 0
	.set _ZL38rocblas_trsm_small_left_device_sharedBILi12ELi12ELb0EffPKPKfPKPfEv13rocblas_fill_18rocblas_operation_17rocblas_diagonal_iiT3_T4_lilT5_lili.private_seg_size, 0
	.set _ZL38rocblas_trsm_small_left_device_sharedBILi12ELi12ELb0EffPKPKfPKPfEv13rocblas_fill_18rocblas_operation_17rocblas_diagonal_iiT3_T4_lilT5_lili.uses_vcc, 1
	.set _ZL38rocblas_trsm_small_left_device_sharedBILi12ELi12ELb0EffPKPKfPKPfEv13rocblas_fill_18rocblas_operation_17rocblas_diagonal_iiT3_T4_lilT5_lili.uses_flat_scratch, 0
	.set _ZL38rocblas_trsm_small_left_device_sharedBILi12ELi12ELb0EffPKPKfPKPfEv13rocblas_fill_18rocblas_operation_17rocblas_diagonal_iiT3_T4_lilT5_lili.has_dyn_sized_stack, 0
	.set _ZL38rocblas_trsm_small_left_device_sharedBILi12ELi12ELb0EffPKPKfPKPfEv13rocblas_fill_18rocblas_operation_17rocblas_diagonal_iiT3_T4_lilT5_lili.has_recursion, 0
	.set _ZL38rocblas_trsm_small_left_device_sharedBILi12ELi12ELb0EffPKPKfPKPfEv13rocblas_fill_18rocblas_operation_17rocblas_diagonal_iiT3_T4_lilT5_lili.has_indirect_call, 0
	.section	.AMDGPU.csdata,"",@progbits
; Kernel info:
; codeLenInByte = 2352
; TotalNumSgprs: 45
; NumVgprs: 37
; ScratchSize: 0
; MemoryBound: 0
; FloatMode: 240
; IeeeMode: 1
; LDSByteSize: 1152 bytes/workgroup (compile time only)
; SGPRBlocks: 0
; VGPRBlocks: 4
; NumSGPRsForWavesPerEU: 45
; NumVGPRsForWavesPerEU: 37
; Occupancy: 16
; WaveLimiterHint : 0
; COMPUTE_PGM_RSRC2:SCRATCH_EN: 0
; COMPUTE_PGM_RSRC2:USER_SGPR: 2
; COMPUTE_PGM_RSRC2:TRAP_HANDLER: 0
; COMPUTE_PGM_RSRC2:TGID_X_EN: 1
; COMPUTE_PGM_RSRC2:TGID_Y_EN: 0
; COMPUTE_PGM_RSRC2:TGID_Z_EN: 1
; COMPUTE_PGM_RSRC2:TIDIG_COMP_CNT: 0
	.section	.text._ZL30rocblas_trsm_small_left_deviceILi12ELi12ELb0EffPKPKfPKPfEv13rocblas_fill_18rocblas_operation_17rocblas_diagonal_iiT3_T4_lilT5_lili,"axG",@progbits,_ZL30rocblas_trsm_small_left_deviceILi12ELi12ELb0EffPKPKfPKPfEv13rocblas_fill_18rocblas_operation_17rocblas_diagonal_iiT3_T4_lilT5_lili,comdat
	.globl	_ZL30rocblas_trsm_small_left_deviceILi12ELi12ELb0EffPKPKfPKPfEv13rocblas_fill_18rocblas_operation_17rocblas_diagonal_iiT3_T4_lilT5_lili ; -- Begin function _ZL30rocblas_trsm_small_left_deviceILi12ELi12ELb0EffPKPKfPKPfEv13rocblas_fill_18rocblas_operation_17rocblas_diagonal_iiT3_T4_lilT5_lili
	.p2align	8
	.type	_ZL30rocblas_trsm_small_left_deviceILi12ELi12ELb0EffPKPKfPKPfEv13rocblas_fill_18rocblas_operation_17rocblas_diagonal_iiT3_T4_lilT5_lili,@function
_ZL30rocblas_trsm_small_left_deviceILi12ELi12ELb0EffPKPKfPKPfEv13rocblas_fill_18rocblas_operation_17rocblas_diagonal_iiT3_T4_lilT5_lili: ; @_ZL30rocblas_trsm_small_left_deviceILi12ELi12ELb0EffPKPKfPKPfEv13rocblas_fill_18rocblas_operation_17rocblas_diagonal_iiT3_T4_lilT5_lili
; %bb.0:
	s_load_b32 s33, s[0:1], 0x58
	s_lshr_b32 s2, ttmp7, 16
	s_wait_kmcnt 0x0
	s_cmp_ge_u32 s2, s33
	s_cbranch_scc1 .LBB12_53
; %bb.1:
	s_clause 0x6
	s_load_b32 s16, s[0:1], 0x28
	s_load_b128 s[12:15], s[0:1], 0x4
	s_load_b32 s3, s[0:1], 0x60
	s_load_b32 s18, s[0:1], 0x48
	s_load_b128 s[4:7], s[0:1], 0x18
	s_load_b128 s[8:11], s[0:1], 0x38
	s_load_b32 s34, s[0:1], 0x14
	v_mad_co_u64_u32 v[2:3], null, ttmp9, 12, v[0:1]
	s_mul_i32 s0, ttmp9, -12
	v_dual_mov_b32 v1, 0 :: v_dual_lshlrev_b32 v34, 2, v0
	v_mul_u32_u24_e32 v13, 48, v0
	s_mov_b32 s40, 0
	s_delay_alu instid0(VALU_DEP_1)
	v_dual_mov_b32 v12, v1 :: v_dual_add_nc_u32 v37, v34, v13
	v_dual_mov_b32 v4, v1 :: v_dual_mov_b32 v5, v1
	s_wait_kmcnt 0x0
	s_ashr_i32 s17, s16, 31
	s_min_i32 s35, s14, 12
	s_add_co_i32 s3, s3, -1
	v_mad_co_i64_i32 v[2:3], null, s18, v2, 0
	s_wait_alu 0xfffe
	s_add_co_i32 s0, s15, s0
	s_add_co_i32 s36, s35, -1
	s_wait_alu 0xfffe
	s_cmp_ge_u32 ttmp9, s3
	v_dual_mov_b32 v6, v1 :: v_dual_mov_b32 v7, v1
	s_cselect_b32 s1, s0, 12
	s_cmp_lg_u32 s13, 0x84
	v_lshlrev_b64_e32 v[26:27], 2, v[2:3]
	s_cselect_b32 s37, -1, 0
	s_cmp_lg_u32 s12, 0x6f
	v_dual_mov_b32 v2, v1 :: v_dual_mov_b32 v3, v1
	s_cselect_b32 s38, -1, 0
	s_lshl_b64 s[10:11], s[10:11], 2
	v_dual_mov_b32 v8, v1 :: v_dual_mov_b32 v9, v1
	v_dual_mov_b32 v10, v1 :: v_dual_mov_b32 v11, v1
	v_add_co_u32 v35, vcc_lo, v26, s10
	v_cmp_gt_i32_e64 s0, s35, v0
	s_wait_alu 0xfffe
	v_cmp_gt_i32_e64 s1, s1, v0
	v_dual_mov_b32 v13, v12 :: v_dual_lshlrev_b32 v0, 2, v0
	v_add_co_ci_u32_e64 v36, null, s11, v27, vcc_lo
	v_mov_b32_e32 v12, v11
	v_mov_b32_e32 v11, v10
	;; [unrolled: 1-line block ×11, first 2 shown]
	s_mul_i32 s3, s35, 48
	s_lshl_b64 s[12:13], s[16:17], 2
	s_sub_co_i32 s39, s3, 48
	s_mov_b32 s15, 0
	s_lshl_b64 s[6:7], s[6:7], 2
	s_branch .LBB12_5
.LBB12_2:                               ;   in Loop: Header=BB12_5 Depth=1
	v_dual_mov_b32 v25, v13 :: v_dual_mov_b32 v24, v12
	v_dual_mov_b32 v23, v11 :: v_dual_mov_b32 v22, v10
	;; [unrolled: 1-line block ×6, first 2 shown]
.LBB12_3:                               ;   in Loop: Header=BB12_5 Depth=1
	s_add_co_i32 s2, s2, 0x10000
	s_delay_alu instid0(SALU_CYCLE_1) | instskip(SKIP_1) | instid1(SALU_CYCLE_1)
	s_cmp_ge_u32 s2, s33
	s_cselect_b32 s14, -1, 0
	s_or_not1_b32 s14, s14, exec_lo
.LBB12_4:                               ;   in Loop: Header=BB12_5 Depth=1
	s_or_b32 exec_lo, exec_lo, s3
	v_dual_mov_b32 v2, v14 :: v_dual_mov_b32 v3, v15
	v_dual_mov_b32 v4, v16 :: v_dual_mov_b32 v5, v17
	;; [unrolled: 1-line block ×6, first 2 shown]
	s_and_b32 s3, exec_lo, s14
	s_delay_alu instid0(SALU_CYCLE_1) | instskip(NEXT) | instid1(SALU_CYCLE_1)
	s_or_b32 s40, s3, s40
	s_and_not1_b32 exec_lo, exec_lo, s40
	s_cbranch_execz .LBB12_53
.LBB12_5:                               ; =>This Loop Header: Depth=1
                                        ;     Child Loop BB12_7 Depth 2
                                        ;     Child Loop BB12_14 Depth 2
                                        ;       Child Loop BB12_17 Depth 3
                                        ;         Child Loop BB12_18 Depth 4
                                        ;         Child Loop BB12_21 Depth 4
                                        ;           Child Loop BB12_22 Depth 5
                                        ;         Child Loop BB12_27 Depth 4
                                        ;           Child Loop BB12_29 Depth 5
                                        ;     Child Loop BB12_35 Depth 2
                                        ;       Child Loop BB12_38 Depth 3
                                        ;         Child Loop BB12_39 Depth 4
                                        ;         Child Loop BB12_41 Depth 4
                                        ;           Child Loop BB12_42 Depth 5
                                        ;         Child Loop BB12_47 Depth 4
                                        ;           Child Loop BB12_49 Depth 5
	s_mov_b32 s3, s15
	s_delay_alu instid0(SALU_CYCLE_1) | instskip(NEXT) | instid1(SALU_CYCLE_1)
	s_lshl_b64 s[16:17], s[2:3], 3
	s_add_nc_u64 s[18:19], s[8:9], s[16:17]
	global_load_b64 v[28:29], v1, s[18:19]
	s_and_saveexec_b32 s3, s0
	s_cbranch_execz .LBB12_11
; %bb.6:                                ;   in Loop: Header=BB12_5 Depth=1
	s_add_nc_u64 s[16:17], s[4:5], s[16:17]
	v_mov_b32_e32 v16, v34
	global_load_b64 v[14:15], v1, s[16:17]
	s_mov_b32 s14, s35
	s_wait_loadcnt 0x0
	v_add_co_u32 v14, vcc_lo, v14, s6
	s_wait_alu 0xfffd
	v_add_co_ci_u32_e64 v15, null, s7, v15, vcc_lo
	s_delay_alu instid0(VALU_DEP_2) | instskip(SKIP_1) | instid1(VALU_DEP_2)
	v_add_co_u32 v14, vcc_lo, v14, v0
	s_wait_alu 0xfffd
	v_add_co_ci_u32_e64 v15, null, 0, v15, vcc_lo
.LBB12_7:                               ;   Parent Loop BB12_5 Depth=1
                                        ; =>  This Inner Loop Header: Depth=2
	flat_load_b32 v17, v[14:15]
	v_add_co_u32 v14, vcc_lo, v14, s12
	s_wait_alu 0xfffd
	v_add_co_ci_u32_e64 v15, null, s13, v15, vcc_lo
	s_add_co_i32 s14, s14, -1
	s_delay_alu instid0(SALU_CYCLE_1)
	s_cmp_eq_u32 s14, 0
	s_wait_loadcnt_dscnt 0x0
	ds_store_b32 v16, v17
	v_add_nc_u32_e32 v16, 48, v16
	s_cbranch_scc0 .LBB12_7
; %bb.8:                                ;   in Loop: Header=BB12_5 Depth=1
	v_mov_b32_e32 v14, 1.0
	s_and_b32 vcc_lo, exec_lo, s37
	s_wait_alu 0xfffe
	s_cbranch_vccz .LBB12_10
; %bb.9:                                ;   in Loop: Header=BB12_5 Depth=1
	ds_load_b32 v14, v37
	s_wait_dscnt 0x0
	v_div_scale_f32 v15, null, v14, v14, 1.0
	s_delay_alu instid0(VALU_DEP_1) | instskip(NEXT) | instid1(TRANS32_DEP_1)
	v_rcp_f32_e32 v16, v15
	v_fma_f32 v17, -v15, v16, 1.0
	s_delay_alu instid0(VALU_DEP_1) | instskip(SKIP_1) | instid1(VALU_DEP_1)
	v_fmac_f32_e32 v16, v17, v16
	v_div_scale_f32 v17, vcc_lo, 1.0, v14, 1.0
	v_mul_f32_e32 v18, v17, v16
	s_delay_alu instid0(VALU_DEP_1) | instskip(NEXT) | instid1(VALU_DEP_1)
	v_fma_f32 v19, -v15, v18, v17
	v_fmac_f32_e32 v18, v19, v16
	s_delay_alu instid0(VALU_DEP_1) | instskip(SKIP_1) | instid1(VALU_DEP_1)
	v_fma_f32 v15, -v15, v18, v17
	s_wait_alu 0xfffd
	v_div_fmas_f32 v15, v15, v16, v18
	s_delay_alu instid0(VALU_DEP_1)
	v_div_fixup_f32 v14, v15, v14, 1.0
.LBB12_10:                              ;   in Loop: Header=BB12_5 Depth=1
	ds_store_b32 v37, v14
.LBB12_11:                              ;   in Loop: Header=BB12_5 Depth=1
	s_or_b32 exec_lo, exec_lo, s3
	s_mov_b32 s14, -1
	; wave barrier
	s_wait_loadcnt_dscnt 0x0
	global_inv scope:SCOPE_SE
                                        ; implicit-def: $vgpr14_vgpr15_vgpr16_vgpr17_vgpr18_vgpr19_vgpr20_vgpr21_vgpr22_vgpr23_vgpr24_vgpr25
	s_and_saveexec_b32 s3, s1
	s_cbranch_execz .LBB12_4
; %bb.12:                               ;   in Loop: Header=BB12_5 Depth=1
	v_add_co_u32 v14, vcc_lo, v28, s10
	s_wait_alu 0xfffd
	v_add_co_ci_u32_e64 v15, null, s11, v29, vcc_lo
	s_delay_alu instid0(VALU_DEP_2) | instskip(SKIP_1) | instid1(VALU_DEP_2)
	v_add_co_u32 v38, vcc_lo, v14, v26
	s_wait_alu 0xfffd
	v_add_co_ci_u32_e64 v39, null, v15, v27, vcc_lo
	s_and_not1_b32 vcc_lo, exec_lo, s38
                                        ; implicit-def: $vgpr14_vgpr15_vgpr16_vgpr17_vgpr18_vgpr19_vgpr20_vgpr21_vgpr22_vgpr23_vgpr24_vgpr25
	s_wait_alu 0xfffe
	s_cbranch_vccnz .LBB12_33
; %bb.13:                               ;   in Loop: Header=BB12_5 Depth=1
	v_add_co_u32 v40, vcc_lo, v28, v35
	v_dual_mov_b32 v25, v13 :: v_dual_mov_b32 v24, v12
	v_dual_mov_b32 v23, v11 :: v_dual_mov_b32 v22, v10
	;; [unrolled: 1-line block ×6, first 2 shown]
	s_wait_alu 0xfffd
	v_add_co_ci_u32_e64 v41, null, v29, v36, vcc_lo
	s_mov_b32 s18, 0
	s_mov_b32 s16, 0
.LBB12_14:                              ;   Parent Loop BB12_5 Depth=1
                                        ; =>  This Loop Header: Depth=2
                                        ;       Child Loop BB12_17 Depth 3
                                        ;         Child Loop BB12_18 Depth 4
                                        ;         Child Loop BB12_21 Depth 4
                                        ;           Child Loop BB12_22 Depth 5
                                        ;         Child Loop BB12_27 Depth 4
                                        ;           Child Loop BB12_29 Depth 5
	s_mov_b32 s19, s15
	s_getpc_b64 s[20:21]
	s_wait_alu 0xfffe
	s_sext_i32_i16 s21, s21
	s_add_co_u32 s20, s20, __const._ZL30rocblas_trsm_small_left_deviceILi12ELi12ELb0EffPKPKfPKPfEv13rocblas_fill_18rocblas_operation_17rocblas_diagonal_iiT3_T4_lilT5_lili.step_sizes@rel32@lo+12
	s_wait_alu 0xfffe
	s_add_co_ci_u32 s21, s21, __const._ZL30rocblas_trsm_small_left_deviceILi12ELi12ELb0EffPKPKfPKPfEv13rocblas_fill_18rocblas_operation_17rocblas_diagonal_iiT3_T4_lilT5_lili.step_sizes@rel32@hi+24
	s_lshl_b64 s[22:23], s[18:19], 2
	s_wait_alu 0xfffe
	s_add_nc_u64 s[20:21], s[20:21], s[22:23]
	s_load_b32 s20, s[20:21], 0x0
	s_wait_kmcnt 0x0
	s_add_co_i32 s19, s20, -1
	s_wait_alu 0xfffe
	s_add_co_i32 s14, s19, s16
	s_delay_alu instid0(SALU_CYCLE_1)
	s_cmp_ge_i32 s14, s35
	s_cbranch_scc1 .LBB12_30
; %bb.15:                               ;   in Loop: Header=BB12_14 Depth=2
	s_ashr_i32 s17, s16, 31
	s_ashr_i32 s21, s20, 31
	s_lshl_b64 s[22:23], s[16:17], 2
	s_max_i32 s41, s20, 1
	s_wait_alu 0xfffe
	v_add_co_u32 v30, vcc_lo, v40, s22
	s_wait_alu 0xfffd
	v_add_co_ci_u32_e64 v31, null, s23, v41, vcc_lo
	s_lshl_b64 s[22:23], s[20:21], 2
	s_mul_i32 s17, s16, 48
	s_mul_i32 s21, s20, 48
	;; [unrolled: 1-line block ×4, first 2 shown]
	s_branch .LBB12_17
.LBB12_16:                              ;   in Loop: Header=BB12_17 Depth=3
	v_add_co_u32 v30, vcc_lo, v30, s22
	s_add_co_i32 s16, s16, s20
	s_wait_alu 0xfffd
	v_add_co_ci_u32_e64 v31, null, s23, v31, vcc_lo
	s_add_co_i32 s14, s19, s16
	s_add_co_i32 s17, s17, s21
	;; [unrolled: 1-line block ×3, first 2 shown]
	s_cmp_ge_i32 s14, s35
	s_cbranch_scc1 .LBB12_30
.LBB12_17:                              ;   Parent Loop BB12_5 Depth=1
                                        ;     Parent Loop BB12_14 Depth=2
                                        ; =>    This Loop Header: Depth=3
                                        ;         Child Loop BB12_18 Depth 4
                                        ;         Child Loop BB12_21 Depth 4
                                        ;           Child Loop BB12_22 Depth 5
                                        ;         Child Loop BB12_27 Depth 4
                                        ;           Child Loop BB12_29 Depth 5
	v_dual_mov_b32 v33, v31 :: v_dual_mov_b32 v32, v30
	s_mov_b64 s[24:25], 0
.LBB12_18:                              ;   Parent Loop BB12_5 Depth=1
                                        ;     Parent Loop BB12_14 Depth=2
                                        ;       Parent Loop BB12_17 Depth=3
                                        ; =>      This Inner Loop Header: Depth=4
	flat_load_b32 v42, v[32:33]
	v_add_co_u32 v32, vcc_lo, v32, 4
	s_wait_alu 0xfffd
	v_add_co_ci_u32_e64 v33, null, 0, v33, vcc_lo
	s_wait_alu 0xfffe
	s_mov_b32 m0, s24
	s_add_nc_u64 s[24:25], s[24:25], 1
	s_wait_alu 0xfffe
	s_cmp_eq_u32 s41, s24
	s_wait_loadcnt_dscnt 0x0
	v_mul_f32_e32 v42, s34, v42
	s_delay_alu instid0(VALU_DEP_1)
	v_movreld_b32_e32 v14, v42
	s_cbranch_scc0 .LBB12_18
; %bb.19:                               ;   in Loop: Header=BB12_17 Depth=3
	s_cmp_lt_i32 s16, 1
	s_cbranch_scc1 .LBB12_24
; %bb.20:                               ;   in Loop: Header=BB12_17 Depth=3
	s_mov_b32 s14, 0
	s_mov_b32 s26, s17
.LBB12_21:                              ;   Parent Loop BB12_5 Depth=1
                                        ;     Parent Loop BB12_14 Depth=2
                                        ;       Parent Loop BB12_17 Depth=3
                                        ; =>      This Loop Header: Depth=4
                                        ;           Child Loop BB12_22 Depth 5
	s_lshl_b64 s[24:25], s[14:15], 2
	s_wait_alu 0xfffe
	s_mov_b32 s27, s26
	v_add_co_u32 v32, vcc_lo, v38, s24
	s_wait_alu 0xfffd
	v_add_co_ci_u32_e64 v33, null, s25, v39, vcc_lo
	s_mov_b64 s[24:25], 0
	flat_load_b32 v32, v[32:33]
.LBB12_22:                              ;   Parent Loop BB12_5 Depth=1
                                        ;     Parent Loop BB12_14 Depth=2
                                        ;       Parent Loop BB12_17 Depth=3
                                        ;         Parent Loop BB12_21 Depth=4
                                        ; =>        This Inner Loop Header: Depth=5
	s_wait_alu 0xfffe
	v_mov_b32_e32 v33, s27
	s_mov_b32 m0, s24
	s_add_nc_u64 s[24:25], s[24:25], 1
	v_movrels_b32_e32 v42, v14
	s_add_co_i32 s27, s27, 48
	ds_load_b32 v33, v33
	s_wait_alu 0xfffe
	s_cmp_eq_u32 s41, s24
	s_wait_loadcnt_dscnt 0x0
	v_fma_f32 v33, -v32, v33, v42
	s_delay_alu instid0(VALU_DEP_1)
	v_movreld_b32_e32 v14, v33
	s_cbranch_scc0 .LBB12_22
; %bb.23:                               ;   in Loop: Header=BB12_21 Depth=4
	s_add_co_i32 s14, s14, 1
	s_add_co_i32 s26, s26, 4
	s_cmp_eq_u32 s14, s16
	s_cbranch_scc0 .LBB12_21
.LBB12_24:                              ;   in Loop: Header=BB12_17 Depth=3
	s_mov_b64 s[24:25], 0
	s_mov_b32 s14, s42
	s_branch .LBB12_27
.LBB12_25:                              ;   in Loop: Header=BB12_27 Depth=4
	s_mov_b32 s26, s16
	s_mov_b64 s[28:29], 0
.LBB12_26:                              ;   in Loop: Header=BB12_27 Depth=4
	s_wait_alu 0xfffe
	s_mul_i32 s27, s26, 52
	s_mov_b32 m0, s28
	s_wait_alu 0xfffe
	v_mov_b32_e32 v32, s27
	v_movrels_b32_e32 v33, v14
	s_ashr_i32 s27, s26, 31
	s_add_nc_u64 s[24:25], s[24:25], 1
	s_wait_alu 0xfffe
	s_lshl_b64 s[26:27], s[26:27], 2
	ds_load_b32 v32, v32
	s_add_co_i32 s14, s14, 48
	s_cmp_eq_u32 s24, s41
	s_wait_dscnt 0x0
	v_mul_f32_e32 v42, v33, v32
	s_wait_alu 0xfffe
	v_add_co_u32 v32, vcc_lo, v38, s26
	s_wait_alu 0xfffd
	v_add_co_ci_u32_e64 v33, null, s27, v39, vcc_lo
	v_movreld_b32_e32 v14, v42
	flat_store_b32 v[32:33], v42
	s_cbranch_scc1 .LBB12_16
.LBB12_27:                              ;   Parent Loop BB12_5 Depth=1
                                        ;     Parent Loop BB12_14 Depth=2
                                        ;       Parent Loop BB12_17 Depth=3
                                        ; =>      This Loop Header: Depth=4
                                        ;           Child Loop BB12_29 Depth 5
	s_wait_alu 0xfffe
	s_cmp_eq_u32 s24, 0
	s_cbranch_scc1 .LBB12_25
; %bb.28:                               ;   in Loop: Header=BB12_27 Depth=4
	s_add_co_i32 s26, s24, s16
	s_mov_b64 s[30:31], 0
	s_mov_b64 s[28:29], s[24:25]
	s_mov_b32 s27, s14
.LBB12_29:                              ;   Parent Loop BB12_5 Depth=1
                                        ;     Parent Loop BB12_14 Depth=2
                                        ;       Parent Loop BB12_17 Depth=3
                                        ;         Parent Loop BB12_27 Depth=4
                                        ; =>        This Inner Loop Header: Depth=5
	s_wait_alu 0xfffe
	v_mov_b32_e32 v32, s27
	s_mov_b32 m0, s30
	s_add_nc_u64 s[30:31], s[30:31], 1
	v_movrels_b32_e32 v33, v14
	s_mov_b32 m0, s24
	ds_load_b32 v32, v32
	v_movrels_b32_e32 v42, v14
	s_add_co_i32 s27, s27, 4
	s_cmp_eq_u32 s24, s30
	s_wait_dscnt 0x0
	s_delay_alu instid0(VALU_DEP_1) | instskip(NEXT) | instid1(VALU_DEP_1)
	v_fma_f32 v32, -v33, v32, v42
	v_movreld_b32_e32 v14, v32
	s_cbranch_scc0 .LBB12_29
	s_branch .LBB12_26
.LBB12_30:                              ;   in Loop: Header=BB12_14 Depth=2
	s_cmp_lt_i32 s16, s35
	s_cselect_b32 s17, -1, 0
	s_add_co_i32 s14, s18, 1
	s_cmp_lt_u32 s18, 2
	s_cselect_b32 s18, -1, 0
	s_wait_alu 0xfffe
	s_and_b32 s17, s17, s18
	s_delay_alu instid0(SALU_CYCLE_1)
	s_and_b32 vcc_lo, exec_lo, s17
	s_wait_alu 0xfffe
	s_cbranch_vccz .LBB12_32
; %bb.31:                               ;   in Loop: Header=BB12_14 Depth=2
	s_mov_b32 s18, s14
	s_branch .LBB12_14
.LBB12_32:                              ;   in Loop: Header=BB12_5 Depth=1
	s_mov_b32 s14, 0
.LBB12_33:                              ;   in Loop: Header=BB12_5 Depth=1
	s_delay_alu instid0(SALU_CYCLE_1)
	s_and_b32 vcc_lo, exec_lo, s14
	s_wait_alu 0xfffe
	s_cbranch_vccz .LBB12_3
; %bb.34:                               ;   in Loop: Header=BB12_5 Depth=1
	v_add_co_u32 v16, vcc_lo, v28, v35
	s_wait_alu 0xfffd
	v_add_co_ci_u32_e64 v17, null, v29, v36, vcc_lo
	s_mov_b32 s14, 0
	s_mov_b32 s16, s36
.LBB12_35:                              ;   Parent Loop BB12_5 Depth=1
                                        ; =>  This Loop Header: Depth=2
                                        ;       Child Loop BB12_38 Depth 3
                                        ;         Child Loop BB12_39 Depth 4
                                        ;         Child Loop BB12_41 Depth 4
                                        ;           Child Loop BB12_42 Depth 5
                                        ;         Child Loop BB12_47 Depth 4
                                        ;           Child Loop BB12_49 Depth 5
	s_getpc_b64 s[18:19]
	s_wait_alu 0xfffe
	s_sext_i32_i16 s19, s19
	s_add_co_u32 s18, s18, __const._ZL30rocblas_trsm_small_left_deviceILi12ELi12ELb0EffPKPKfPKPfEv13rocblas_fill_18rocblas_operation_17rocblas_diagonal_iiT3_T4_lilT5_lili.step_sizes@rel32@lo+12
	s_wait_alu 0xfffe
	s_add_co_ci_u32 s19, s19, __const._ZL30rocblas_trsm_small_left_deviceILi12ELi12ELb0EffPKPKfPKPfEv13rocblas_fill_18rocblas_operation_17rocblas_diagonal_iiT3_T4_lilT5_lili.step_sizes@rel32@hi+24
	s_lshl_b64 s[20:21], s[14:15], 2
	s_wait_alu 0xfffe
	s_add_nc_u64 s[18:19], s[18:19], s[20:21]
	s_load_b32 s26, s[18:19], 0x0
	s_wait_kmcnt 0x0
	s_add_co_i32 s27, s26, -1
	s_wait_alu 0xfffe
	s_cmp_lt_i32 s16, s27
	s_cbranch_scc1 .LBB12_51
; %bb.36:                               ;   in Loop: Header=BB12_35 Depth=2
	s_lshl_b32 s17, s16, 2
	s_lshl_b32 s18, s26, 2
	s_max_i32 s28, s26, 1
	s_add_co_i32 s29, s39, s17
	s_wait_alu 0xfffe
	s_sub_co_i32 s30, 0, s18
	s_mul_i32 s31, s16, 52
	s_mul_i32 s41, s26, 0xffffffcc
	s_branch .LBB12_38
.LBB12_37:                              ;   in Loop: Header=BB12_38 Depth=3
	s_sub_co_i32 s16, s16, s26
	s_add_co_i32 s29, s29, s30
	s_add_co_i32 s31, s31, s41
	s_cmp_lt_i32 s16, s27
	s_cbranch_scc1 .LBB12_51
.LBB12_38:                              ;   Parent Loop BB12_5 Depth=1
                                        ;     Parent Loop BB12_35 Depth=2
                                        ; =>    This Loop Header: Depth=3
                                        ;         Child Loop BB12_39 Depth 4
                                        ;         Child Loop BB12_41 Depth 4
                                        ;           Child Loop BB12_42 Depth 5
                                        ;         Child Loop BB12_47 Depth 4
                                        ;           Child Loop BB12_49 Depth 5
	s_ashr_i32 s17, s16, 31
	s_delay_alu instid0(SALU_CYCLE_1)
	s_lshl_b64 s[18:19], s[16:17], 2
	s_wait_alu 0xfffe
	v_add_co_u32 v14, vcc_lo, v16, s18
	s_wait_alu 0xfffd
	v_add_co_ci_u32_e64 v15, null, s19, v17, vcc_lo
	s_mov_b64 s[18:19], 0
.LBB12_39:                              ;   Parent Loop BB12_5 Depth=1
                                        ;     Parent Loop BB12_35 Depth=2
                                        ;       Parent Loop BB12_38 Depth=3
                                        ; =>      This Inner Loop Header: Depth=4
	flat_load_b32 v18, v[14:15]
	v_add_co_u32 v14, vcc_lo, v14, -4
	s_wait_alu 0xfffd
	v_add_co_ci_u32_e64 v15, null, -1, v15, vcc_lo
	s_wait_alu 0xfffe
	s_mov_b32 m0, s18
	s_add_nc_u64 s[18:19], s[18:19], 1
	s_wait_alu 0xfffe
	s_cmp_eq_u32 s28, s18
	s_wait_loadcnt_dscnt 0x0
	v_mul_f32_e32 v18, s34, v18
	s_delay_alu instid0(VALU_DEP_1)
	v_movreld_b32_e32 v2, v18
	s_cbranch_scc0 .LBB12_39
; %bb.40:                               ;   in Loop: Header=BB12_38 Depth=3
	s_cmp_le_i32 s36, s16
	s_mov_b32 s22, s29
	s_mov_b32 s18, s36
	s_cbranch_scc1 .LBB12_44
.LBB12_41:                              ;   Parent Loop BB12_5 Depth=1
                                        ;     Parent Loop BB12_35 Depth=2
                                        ;       Parent Loop BB12_38 Depth=3
                                        ; =>      This Loop Header: Depth=4
                                        ;           Child Loop BB12_42 Depth 5
	s_wait_alu 0xfffe
	s_ashr_i32 s19, s18, 31
	s_wait_alu 0xfffe
	s_lshl_b64 s[20:21], s[18:19], 2
	s_mov_b32 s19, s22
	s_wait_alu 0xfffe
	v_add_co_u32 v14, vcc_lo, v38, s20
	s_wait_alu 0xfffd
	v_add_co_ci_u32_e64 v15, null, s21, v39, vcc_lo
	s_mov_b64 s[20:21], 0
	flat_load_b32 v14, v[14:15]
.LBB12_42:                              ;   Parent Loop BB12_5 Depth=1
                                        ;     Parent Loop BB12_35 Depth=2
                                        ;       Parent Loop BB12_38 Depth=3
                                        ;         Parent Loop BB12_41 Depth=4
                                        ; =>        This Inner Loop Header: Depth=5
	s_wait_alu 0xfffe
	v_mov_b32_e32 v15, s19
	s_mov_b32 m0, s20
	s_add_nc_u64 s[20:21], s[20:21], 1
	v_movrels_b32_e32 v18, v2
	s_add_co_i32 s19, s19, -4
	ds_load_b32 v15, v15
	s_wait_alu 0xfffe
	s_cmp_eq_u32 s28, s20
	s_wait_loadcnt_dscnt 0x0
	v_fma_f32 v15, -v14, v15, v18
	s_delay_alu instid0(VALU_DEP_1)
	v_movreld_b32_e32 v2, v15
	s_cbranch_scc0 .LBB12_42
; %bb.43:                               ;   in Loop: Header=BB12_41 Depth=4
	s_add_co_i32 s18, s18, -1
	s_sub_co_i32 s22, s22, 48
	s_wait_alu 0xfffe
	s_cmp_le_i32 s18, s16
	s_cbranch_scc0 .LBB12_41
.LBB12_44:                              ;   in Loop: Header=BB12_38 Depth=3
	s_mov_b64 s[18:19], 0
	s_mov_b32 s42, s31
	s_branch .LBB12_47
.LBB12_45:                              ;   in Loop: Header=BB12_47 Depth=4
	s_mov_b32 s20, s16
	s_mov_b64 s[24:25], 0
	s_mov_b64 s[22:23], s[16:17]
.LBB12_46:                              ;   in Loop: Header=BB12_47 Depth=4
	s_wait_alu 0xfffe
	s_mul_i32 s20, s20, 52
	s_mov_b32 m0, s24
	s_wait_alu 0xfffe
	v_mov_b32_e32 v14, s20
	v_movrels_b32_e32 v15, v2
	s_lshl_b64 s[20:21], s[22:23], 2
	s_add_nc_u64 s[18:19], s[18:19], 1
	s_add_co_i32 s42, s42, -4
	ds_load_b32 v14, v14
	s_wait_alu 0xfffe
	s_cmp_eq_u32 s18, s28
	s_wait_dscnt 0x0
	v_mul_f32_e32 v18, v15, v14
	v_add_co_u32 v14, vcc_lo, v38, s20
	s_wait_alu 0xfffd
	v_add_co_ci_u32_e64 v15, null, s21, v39, vcc_lo
	s_delay_alu instid0(VALU_DEP_3)
	v_movreld_b32_e32 v2, v18
	flat_store_b32 v[14:15], v18
	s_cbranch_scc1 .LBB12_37
.LBB12_47:                              ;   Parent Loop BB12_5 Depth=1
                                        ;     Parent Loop BB12_35 Depth=2
                                        ;       Parent Loop BB12_38 Depth=3
                                        ; =>      This Loop Header: Depth=4
                                        ;           Child Loop BB12_49 Depth 5
	s_wait_alu 0xfffe
	s_cmp_eq_u32 s18, 0
	s_cbranch_scc1 .LBB12_45
; %bb.48:                               ;   in Loop: Header=BB12_47 Depth=4
	s_mov_b64 s[20:21], 0
	s_mov_b32 s22, s42
.LBB12_49:                              ;   Parent Loop BB12_5 Depth=1
                                        ;     Parent Loop BB12_35 Depth=2
                                        ;       Parent Loop BB12_38 Depth=3
                                        ;         Parent Loop BB12_47 Depth=4
                                        ; =>        This Inner Loop Header: Depth=5
	s_wait_alu 0xfffe
	v_mov_b32_e32 v14, s22
	s_mov_b32 m0, s20
	s_add_nc_u64 s[20:21], s[20:21], 1
	v_movrels_b32_e32 v15, v2
	s_mov_b32 m0, s18
	ds_load_b32 v14, v14
	v_movrels_b32_e32 v18, v2
	s_sub_co_i32 s22, s22, 48
	s_wait_alu 0xfffe
	s_cmp_eq_u32 s18, s20
	s_wait_dscnt 0x0
	v_fma_f32 v14, -v15, v14, v18
	s_delay_alu instid0(VALU_DEP_1)
	v_movreld_b32_e32 v2, v14
	s_cbranch_scc0 .LBB12_49
; %bb.50:                               ;   in Loop: Header=BB12_47 Depth=4
	s_sub_co_i32 s20, s16, s18
	s_mov_b64 s[24:25], s[18:19]
	s_wait_alu 0xfffe
	s_ashr_i32 s21, s20, 31
	s_wait_alu 0xfffe
	s_mov_b64 s[22:23], s[20:21]
	s_branch .LBB12_46
.LBB12_51:                              ;   in Loop: Header=BB12_35 Depth=2
	s_cmp_gt_i32 s16, -1
	s_cselect_b32 s18, -1, 0
	s_add_co_i32 s17, s14, 1
	s_cmp_lt_u32 s14, 2
	s_cselect_b32 s14, -1, 0
	s_wait_alu 0xfffe
	s_and_b32 s14, s18, s14
	s_delay_alu instid0(SALU_CYCLE_1)
	s_and_not1_b32 vcc_lo, exec_lo, s14
	s_wait_alu 0xfffe
	s_cbranch_vccnz .LBB12_2
; %bb.52:                               ;   in Loop: Header=BB12_35 Depth=2
	s_mov_b32 s14, s17
	s_branch .LBB12_35
.LBB12_53:
	s_endpgm
	.section	.rodata,"a",@progbits
	.p2align	6, 0x0
	.amdhsa_kernel _ZL30rocblas_trsm_small_left_deviceILi12ELi12ELb0EffPKPKfPKPfEv13rocblas_fill_18rocblas_operation_17rocblas_diagonal_iiT3_T4_lilT5_lili
		.amdhsa_group_segment_fixed_size 576
		.amdhsa_private_segment_fixed_size 0
		.amdhsa_kernarg_size 352
		.amdhsa_user_sgpr_count 2
		.amdhsa_user_sgpr_dispatch_ptr 0
		.amdhsa_user_sgpr_queue_ptr 0
		.amdhsa_user_sgpr_kernarg_segment_ptr 1
		.amdhsa_user_sgpr_dispatch_id 0
		.amdhsa_user_sgpr_private_segment_size 0
		.amdhsa_wavefront_size32 1
		.amdhsa_uses_dynamic_stack 0
		.amdhsa_enable_private_segment 0
		.amdhsa_system_sgpr_workgroup_id_x 1
		.amdhsa_system_sgpr_workgroup_id_y 0
		.amdhsa_system_sgpr_workgroup_id_z 1
		.amdhsa_system_sgpr_workgroup_info 0
		.amdhsa_system_vgpr_workitem_id 0
		.amdhsa_next_free_vgpr 43
		.amdhsa_next_free_sgpr 44
		.amdhsa_reserve_vcc 1
		.amdhsa_float_round_mode_32 0
		.amdhsa_float_round_mode_16_64 0
		.amdhsa_float_denorm_mode_32 3
		.amdhsa_float_denorm_mode_16_64 3
		.amdhsa_fp16_overflow 0
		.amdhsa_workgroup_processor_mode 1
		.amdhsa_memory_ordered 1
		.amdhsa_forward_progress 1
		.amdhsa_inst_pref_size 19
		.amdhsa_round_robin_scheduling 0
		.amdhsa_exception_fp_ieee_invalid_op 0
		.amdhsa_exception_fp_denorm_src 0
		.amdhsa_exception_fp_ieee_div_zero 0
		.amdhsa_exception_fp_ieee_overflow 0
		.amdhsa_exception_fp_ieee_underflow 0
		.amdhsa_exception_fp_ieee_inexact 0
		.amdhsa_exception_int_div_zero 0
	.end_amdhsa_kernel
	.section	.text._ZL30rocblas_trsm_small_left_deviceILi12ELi12ELb0EffPKPKfPKPfEv13rocblas_fill_18rocblas_operation_17rocblas_diagonal_iiT3_T4_lilT5_lili,"axG",@progbits,_ZL30rocblas_trsm_small_left_deviceILi12ELi12ELb0EffPKPKfPKPfEv13rocblas_fill_18rocblas_operation_17rocblas_diagonal_iiT3_T4_lilT5_lili,comdat
.Lfunc_end12:
	.size	_ZL30rocblas_trsm_small_left_deviceILi12ELi12ELb0EffPKPKfPKPfEv13rocblas_fill_18rocblas_operation_17rocblas_diagonal_iiT3_T4_lilT5_lili, .Lfunc_end12-_ZL30rocblas_trsm_small_left_deviceILi12ELi12ELb0EffPKPKfPKPfEv13rocblas_fill_18rocblas_operation_17rocblas_diagonal_iiT3_T4_lilT5_lili
                                        ; -- End function
	.set _ZL30rocblas_trsm_small_left_deviceILi12ELi12ELb0EffPKPKfPKPfEv13rocblas_fill_18rocblas_operation_17rocblas_diagonal_iiT3_T4_lilT5_lili.num_vgpr, 43
	.set _ZL30rocblas_trsm_small_left_deviceILi12ELi12ELb0EffPKPKfPKPfEv13rocblas_fill_18rocblas_operation_17rocblas_diagonal_iiT3_T4_lilT5_lili.num_agpr, 0
	.set _ZL30rocblas_trsm_small_left_deviceILi12ELi12ELb0EffPKPKfPKPfEv13rocblas_fill_18rocblas_operation_17rocblas_diagonal_iiT3_T4_lilT5_lili.numbered_sgpr, 44
	.set _ZL30rocblas_trsm_small_left_deviceILi12ELi12ELb0EffPKPKfPKPfEv13rocblas_fill_18rocblas_operation_17rocblas_diagonal_iiT3_T4_lilT5_lili.num_named_barrier, 0
	.set _ZL30rocblas_trsm_small_left_deviceILi12ELi12ELb0EffPKPKfPKPfEv13rocblas_fill_18rocblas_operation_17rocblas_diagonal_iiT3_T4_lilT5_lili.private_seg_size, 0
	.set _ZL30rocblas_trsm_small_left_deviceILi12ELi12ELb0EffPKPKfPKPfEv13rocblas_fill_18rocblas_operation_17rocblas_diagonal_iiT3_T4_lilT5_lili.uses_vcc, 1
	.set _ZL30rocblas_trsm_small_left_deviceILi12ELi12ELb0EffPKPKfPKPfEv13rocblas_fill_18rocblas_operation_17rocblas_diagonal_iiT3_T4_lilT5_lili.uses_flat_scratch, 0
	.set _ZL30rocblas_trsm_small_left_deviceILi12ELi12ELb0EffPKPKfPKPfEv13rocblas_fill_18rocblas_operation_17rocblas_diagonal_iiT3_T4_lilT5_lili.has_dyn_sized_stack, 0
	.set _ZL30rocblas_trsm_small_left_deviceILi12ELi12ELb0EffPKPKfPKPfEv13rocblas_fill_18rocblas_operation_17rocblas_diagonal_iiT3_T4_lilT5_lili.has_recursion, 0
	.set _ZL30rocblas_trsm_small_left_deviceILi12ELi12ELb0EffPKPKfPKPfEv13rocblas_fill_18rocblas_operation_17rocblas_diagonal_iiT3_T4_lilT5_lili.has_indirect_call, 0
	.section	.AMDGPU.csdata,"",@progbits
; Kernel info:
; codeLenInByte = 2424
; TotalNumSgprs: 46
; NumVgprs: 43
; ScratchSize: 0
; MemoryBound: 0
; FloatMode: 240
; IeeeMode: 1
; LDSByteSize: 576 bytes/workgroup (compile time only)
; SGPRBlocks: 0
; VGPRBlocks: 5
; NumSGPRsForWavesPerEU: 46
; NumVGPRsForWavesPerEU: 43
; Occupancy: 16
; WaveLimiterHint : 1
; COMPUTE_PGM_RSRC2:SCRATCH_EN: 0
; COMPUTE_PGM_RSRC2:USER_SGPR: 2
; COMPUTE_PGM_RSRC2:TRAP_HANDLER: 0
; COMPUTE_PGM_RSRC2:TGID_X_EN: 1
; COMPUTE_PGM_RSRC2:TGID_Y_EN: 0
; COMPUTE_PGM_RSRC2:TGID_Z_EN: 1
; COMPUTE_PGM_RSRC2:TIDIG_COMP_CNT: 0
	.section	.text._ZL38rocblas_trsm_small_left_device_sharedBILi12ELi12ELb1EffPKPKfPKPfEv13rocblas_fill_18rocblas_operation_17rocblas_diagonal_iiT3_T4_lilT5_lili,"axG",@progbits,_ZL38rocblas_trsm_small_left_device_sharedBILi12ELi12ELb1EffPKPKfPKPfEv13rocblas_fill_18rocblas_operation_17rocblas_diagonal_iiT3_T4_lilT5_lili,comdat
	.globl	_ZL38rocblas_trsm_small_left_device_sharedBILi12ELi12ELb1EffPKPKfPKPfEv13rocblas_fill_18rocblas_operation_17rocblas_diagonal_iiT3_T4_lilT5_lili ; -- Begin function _ZL38rocblas_trsm_small_left_device_sharedBILi12ELi12ELb1EffPKPKfPKPfEv13rocblas_fill_18rocblas_operation_17rocblas_diagonal_iiT3_T4_lilT5_lili
	.p2align	8
	.type	_ZL38rocblas_trsm_small_left_device_sharedBILi12ELi12ELb1EffPKPKfPKPfEv13rocblas_fill_18rocblas_operation_17rocblas_diagonal_iiT3_T4_lilT5_lili,@function
_ZL38rocblas_trsm_small_left_device_sharedBILi12ELi12ELb1EffPKPKfPKPfEv13rocblas_fill_18rocblas_operation_17rocblas_diagonal_iiT3_T4_lilT5_lili: ; @_ZL38rocblas_trsm_small_left_device_sharedBILi12ELi12ELb1EffPKPKfPKPfEv13rocblas_fill_18rocblas_operation_17rocblas_diagonal_iiT3_T4_lilT5_lili
; %bb.0:
	s_load_b32 s24, s[0:1], 0x58
	s_lshr_b32 s2, ttmp7, 16
	s_wait_kmcnt 0x0
	s_cmp_ge_u32 s2, s24
	s_cbranch_scc1 .LBB13_56
; %bb.1:
	s_clause 0x6
	s_load_b32 s18, s[0:1], 0x28
	s_load_b32 s20, s[0:1], 0x48
	s_load_b128 s[12:15], s[0:1], 0x4
	s_load_b32 s3, s[0:1], 0x60
	s_load_b128 s[4:7], s[0:1], 0x18
	s_load_b128 s[8:11], s[0:1], 0x38
	s_load_b32 s1, s[0:1], 0x14
	s_mul_i32 s0, ttmp9, -12
	v_mov_b32_e32 v1, 0
	s_mul_i32 s22, ttmp9, 12
	v_lshlrev_b32_e32 v29, 2, v0
	v_mul_u32_u24_e32 v15, 48, v0
	s_mov_b32 s17, 0
	s_wait_kmcnt 0x0
	s_ashr_i32 s19, s18, 31
	s_ashr_i32 s21, s20, 31
	s_min_i32 s25, s14, 12
	s_add_co_i32 s3, s3, -1
	s_add_co_i32 s15, s15, s0
	s_add_co_i32 s26, s25, -1
	s_cmp_ge_u32 ttmp9, s3
	v_mad_co_i64_i32 v[13:14], null, s20, v0, 0
	s_cselect_b32 s3, s15, 12
	v_cmp_gt_i32_e64 s0, s25, v0
	s_ashr_i32 s23, s22, 31
	v_cmp_gt_i32_e32 vcc_lo, s3, v0
	v_dual_mov_b32 v11, v1 :: v_dual_lshlrev_b32 v0, 2, v0
	v_mov_b32_e32 v12, v1
	s_cmp_lg_u32 s13, 0x84
	v_mov_b32_e32 v2, v1
	s_cselect_b32 s27, -1, 0
	s_cmp_gt_i32 s14, 0
	v_dual_mov_b32 v3, v1 :: v_dual_mov_b32 v4, v1
	v_dual_mov_b32 v5, v1 :: v_dual_mov_b32 v6, v1
	;; [unrolled: 1-line block ×4, first 2 shown]
	s_cselect_b32 s3, -1, 0
	s_cmp_lg_u32 s12, 0x6f
	v_add_nc_u32_e32 v30, v29, v15
	v_lshlrev_b64_e32 v[27:28], 2, v[13:14]
	v_mov_b32_e32 v13, v12
	v_or_b32_e32 v26, 0x240, v29
	v_mov_b32_e32 v12, v11
	v_mov_b32_e32 v11, v10
	;; [unrolled: 1-line block ×11, first 2 shown]
	s_mul_u64 s[20:21], s[20:21], s[22:23]
	s_cselect_b32 s28, -1, 0
	s_lshl_b32 s30, s25, 2
	s_wait_alu 0xfffe
	s_and_b32 s29, vcc_lo, s3
	s_lshl_b64 s[12:13], s[18:19], 2
	s_add_co_i32 s30, s30, -4
	s_lshl_b64 s[6:7], s[6:7], 2
	s_lshl_b64 s[10:11], s[10:11], 2
	;; [unrolled: 1-line block ×3, first 2 shown]
	s_branch .LBB13_3
.LBB13_2:                               ;   in Loop: Header=BB13_3 Depth=1
	s_wait_alu 0xfffe
	s_or_b32 exec_lo, exec_lo, s3
	v_dual_mov_b32 v2, v14 :: v_dual_mov_b32 v3, v15
	v_dual_mov_b32 v4, v16 :: v_dual_mov_b32 v5, v17
	;; [unrolled: 1-line block ×6, first 2 shown]
	s_add_co_i32 s2, s2, 0x10000
	s_wait_alu 0xfffe
	s_cmp_lt_u32 s2, s24
	s_cbranch_scc0 .LBB13_56
.LBB13_3:                               ; =>This Loop Header: Depth=1
                                        ;     Child Loop BB13_5 Depth 2
                                        ;     Child Loop BB13_11 Depth 2
	;; [unrolled: 1-line block ×3, first 2 shown]
                                        ;       Child Loop BB13_17 Depth 3
                                        ;         Child Loop BB13_18 Depth 4
                                        ;         Child Loop BB13_20 Depth 4
                                        ;           Child Loop BB13_21 Depth 5
                                        ;         Child Loop BB13_26 Depth 4
                                        ;           Child Loop BB13_28 Depth 5
                                        ;     Child Loop BB13_34 Depth 2
                                        ;       Child Loop BB13_37 Depth 3
                                        ;         Child Loop BB13_38 Depth 4
                                        ;         Child Loop BB13_41 Depth 4
                                        ;           Child Loop BB13_42 Depth 5
                                        ;         Child Loop BB13_47 Depth 4
                                        ;           Child Loop BB13_49 Depth 5
                                        ;     Child Loop BB13_55 Depth 2
	s_mov_b32 s3, s17
	s_wait_alu 0xfffe
	s_lshl_b64 s[18:19], s[2:3], 3
	s_wait_alu 0xfffe
	s_add_nc_u64 s[20:21], s[8:9], s[18:19]
	global_load_b64 v[14:15], v1, s[20:21]
	s_and_saveexec_b32 s3, s0
	s_cbranch_execz .LBB13_9
; %bb.4:                                ;   in Loop: Header=BB13_3 Depth=1
	s_add_nc_u64 s[18:19], s[4:5], s[18:19]
	v_mov_b32_e32 v18, v29
	global_load_b64 v[16:17], v1, s[18:19]
	s_mov_b32 s16, s25
	s_wait_loadcnt 0x0
	v_add_co_u32 v16, vcc_lo, v16, s6
	s_wait_alu 0xfffd
	v_add_co_ci_u32_e64 v17, null, s7, v17, vcc_lo
	s_delay_alu instid0(VALU_DEP_2) | instskip(SKIP_1) | instid1(VALU_DEP_2)
	v_add_co_u32 v16, vcc_lo, v16, v0
	s_wait_alu 0xfffd
	v_add_co_ci_u32_e64 v17, null, 0, v17, vcc_lo
.LBB13_5:                               ;   Parent Loop BB13_3 Depth=1
                                        ; =>  This Inner Loop Header: Depth=2
	flat_load_b32 v19, v[16:17]
	v_add_co_u32 v16, vcc_lo, v16, s12
	s_wait_alu 0xfffd
	v_add_co_ci_u32_e64 v17, null, s13, v17, vcc_lo
	s_add_co_i32 s16, s16, -1
	s_delay_alu instid0(SALU_CYCLE_1)
	s_cmp_eq_u32 s16, 0
	s_wait_loadcnt_dscnt 0x0
	ds_store_b32 v18, v19
	v_add_nc_u32_e32 v18, 48, v18
	s_cbranch_scc0 .LBB13_5
; %bb.6:                                ;   in Loop: Header=BB13_3 Depth=1
	v_mov_b32_e32 v16, 1.0
	s_and_b32 vcc_lo, exec_lo, s27
	s_wait_alu 0xfffe
	s_cbranch_vccz .LBB13_8
; %bb.7:                                ;   in Loop: Header=BB13_3 Depth=1
	ds_load_b32 v16, v30
	s_wait_dscnt 0x0
	v_div_scale_f32 v17, null, v16, v16, 1.0
	s_delay_alu instid0(VALU_DEP_1) | instskip(NEXT) | instid1(TRANS32_DEP_1)
	v_rcp_f32_e32 v18, v17
	v_fma_f32 v19, -v17, v18, 1.0
	s_delay_alu instid0(VALU_DEP_1) | instskip(SKIP_1) | instid1(VALU_DEP_1)
	v_fmac_f32_e32 v18, v19, v18
	v_div_scale_f32 v19, vcc_lo, 1.0, v16, 1.0
	v_mul_f32_e32 v20, v19, v18
	s_delay_alu instid0(VALU_DEP_1) | instskip(NEXT) | instid1(VALU_DEP_1)
	v_fma_f32 v21, -v17, v20, v19
	v_fmac_f32_e32 v20, v21, v18
	s_delay_alu instid0(VALU_DEP_1) | instskip(SKIP_1) | instid1(VALU_DEP_1)
	v_fma_f32 v17, -v17, v20, v19
	s_wait_alu 0xfffd
	v_div_fmas_f32 v17, v17, v18, v20
	s_delay_alu instid0(VALU_DEP_1)
	v_div_fixup_f32 v16, v17, v16, 1.0
.LBB13_8:                               ;   in Loop: Header=BB13_3 Depth=1
	ds_store_b32 v30, v16
.LBB13_9:                               ;   in Loop: Header=BB13_3 Depth=1
	s_wait_alu 0xfffe
	s_or_b32 exec_lo, exec_lo, s3
	s_wait_loadcnt 0x0
	v_add_co_u32 v14, vcc_lo, v14, s10
	s_wait_alu 0xfffd
	v_add_co_ci_u32_e64 v15, null, s11, v15, vcc_lo
	s_delay_alu instid0(VALU_DEP_2) | instskip(SKIP_1) | instid1(VALU_DEP_2)
	v_add_co_u32 v31, vcc_lo, v14, s14
	s_wait_alu 0xfffd
	v_add_co_ci_u32_e64 v32, null, s15, v15, vcc_lo
	s_and_saveexec_b32 s3, s29
	s_cbranch_execz .LBB13_12
; %bb.10:                               ;   in Loop: Header=BB13_3 Depth=1
	v_add_co_u32 v14, vcc_lo, v31, v27
	s_wait_alu 0xfffd
	v_add_co_ci_u32_e64 v15, null, v32, v28, vcc_lo
	v_mov_b32_e32 v16, v26
	s_mov_b32 s16, s25
.LBB13_11:                              ;   Parent Loop BB13_3 Depth=1
                                        ; =>  This Inner Loop Header: Depth=2
	flat_load_b32 v17, v[14:15]
	v_add_co_u32 v14, vcc_lo, v14, 4
	s_wait_alu 0xfffd
	v_add_co_ci_u32_e64 v15, null, 0, v15, vcc_lo
	s_add_co_i32 s16, s16, -1
	s_delay_alu instid0(SALU_CYCLE_1)
	s_cmp_lg_u32 s16, 0
	s_wait_loadcnt_dscnt 0x0
	v_mul_f32_e32 v17, s1, v17
	ds_store_b32 v16, v17
	v_add_nc_u32_e32 v16, 48, v16
	s_cbranch_scc1 .LBB13_11
.LBB13_12:                              ;   in Loop: Header=BB13_3 Depth=1
	s_wait_alu 0xfffe
	s_or_b32 exec_lo, exec_lo, s3
	s_delay_alu instid0(SALU_CYCLE_1)
	s_and_not1_b32 vcc_lo, exec_lo, s28
	s_mov_b32 s3, -1
	s_wait_dscnt 0x0
	; wave barrier
	global_inv scope:SCOPE_SE
                                        ; implicit-def: $vgpr14_vgpr15_vgpr16_vgpr17_vgpr18_vgpr19_vgpr20_vgpr21_vgpr22_vgpr23_vgpr24_vgpr25
	s_wait_alu 0xfffe
	s_cbranch_vccnz .LBB13_32
; %bb.13:                               ;   in Loop: Header=BB13_3 Depth=1
	v_dual_mov_b32 v25, v13 :: v_dual_mov_b32 v24, v12
	v_dual_mov_b32 v23, v11 :: v_dual_mov_b32 v22, v10
	;; [unrolled: 1-line block ×6, first 2 shown]
	s_mov_b32 s16, 0
	s_mov_b32 s3, s26
.LBB13_14:                              ;   Parent Loop BB13_3 Depth=1
                                        ; =>  This Loop Header: Depth=2
                                        ;       Child Loop BB13_17 Depth 3
                                        ;         Child Loop BB13_18 Depth 4
                                        ;         Child Loop BB13_20 Depth 4
                                        ;           Child Loop BB13_21 Depth 5
                                        ;         Child Loop BB13_26 Depth 4
                                        ;           Child Loop BB13_28 Depth 5
	s_getpc_b64 s[18:19]
	s_wait_alu 0xfffe
	s_sext_i32_i16 s19, s19
	s_add_co_u32 s18, s18, __const._ZL38rocblas_trsm_small_left_device_sharedBILi12ELi12ELb1EffPKPKfPKPfEv13rocblas_fill_18rocblas_operation_17rocblas_diagonal_iiT3_T4_lilT5_lili.step_sizes@rel32@lo+12
	s_wait_alu 0xfffe
	s_add_co_ci_u32 s19, s19, __const._ZL38rocblas_trsm_small_left_device_sharedBILi12ELi12ELb1EffPKPKfPKPfEv13rocblas_fill_18rocblas_operation_17rocblas_diagonal_iiT3_T4_lilT5_lili.step_sizes@rel32@hi+24
	s_lshl_b64 s[20:21], s[16:17], 2
	s_wait_alu 0xfffe
	s_add_nc_u64 s[18:19], s[18:19], s[20:21]
	s_load_b32 s31, s[18:19], 0x0
	s_wait_kmcnt 0x0
	s_add_co_i32 s33, s31, -1
	s_wait_alu 0xfffe
	s_cmp_lt_i32 s3, s33
	s_cbranch_scc1 .LBB13_29
; %bb.15:                               ;   in Loop: Header=BB13_14 Depth=2
	s_mul_i32 s18, s3, 48
	s_max_i32 s34, s31, 1
	s_wait_alu 0xfffe
	v_add_nc_u32_e32 v33, s18, v26
	s_mul_i32 s35, s31, 0xffffffd0
	s_add_co_i32 s36, s30, s18
	s_mul_i32 s37, s3, 52
	s_mul_i32 s38, s31, 0xffffffcc
	s_branch .LBB13_17
.LBB13_16:                              ;   in Loop: Header=BB13_17 Depth=3
	v_add_nc_u32_e32 v33, s35, v33
	s_sub_co_i32 s3, s3, s31
	s_add_co_i32 s36, s36, s35
	s_add_co_i32 s37, s37, s38
	s_wait_alu 0xfffe
	s_cmp_lt_i32 s3, s33
	s_cbranch_scc1 .LBB13_29
.LBB13_17:                              ;   Parent Loop BB13_3 Depth=1
                                        ;     Parent Loop BB13_14 Depth=2
                                        ; =>    This Loop Header: Depth=3
                                        ;         Child Loop BB13_18 Depth 4
                                        ;         Child Loop BB13_20 Depth 4
                                        ;           Child Loop BB13_21 Depth 5
                                        ;         Child Loop BB13_26 Depth 4
                                        ;           Child Loop BB13_28 Depth 5
	v_mov_b32_e32 v34, v33
	s_mov_b64 s[18:19], 0
.LBB13_18:                              ;   Parent Loop BB13_3 Depth=1
                                        ;     Parent Loop BB13_14 Depth=2
                                        ;       Parent Loop BB13_17 Depth=3
                                        ; =>      This Inner Loop Header: Depth=4
	ds_load_b32 v35, v34
	v_subrev_nc_u32_e32 v34, 48, v34
	s_wait_alu 0xfffe
	s_mov_b32 m0, s18
	s_add_nc_u64 s[18:19], s[18:19], 1
	s_wait_alu 0xfffe
	s_cmp_eq_u32 s34, s18
	s_wait_dscnt 0x0
	v_movreld_b32_e32 v14, v35
	s_cbranch_scc0 .LBB13_18
; %bb.19:                               ;   in Loop: Header=BB13_17 Depth=3
	s_cmp_le_i32 s26, s3
	s_mov_b32 s20, s36
	s_mov_b32 s21, s26
	s_cbranch_scc1 .LBB13_23
.LBB13_20:                              ;   Parent Loop BB13_3 Depth=1
                                        ;     Parent Loop BB13_14 Depth=2
                                        ;       Parent Loop BB13_17 Depth=3
                                        ; =>      This Loop Header: Depth=4
                                        ;           Child Loop BB13_21 Depth 5
	s_wait_alu 0xfffe
	v_mad_co_u64_u32 v[34:35], null, s21, 48, v[26:27]
	s_mov_b64 s[18:19], 0
	s_mov_b32 s22, s20
	ds_load_b32 v34, v34
.LBB13_21:                              ;   Parent Loop BB13_3 Depth=1
                                        ;     Parent Loop BB13_14 Depth=2
                                        ;       Parent Loop BB13_17 Depth=3
                                        ;         Parent Loop BB13_20 Depth=4
                                        ; =>        This Inner Loop Header: Depth=5
	s_wait_alu 0xfffe
	v_mov_b32_e32 v35, s22
	s_mov_b32 m0, s18
	s_add_nc_u64 s[18:19], s[18:19], 1
	v_movrels_b32_e32 v36, v14
	s_sub_co_i32 s22, s22, 48
	ds_load_b32 v35, v35
	s_wait_alu 0xfffe
	s_cmp_eq_u32 s34, s18
	s_wait_dscnt 0x0
	v_fma_f32 v35, -v34, v35, v36
	s_delay_alu instid0(VALU_DEP_1)
	v_movreld_b32_e32 v14, v35
	s_cbranch_scc0 .LBB13_21
; %bb.22:                               ;   in Loop: Header=BB13_20 Depth=4
	s_add_co_i32 s21, s21, -1
	s_add_co_i32 s20, s20, -4
	s_wait_alu 0xfffe
	s_cmp_le_i32 s21, s3
	s_cbranch_scc0 .LBB13_20
.LBB13_23:                              ;   in Loop: Header=BB13_17 Depth=3
	s_mul_i32 s39, s3, 48
	s_mov_b64 s[18:19], 0
	s_mov_b32 s40, s37
	s_branch .LBB13_26
.LBB13_24:                              ;   in Loop: Header=BB13_26 Depth=4
	s_mov_b32 s42, s3
	s_mov_b64 s[20:21], 0
	s_mov_b32 s41, s39
.LBB13_25:                              ;   in Loop: Header=BB13_26 Depth=4
	s_wait_alu 0xfffe
	s_mov_b32 m0, s20
	s_mul_i32 s20, s42, 52
	v_movrels_b32_e32 v35, v14
	s_wait_alu 0xfffe
	v_mov_b32_e32 v34, s20
	s_add_nc_u64 s[18:19], s[18:19], 1
	s_sub_co_i32 s40, s40, 48
	s_wait_alu 0xfffe
	s_cmp_eq_u32 s18, s34
	ds_load_b32 v34, v34
	s_wait_dscnt 0x0
	v_mul_f32_e32 v34, v35, v34
	v_add_nc_u32_e32 v35, s41, v26
	s_delay_alu instid0(VALU_DEP_2)
	v_movreld_b32_e32 v14, v34
	ds_store_b32 v35, v34
	s_cbranch_scc1 .LBB13_16
.LBB13_26:                              ;   Parent Loop BB13_3 Depth=1
                                        ;     Parent Loop BB13_14 Depth=2
                                        ;       Parent Loop BB13_17 Depth=3
                                        ; =>      This Loop Header: Depth=4
                                        ;           Child Loop BB13_28 Depth 5
	s_wait_alu 0xfffe
	s_cmp_eq_u32 s18, 0
	s_cbranch_scc1 .LBB13_24
; %bb.27:                               ;   in Loop: Header=BB13_26 Depth=4
	s_sub_co_i32 s42, s3, s18
	s_mov_b64 s[20:21], s[18:19]
	s_mov_b64 s[22:23], 0
	s_mul_i32 s41, s42, 48
	s_mov_b32 s21, s40
.LBB13_28:                              ;   Parent Loop BB13_3 Depth=1
                                        ;     Parent Loop BB13_14 Depth=2
                                        ;       Parent Loop BB13_17 Depth=3
                                        ;         Parent Loop BB13_26 Depth=4
                                        ; =>        This Inner Loop Header: Depth=5
	s_wait_alu 0xfffe
	v_mov_b32_e32 v34, s21
	s_mov_b32 m0, s22
	s_add_nc_u64 s[22:23], s[22:23], 1
	v_movrels_b32_e32 v35, v14
	s_mov_b32 m0, s18
	ds_load_b32 v34, v34
	v_movrels_b32_e32 v36, v14
	s_add_co_i32 s21, s21, -4
	s_wait_alu 0xfffe
	s_cmp_eq_u32 s18, s22
	s_wait_dscnt 0x0
	v_fma_f32 v34, -v35, v34, v36
	s_delay_alu instid0(VALU_DEP_1)
	v_movreld_b32_e32 v14, v34
	s_cbranch_scc0 .LBB13_28
	s_branch .LBB13_25
.LBB13_29:                              ;   in Loop: Header=BB13_14 Depth=2
	s_cmp_gt_i32 s3, -1
	s_cselect_b32 s19, -1, 0
	s_add_co_i32 s18, s16, 1
	s_cmp_lt_u32 s16, 2
	s_cselect_b32 s16, -1, 0
	s_wait_alu 0xfffe
	s_and_b32 s16, s19, s16
	s_delay_alu instid0(SALU_CYCLE_1)
	s_and_b32 vcc_lo, exec_lo, s16
	s_wait_alu 0xfffe
	s_cbranch_vccz .LBB13_31
; %bb.30:                               ;   in Loop: Header=BB13_14 Depth=2
	s_mov_b32 s16, s18
	s_branch .LBB13_14
.LBB13_31:                              ;   in Loop: Header=BB13_3 Depth=1
	s_mov_b32 s3, 0
.LBB13_32:                              ;   in Loop: Header=BB13_3 Depth=1
	s_wait_alu 0xfffe
	s_and_b32 vcc_lo, exec_lo, s3
	s_wait_alu 0xfffe
	s_cbranch_vccz .LBB13_53
; %bb.33:                               ;   in Loop: Header=BB13_3 Depth=1
	s_mov_b32 s3, 0
	s_wait_alu 0xfffe
	s_mov_b32 s16, s3
.LBB13_34:                              ;   Parent Loop BB13_3 Depth=1
                                        ; =>  This Loop Header: Depth=2
                                        ;       Child Loop BB13_37 Depth 3
                                        ;         Child Loop BB13_38 Depth 4
                                        ;         Child Loop BB13_41 Depth 4
                                        ;           Child Loop BB13_42 Depth 5
                                        ;         Child Loop BB13_47 Depth 4
                                        ;           Child Loop BB13_49 Depth 5
	s_getpc_b64 s[18:19]
	s_wait_alu 0xfffe
	s_sext_i32_i16 s19, s19
	s_add_co_u32 s18, s18, __const._ZL38rocblas_trsm_small_left_device_sharedBILi12ELi12ELb1EffPKPKfPKPfEv13rocblas_fill_18rocblas_operation_17rocblas_diagonal_iiT3_T4_lilT5_lili.step_sizes@rel32@lo+12
	s_wait_alu 0xfffe
	s_add_co_ci_u32 s19, s19, __const._ZL38rocblas_trsm_small_left_device_sharedBILi12ELi12ELb1EffPKPKfPKPfEv13rocblas_fill_18rocblas_operation_17rocblas_diagonal_iiT3_T4_lilT5_lili.step_sizes@rel32@hi+24
	s_lshl_b64 s[20:21], s[16:17], 2
	s_wait_alu 0xfffe
	s_add_nc_u64 s[18:19], s[18:19], s[20:21]
	s_load_b32 s22, s[18:19], 0x0
	s_wait_kmcnt 0x0
	s_add_co_i32 s23, s22, -1
	s_wait_alu 0xfffe
	s_add_co_i32 s18, s23, s3
	s_wait_alu 0xfffe
	s_cmp_ge_i32 s18, s25
	s_cbranch_scc1 .LBB13_50
; %bb.35:                               ;   in Loop: Header=BB13_34 Depth=2
	v_mad_co_u64_u32 v[14:15], null, s3, 48, v[26:27]
	s_max_i32 s31, s22, 1
	s_mul_i32 s33, s22, 48
	s_lshl_b32 s34, s3, 2
	s_lshl_b32 s35, s22, 2
	s_mul_i32 s36, s3, 52
	s_mul_i32 s37, s22, 52
	s_branch .LBB13_37
.LBB13_36:                              ;   in Loop: Header=BB13_37 Depth=3
	s_add_co_i32 s3, s3, s22
	v_add_nc_u32_e32 v14, s33, v14
	s_wait_alu 0xfffe
	s_add_co_i32 s18, s23, s3
	s_add_co_i32 s34, s34, s35
	;; [unrolled: 1-line block ×3, first 2 shown]
	s_wait_alu 0xfffe
	s_cmp_ge_i32 s18, s25
	s_cbranch_scc1 .LBB13_50
.LBB13_37:                              ;   Parent Loop BB13_3 Depth=1
                                        ;     Parent Loop BB13_34 Depth=2
                                        ; =>    This Loop Header: Depth=3
                                        ;         Child Loop BB13_38 Depth 4
                                        ;         Child Loop BB13_41 Depth 4
                                        ;           Child Loop BB13_42 Depth 5
                                        ;         Child Loop BB13_47 Depth 4
                                        ;           Child Loop BB13_49 Depth 5
	v_mov_b32_e32 v15, v14
	s_mov_b64 s[18:19], 0
.LBB13_38:                              ;   Parent Loop BB13_3 Depth=1
                                        ;     Parent Loop BB13_34 Depth=2
                                        ;       Parent Loop BB13_37 Depth=3
                                        ; =>      This Inner Loop Header: Depth=4
	ds_load_b32 v16, v15
	v_add_nc_u32_e32 v15, 48, v15
	s_wait_alu 0xfffe
	s_mov_b32 m0, s18
	s_add_nc_u64 s[18:19], s[18:19], 1
	s_wait_alu 0xfffe
	s_cmp_eq_u32 s31, s18
	s_wait_dscnt 0x0
	v_movreld_b32_e32 v2, v16
	s_cbranch_scc0 .LBB13_38
; %bb.39:                               ;   in Loop: Header=BB13_37 Depth=3
	s_cmp_lt_i32 s3, 1
	s_cbranch_scc1 .LBB13_44
; %bb.40:                               ;   in Loop: Header=BB13_37 Depth=3
	s_mov_b32 s20, 0
	s_mov_b32 s21, s34
.LBB13_41:                              ;   Parent Loop BB13_3 Depth=1
                                        ;     Parent Loop BB13_34 Depth=2
                                        ;       Parent Loop BB13_37 Depth=3
                                        ; =>      This Loop Header: Depth=4
                                        ;           Child Loop BB13_42 Depth 5
	s_wait_alu 0xfffe
	v_mad_co_u64_u32 v[15:16], null, s20, 48, v[26:27]
	s_mov_b64 s[18:19], 0
	s_mov_b32 s38, s21
	ds_load_b32 v15, v15
.LBB13_42:                              ;   Parent Loop BB13_3 Depth=1
                                        ;     Parent Loop BB13_34 Depth=2
                                        ;       Parent Loop BB13_37 Depth=3
                                        ;         Parent Loop BB13_41 Depth=4
                                        ; =>        This Inner Loop Header: Depth=5
	s_wait_alu 0xfffe
	v_mov_b32_e32 v16, s38
	s_mov_b32 m0, s18
	s_add_nc_u64 s[18:19], s[18:19], 1
	v_movrels_b32_e32 v17, v2
	s_add_co_i32 s38, s38, 4
	ds_load_b32 v16, v16
	s_wait_alu 0xfffe
	s_cmp_eq_u32 s31, s18
	s_wait_dscnt 0x0
	v_fma_f32 v16, -v15, v16, v17
	s_delay_alu instid0(VALU_DEP_1)
	v_movreld_b32_e32 v2, v16
	s_cbranch_scc0 .LBB13_42
; %bb.43:                               ;   in Loop: Header=BB13_41 Depth=4
	s_add_co_i32 s20, s20, 1
	s_add_co_i32 s21, s21, 48
	s_wait_alu 0xfffe
	s_cmp_eq_u32 s20, s3
	s_cbranch_scc0 .LBB13_41
.LBB13_44:                              ;   in Loop: Header=BB13_37 Depth=3
	s_mov_b64 s[18:19], 0
	s_mov_b32 s38, s36
	s_branch .LBB13_47
.LBB13_45:                              ;   in Loop: Header=BB13_47 Depth=4
	s_mov_b64 s[20:21], s[18:19]
.LBB13_46:                              ;   in Loop: Header=BB13_47 Depth=4
	s_wait_alu 0xfffe
	s_mov_b32 m0, s20
	s_add_co_i32 s20, s18, s3
	v_movrels_b32_e32 v16, v2
	s_wait_alu 0xfffe
	s_mul_i32 s21, s20, 52
	s_add_nc_u64 s[18:19], s[18:19], 1
	s_wait_alu 0xfffe
	v_mov_b32_e32 v15, s21
	s_add_co_i32 s38, s38, 4
	s_cmp_eq_u32 s18, s31
	ds_load_b32 v15, v15
	s_wait_dscnt 0x0
	v_mul_f32_e32 v17, v16, v15
	v_mad_co_u64_u32 v[15:16], null, s20, 48, v[26:27]
	s_delay_alu instid0(VALU_DEP_2)
	v_movreld_b32_e32 v2, v17
	ds_store_b32 v15, v17
	s_cbranch_scc1 .LBB13_36
.LBB13_47:                              ;   Parent Loop BB13_3 Depth=1
                                        ;     Parent Loop BB13_34 Depth=2
                                        ;       Parent Loop BB13_37 Depth=3
                                        ; =>      This Loop Header: Depth=4
                                        ;           Child Loop BB13_49 Depth 5
	s_mov_b64 s[20:21], 0
	s_wait_alu 0xfffe
	s_cmp_eq_u32 s18, 0
	s_cbranch_scc1 .LBB13_46
; %bb.48:                               ;   in Loop: Header=BB13_47 Depth=4
	s_mov_b32 s39, s38
.LBB13_49:                              ;   Parent Loop BB13_3 Depth=1
                                        ;     Parent Loop BB13_34 Depth=2
                                        ;       Parent Loop BB13_37 Depth=3
                                        ;         Parent Loop BB13_47 Depth=4
                                        ; =>        This Inner Loop Header: Depth=5
	s_wait_alu 0xfffe
	v_mov_b32_e32 v15, s39
	s_mov_b32 m0, s20
	s_add_nc_u64 s[20:21], s[20:21], 1
	v_movrels_b32_e32 v16, v2
	s_mov_b32 m0, s18
	ds_load_b32 v15, v15
	v_movrels_b32_e32 v17, v2
	s_add_co_i32 s39, s39, 48
	s_wait_alu 0xfffe
	s_cmp_eq_u32 s18, s20
	s_wait_dscnt 0x0
	v_fma_f32 v15, -v16, v15, v17
	s_delay_alu instid0(VALU_DEP_1)
	v_movreld_b32_e32 v2, v15
	s_cbranch_scc0 .LBB13_49
	s_branch .LBB13_45
.LBB13_50:                              ;   in Loop: Header=BB13_34 Depth=2
	s_cmp_lt_i32 s3, s25
	s_cselect_b32 s19, -1, 0
	s_add_co_i32 s18, s16, 1
	s_cmp_lt_u32 s16, 2
	s_cselect_b32 s16, -1, 0
	s_wait_alu 0xfffe
	s_and_b32 s16, s19, s16
	s_delay_alu instid0(SALU_CYCLE_1)
	s_and_not1_b32 vcc_lo, exec_lo, s16
	s_wait_alu 0xfffe
	s_cbranch_vccnz .LBB13_52
; %bb.51:                               ;   in Loop: Header=BB13_34 Depth=2
	s_mov_b32 s16, s18
	s_branch .LBB13_34
.LBB13_52:                              ;   in Loop: Header=BB13_3 Depth=1
	v_dual_mov_b32 v25, v13 :: v_dual_mov_b32 v24, v12
	v_dual_mov_b32 v23, v11 :: v_dual_mov_b32 v22, v10
	;; [unrolled: 1-line block ×6, first 2 shown]
.LBB13_53:                              ;   in Loop: Header=BB13_3 Depth=1
	; wave barrier
	s_wait_loadcnt_dscnt 0x0
	global_inv scope:SCOPE_SE
	s_and_saveexec_b32 s3, s29
	s_cbranch_execz .LBB13_2
; %bb.54:                               ;   in Loop: Header=BB13_3 Depth=1
	v_add_co_u32 v2, vcc_lo, v31, v27
	s_wait_alu 0xfffd
	v_add_co_ci_u32_e64 v3, null, v32, v28, vcc_lo
	v_mov_b32_e32 v4, v26
	s_mov_b32 s16, s25
.LBB13_55:                              ;   Parent Loop BB13_3 Depth=1
                                        ; =>  This Inner Loop Header: Depth=2
	ds_load_b32 v5, v4
	v_add_nc_u32_e32 v4, 48, v4
	s_add_co_i32 s16, s16, -1
	s_delay_alu instid0(SALU_CYCLE_1)
	s_cmp_lg_u32 s16, 0
	s_wait_dscnt 0x0
	flat_store_b32 v[2:3], v5
	v_add_co_u32 v2, vcc_lo, v2, 4
	s_wait_alu 0xfffd
	v_add_co_ci_u32_e64 v3, null, 0, v3, vcc_lo
	s_cbranch_scc1 .LBB13_55
	s_branch .LBB13_2
.LBB13_56:
	s_endpgm
	.section	.rodata,"a",@progbits
	.p2align	6, 0x0
	.amdhsa_kernel _ZL38rocblas_trsm_small_left_device_sharedBILi12ELi12ELb1EffPKPKfPKPfEv13rocblas_fill_18rocblas_operation_17rocblas_diagonal_iiT3_T4_lilT5_lili
		.amdhsa_group_segment_fixed_size 1152
		.amdhsa_private_segment_fixed_size 0
		.amdhsa_kernarg_size 352
		.amdhsa_user_sgpr_count 2
		.amdhsa_user_sgpr_dispatch_ptr 0
		.amdhsa_user_sgpr_queue_ptr 0
		.amdhsa_user_sgpr_kernarg_segment_ptr 1
		.amdhsa_user_sgpr_dispatch_id 0
		.amdhsa_user_sgpr_private_segment_size 0
		.amdhsa_wavefront_size32 1
		.amdhsa_uses_dynamic_stack 0
		.amdhsa_enable_private_segment 0
		.amdhsa_system_sgpr_workgroup_id_x 1
		.amdhsa_system_sgpr_workgroup_id_y 0
		.amdhsa_system_sgpr_workgroup_id_z 1
		.amdhsa_system_sgpr_workgroup_info 0
		.amdhsa_system_vgpr_workitem_id 0
		.amdhsa_next_free_vgpr 37
		.amdhsa_next_free_sgpr 43
		.amdhsa_reserve_vcc 1
		.amdhsa_float_round_mode_32 0
		.amdhsa_float_round_mode_16_64 0
		.amdhsa_float_denorm_mode_32 3
		.amdhsa_float_denorm_mode_16_64 3
		.amdhsa_fp16_overflow 0
		.amdhsa_workgroup_processor_mode 1
		.amdhsa_memory_ordered 1
		.amdhsa_forward_progress 1
		.amdhsa_inst_pref_size 19
		.amdhsa_round_robin_scheduling 0
		.amdhsa_exception_fp_ieee_invalid_op 0
		.amdhsa_exception_fp_denorm_src 0
		.amdhsa_exception_fp_ieee_div_zero 0
		.amdhsa_exception_fp_ieee_overflow 0
		.amdhsa_exception_fp_ieee_underflow 0
		.amdhsa_exception_fp_ieee_inexact 0
		.amdhsa_exception_int_div_zero 0
	.end_amdhsa_kernel
	.section	.text._ZL38rocblas_trsm_small_left_device_sharedBILi12ELi12ELb1EffPKPKfPKPfEv13rocblas_fill_18rocblas_operation_17rocblas_diagonal_iiT3_T4_lilT5_lili,"axG",@progbits,_ZL38rocblas_trsm_small_left_device_sharedBILi12ELi12ELb1EffPKPKfPKPfEv13rocblas_fill_18rocblas_operation_17rocblas_diagonal_iiT3_T4_lilT5_lili,comdat
.Lfunc_end13:
	.size	_ZL38rocblas_trsm_small_left_device_sharedBILi12ELi12ELb1EffPKPKfPKPfEv13rocblas_fill_18rocblas_operation_17rocblas_diagonal_iiT3_T4_lilT5_lili, .Lfunc_end13-_ZL38rocblas_trsm_small_left_device_sharedBILi12ELi12ELb1EffPKPKfPKPfEv13rocblas_fill_18rocblas_operation_17rocblas_diagonal_iiT3_T4_lilT5_lili
                                        ; -- End function
	.set _ZL38rocblas_trsm_small_left_device_sharedBILi12ELi12ELb1EffPKPKfPKPfEv13rocblas_fill_18rocblas_operation_17rocblas_diagonal_iiT3_T4_lilT5_lili.num_vgpr, 37
	.set _ZL38rocblas_trsm_small_left_device_sharedBILi12ELi12ELb1EffPKPKfPKPfEv13rocblas_fill_18rocblas_operation_17rocblas_diagonal_iiT3_T4_lilT5_lili.num_agpr, 0
	.set _ZL38rocblas_trsm_small_left_device_sharedBILi12ELi12ELb1EffPKPKfPKPfEv13rocblas_fill_18rocblas_operation_17rocblas_diagonal_iiT3_T4_lilT5_lili.numbered_sgpr, 43
	.set _ZL38rocblas_trsm_small_left_device_sharedBILi12ELi12ELb1EffPKPKfPKPfEv13rocblas_fill_18rocblas_operation_17rocblas_diagonal_iiT3_T4_lilT5_lili.num_named_barrier, 0
	.set _ZL38rocblas_trsm_small_left_device_sharedBILi12ELi12ELb1EffPKPKfPKPfEv13rocblas_fill_18rocblas_operation_17rocblas_diagonal_iiT3_T4_lilT5_lili.private_seg_size, 0
	.set _ZL38rocblas_trsm_small_left_device_sharedBILi12ELi12ELb1EffPKPKfPKPfEv13rocblas_fill_18rocblas_operation_17rocblas_diagonal_iiT3_T4_lilT5_lili.uses_vcc, 1
	.set _ZL38rocblas_trsm_small_left_device_sharedBILi12ELi12ELb1EffPKPKfPKPfEv13rocblas_fill_18rocblas_operation_17rocblas_diagonal_iiT3_T4_lilT5_lili.uses_flat_scratch, 0
	.set _ZL38rocblas_trsm_small_left_device_sharedBILi12ELi12ELb1EffPKPKfPKPfEv13rocblas_fill_18rocblas_operation_17rocblas_diagonal_iiT3_T4_lilT5_lili.has_dyn_sized_stack, 0
	.set _ZL38rocblas_trsm_small_left_device_sharedBILi12ELi12ELb1EffPKPKfPKPfEv13rocblas_fill_18rocblas_operation_17rocblas_diagonal_iiT3_T4_lilT5_lili.has_recursion, 0
	.set _ZL38rocblas_trsm_small_left_device_sharedBILi12ELi12ELb1EffPKPKfPKPfEv13rocblas_fill_18rocblas_operation_17rocblas_diagonal_iiT3_T4_lilT5_lili.has_indirect_call, 0
	.section	.AMDGPU.csdata,"",@progbits
; Kernel info:
; codeLenInByte = 2376
; TotalNumSgprs: 45
; NumVgprs: 37
; ScratchSize: 0
; MemoryBound: 0
; FloatMode: 240
; IeeeMode: 1
; LDSByteSize: 1152 bytes/workgroup (compile time only)
; SGPRBlocks: 0
; VGPRBlocks: 4
; NumSGPRsForWavesPerEU: 45
; NumVGPRsForWavesPerEU: 37
; Occupancy: 16
; WaveLimiterHint : 0
; COMPUTE_PGM_RSRC2:SCRATCH_EN: 0
; COMPUTE_PGM_RSRC2:USER_SGPR: 2
; COMPUTE_PGM_RSRC2:TRAP_HANDLER: 0
; COMPUTE_PGM_RSRC2:TGID_X_EN: 1
; COMPUTE_PGM_RSRC2:TGID_Y_EN: 0
; COMPUTE_PGM_RSRC2:TGID_Z_EN: 1
; COMPUTE_PGM_RSRC2:TIDIG_COMP_CNT: 0
	.section	.text._ZL30rocblas_trsm_small_left_deviceILi12ELi12ELb1EffPKPKfPKPfEv13rocblas_fill_18rocblas_operation_17rocblas_diagonal_iiT3_T4_lilT5_lili,"axG",@progbits,_ZL30rocblas_trsm_small_left_deviceILi12ELi12ELb1EffPKPKfPKPfEv13rocblas_fill_18rocblas_operation_17rocblas_diagonal_iiT3_T4_lilT5_lili,comdat
	.globl	_ZL30rocblas_trsm_small_left_deviceILi12ELi12ELb1EffPKPKfPKPfEv13rocblas_fill_18rocblas_operation_17rocblas_diagonal_iiT3_T4_lilT5_lili ; -- Begin function _ZL30rocblas_trsm_small_left_deviceILi12ELi12ELb1EffPKPKfPKPfEv13rocblas_fill_18rocblas_operation_17rocblas_diagonal_iiT3_T4_lilT5_lili
	.p2align	8
	.type	_ZL30rocblas_trsm_small_left_deviceILi12ELi12ELb1EffPKPKfPKPfEv13rocblas_fill_18rocblas_operation_17rocblas_diagonal_iiT3_T4_lilT5_lili,@function
_ZL30rocblas_trsm_small_left_deviceILi12ELi12ELb1EffPKPKfPKPfEv13rocblas_fill_18rocblas_operation_17rocblas_diagonal_iiT3_T4_lilT5_lili: ; @_ZL30rocblas_trsm_small_left_deviceILi12ELi12ELb1EffPKPKfPKPfEv13rocblas_fill_18rocblas_operation_17rocblas_diagonal_iiT3_T4_lilT5_lili
; %bb.0:
	s_load_b32 s28, s[0:1], 0x58
	s_lshr_b32 s2, ttmp7, 16
	s_wait_kmcnt 0x0
	s_cmp_ge_u32 s2, s28
	s_cbranch_scc1 .LBB14_53
; %bb.1:
	s_clause 0x6
	s_load_b32 s16, s[0:1], 0x28
	s_load_b128 s[12:15], s[0:1], 0x4
	s_load_b32 s3, s[0:1], 0x60
	s_load_b32 s18, s[0:1], 0x48
	s_load_b128 s[4:7], s[0:1], 0x18
	s_load_b128 s[8:11], s[0:1], 0x38
	s_load_b32 s29, s[0:1], 0x14
	v_mad_co_u64_u32 v[2:3], null, ttmp9, 12, v[0:1]
	s_mul_i32 s0, ttmp9, -12
	v_dual_mov_b32 v1, 0 :: v_dual_lshlrev_b32 v32, 2, v0
	v_mul_u32_u24_e32 v13, 48, v0
	s_mov_b32 s36, 0
	s_delay_alu instid0(VALU_DEP_1)
	v_dual_mov_b32 v12, v1 :: v_dual_add_nc_u32 v35, v32, v13
	v_dual_mov_b32 v4, v1 :: v_dual_mov_b32 v5, v1
	s_wait_kmcnt 0x0
	s_ashr_i32 s17, s16, 31
	s_min_i32 s30, s14, 12
	s_add_co_i32 s3, s3, -1
	v_mad_co_i64_i32 v[2:3], null, s18, v2, 0
	s_wait_alu 0xfffe
	s_add_co_i32 s0, s15, s0
	s_add_co_i32 s31, s30, -1
	s_wait_alu 0xfffe
	s_cmp_ge_u32 ttmp9, s3
	v_dual_mov_b32 v6, v1 :: v_dual_mov_b32 v7, v1
	s_cselect_b32 s1, s0, 12
	s_cmp_lg_u32 s13, 0x84
	v_lshlrev_b64_e32 v[26:27], 2, v[2:3]
	s_cselect_b32 s33, -1, 0
	s_cmp_lg_u32 s12, 0x6f
	v_dual_mov_b32 v2, v1 :: v_dual_mov_b32 v3, v1
	s_cselect_b32 s34, -1, 0
	s_lshl_b64 s[10:11], s[10:11], 2
	v_dual_mov_b32 v8, v1 :: v_dual_mov_b32 v9, v1
	v_dual_mov_b32 v10, v1 :: v_dual_mov_b32 v11, v1
	v_add_co_u32 v33, vcc_lo, v26, s10
	v_cmp_gt_i32_e64 s0, s30, v0
	s_wait_alu 0xfffe
	v_cmp_gt_i32_e64 s1, s1, v0
	v_dual_mov_b32 v13, v12 :: v_dual_lshlrev_b32 v0, 2, v0
	v_add_co_ci_u32_e64 v34, null, s11, v27, vcc_lo
	v_mov_b32_e32 v12, v11
	v_mov_b32_e32 v11, v10
	;; [unrolled: 1-line block ×11, first 2 shown]
	s_lshl_b32 s35, s30, 2
	s_lshl_b64 s[12:13], s[16:17], 2
	s_add_co_i32 s35, s35, -4
	s_mov_b32 s15, 0
	s_lshl_b64 s[6:7], s[6:7], 2
	s_branch .LBB14_5
.LBB14_2:                               ;   in Loop: Header=BB14_5 Depth=1
	v_dual_mov_b32 v25, v13 :: v_dual_mov_b32 v24, v12
	v_dual_mov_b32 v23, v11 :: v_dual_mov_b32 v22, v10
	;; [unrolled: 1-line block ×6, first 2 shown]
.LBB14_3:                               ;   in Loop: Header=BB14_5 Depth=1
	s_add_co_i32 s2, s2, 0x10000
	s_delay_alu instid0(SALU_CYCLE_1) | instskip(SKIP_1) | instid1(SALU_CYCLE_1)
	s_cmp_ge_u32 s2, s28
	s_cselect_b32 s14, -1, 0
	s_or_not1_b32 s14, s14, exec_lo
.LBB14_4:                               ;   in Loop: Header=BB14_5 Depth=1
	s_or_b32 exec_lo, exec_lo, s3
	v_dual_mov_b32 v2, v14 :: v_dual_mov_b32 v3, v15
	v_dual_mov_b32 v4, v16 :: v_dual_mov_b32 v5, v17
	;; [unrolled: 1-line block ×6, first 2 shown]
	s_and_b32 s3, exec_lo, s14
	s_delay_alu instid0(SALU_CYCLE_1) | instskip(NEXT) | instid1(SALU_CYCLE_1)
	s_or_b32 s36, s3, s36
	s_and_not1_b32 exec_lo, exec_lo, s36
	s_cbranch_execz .LBB14_53
.LBB14_5:                               ; =>This Loop Header: Depth=1
                                        ;     Child Loop BB14_7 Depth 2
                                        ;     Child Loop BB14_14 Depth 2
                                        ;       Child Loop BB14_17 Depth 3
                                        ;         Child Loop BB14_18 Depth 4
                                        ;         Child Loop BB14_20 Depth 4
                                        ;           Child Loop BB14_21 Depth 5
                                        ;         Child Loop BB14_26 Depth 4
                                        ;           Child Loop BB14_28 Depth 5
                                        ;     Child Loop BB14_35 Depth 2
                                        ;       Child Loop BB14_38 Depth 3
                                        ;         Child Loop BB14_39 Depth 4
                                        ;         Child Loop BB14_42 Depth 4
                                        ;           Child Loop BB14_43 Depth 5
                                        ;         Child Loop BB14_48 Depth 4
                                        ;           Child Loop BB14_50 Depth 5
	s_mov_b32 s3, s15
	s_delay_alu instid0(SALU_CYCLE_1) | instskip(NEXT) | instid1(SALU_CYCLE_1)
	s_lshl_b64 s[16:17], s[2:3], 3
	s_add_nc_u64 s[18:19], s[8:9], s[16:17]
	global_load_b64 v[28:29], v1, s[18:19]
	s_and_saveexec_b32 s3, s0
	s_cbranch_execz .LBB14_11
; %bb.6:                                ;   in Loop: Header=BB14_5 Depth=1
	s_add_nc_u64 s[16:17], s[4:5], s[16:17]
	v_mov_b32_e32 v16, v32
	global_load_b64 v[14:15], v1, s[16:17]
	s_mov_b32 s14, s30
	s_wait_loadcnt 0x0
	v_add_co_u32 v14, vcc_lo, v14, s6
	s_wait_alu 0xfffd
	v_add_co_ci_u32_e64 v15, null, s7, v15, vcc_lo
	s_delay_alu instid0(VALU_DEP_2) | instskip(SKIP_1) | instid1(VALU_DEP_2)
	v_add_co_u32 v14, vcc_lo, v14, v0
	s_wait_alu 0xfffd
	v_add_co_ci_u32_e64 v15, null, 0, v15, vcc_lo
.LBB14_7:                               ;   Parent Loop BB14_5 Depth=1
                                        ; =>  This Inner Loop Header: Depth=2
	flat_load_b32 v17, v[14:15]
	v_add_co_u32 v14, vcc_lo, v14, s12
	s_wait_alu 0xfffd
	v_add_co_ci_u32_e64 v15, null, s13, v15, vcc_lo
	s_add_co_i32 s14, s14, -1
	s_delay_alu instid0(SALU_CYCLE_1)
	s_cmp_eq_u32 s14, 0
	s_wait_loadcnt_dscnt 0x0
	ds_store_b32 v16, v17
	v_add_nc_u32_e32 v16, 48, v16
	s_cbranch_scc0 .LBB14_7
; %bb.8:                                ;   in Loop: Header=BB14_5 Depth=1
	v_mov_b32_e32 v14, 1.0
	s_and_b32 vcc_lo, exec_lo, s33
	s_wait_alu 0xfffe
	s_cbranch_vccz .LBB14_10
; %bb.9:                                ;   in Loop: Header=BB14_5 Depth=1
	ds_load_b32 v14, v35
	s_wait_dscnt 0x0
	v_div_scale_f32 v15, null, v14, v14, 1.0
	s_delay_alu instid0(VALU_DEP_1) | instskip(NEXT) | instid1(TRANS32_DEP_1)
	v_rcp_f32_e32 v16, v15
	v_fma_f32 v17, -v15, v16, 1.0
	s_delay_alu instid0(VALU_DEP_1) | instskip(SKIP_1) | instid1(VALU_DEP_1)
	v_fmac_f32_e32 v16, v17, v16
	v_div_scale_f32 v17, vcc_lo, 1.0, v14, 1.0
	v_mul_f32_e32 v18, v17, v16
	s_delay_alu instid0(VALU_DEP_1) | instskip(NEXT) | instid1(VALU_DEP_1)
	v_fma_f32 v19, -v15, v18, v17
	v_fmac_f32_e32 v18, v19, v16
	s_delay_alu instid0(VALU_DEP_1) | instskip(SKIP_1) | instid1(VALU_DEP_1)
	v_fma_f32 v15, -v15, v18, v17
	s_wait_alu 0xfffd
	v_div_fmas_f32 v15, v15, v16, v18
	s_delay_alu instid0(VALU_DEP_1)
	v_div_fixup_f32 v14, v15, v14, 1.0
.LBB14_10:                              ;   in Loop: Header=BB14_5 Depth=1
	ds_store_b32 v35, v14
.LBB14_11:                              ;   in Loop: Header=BB14_5 Depth=1
	s_or_b32 exec_lo, exec_lo, s3
	s_mov_b32 s14, -1
	; wave barrier
	s_wait_loadcnt_dscnt 0x0
	global_inv scope:SCOPE_SE
                                        ; implicit-def: $vgpr14_vgpr15_vgpr16_vgpr17_vgpr18_vgpr19_vgpr20_vgpr21_vgpr22_vgpr23_vgpr24_vgpr25
	s_and_saveexec_b32 s3, s1
	s_cbranch_execz .LBB14_4
; %bb.12:                               ;   in Loop: Header=BB14_5 Depth=1
	v_add_co_u32 v14, vcc_lo, v28, s10
	s_wait_alu 0xfffd
	v_add_co_ci_u32_e64 v15, null, s11, v29, vcc_lo
	s_delay_alu instid0(VALU_DEP_2) | instskip(SKIP_1) | instid1(VALU_DEP_2)
	v_add_co_u32 v36, vcc_lo, v14, v26
	s_wait_alu 0xfffd
	v_add_co_ci_u32_e64 v37, null, v15, v27, vcc_lo
	s_and_not1_b32 vcc_lo, exec_lo, s34
                                        ; implicit-def: $vgpr14_vgpr15_vgpr16_vgpr17_vgpr18_vgpr19_vgpr20_vgpr21_vgpr22_vgpr23_vgpr24_vgpr25
	s_wait_alu 0xfffe
	s_cbranch_vccnz .LBB14_33
; %bb.13:                               ;   in Loop: Header=BB14_5 Depth=1
	v_add_co_u32 v38, vcc_lo, v28, v33
	v_dual_mov_b32 v25, v13 :: v_dual_mov_b32 v24, v12
	v_dual_mov_b32 v23, v11 :: v_dual_mov_b32 v22, v10
	;; [unrolled: 1-line block ×6, first 2 shown]
	s_wait_alu 0xfffd
	v_add_co_ci_u32_e64 v39, null, v29, v34, vcc_lo
	s_mov_b32 s14, 0
	s_mov_b32 s16, s31
.LBB14_14:                              ;   Parent Loop BB14_5 Depth=1
                                        ; =>  This Loop Header: Depth=2
                                        ;       Child Loop BB14_17 Depth 3
                                        ;         Child Loop BB14_18 Depth 4
                                        ;         Child Loop BB14_20 Depth 4
                                        ;           Child Loop BB14_21 Depth 5
                                        ;         Child Loop BB14_26 Depth 4
                                        ;           Child Loop BB14_28 Depth 5
	s_getpc_b64 s[18:19]
	s_wait_alu 0xfffe
	s_sext_i32_i16 s19, s19
	s_add_co_u32 s18, s18, __const._ZL30rocblas_trsm_small_left_deviceILi12ELi12ELb1EffPKPKfPKPfEv13rocblas_fill_18rocblas_operation_17rocblas_diagonal_iiT3_T4_lilT5_lili.step_sizes@rel32@lo+12
	s_wait_alu 0xfffe
	s_add_co_ci_u32 s19, s19, __const._ZL30rocblas_trsm_small_left_deviceILi12ELi12ELb1EffPKPKfPKPfEv13rocblas_fill_18rocblas_operation_17rocblas_diagonal_iiT3_T4_lilT5_lili.step_sizes@rel32@hi+24
	s_lshl_b64 s[20:21], s[14:15], 2
	s_wait_alu 0xfffe
	s_add_nc_u64 s[18:19], s[18:19], s[20:21]
	s_load_b32 s26, s[18:19], 0x0
	s_wait_kmcnt 0x0
	s_add_co_i32 s27, s26, -1
	s_wait_alu 0xfffe
	s_cmp_lt_i32 s16, s27
	s_cbranch_scc1 .LBB14_30
; %bb.15:                               ;   in Loop: Header=BB14_14 Depth=2
	s_mul_i32 s17, s16, 48
	s_max_i32 s37, s26, 1
	s_add_co_i32 s38, s35, s17
	s_mul_i32 s39, s26, 0xffffffd0
	s_mul_i32 s40, s16, 52
	;; [unrolled: 1-line block ×3, first 2 shown]
	s_branch .LBB14_17
.LBB14_16:                              ;   in Loop: Header=BB14_17 Depth=3
	s_sub_co_i32 s16, s16, s26
	s_add_co_i32 s38, s38, s39
	s_add_co_i32 s40, s40, s41
	s_cmp_lt_i32 s16, s27
	s_cbranch_scc1 .LBB14_30
.LBB14_17:                              ;   Parent Loop BB14_5 Depth=1
                                        ;     Parent Loop BB14_14 Depth=2
                                        ; =>    This Loop Header: Depth=3
                                        ;         Child Loop BB14_18 Depth 4
                                        ;         Child Loop BB14_20 Depth 4
                                        ;           Child Loop BB14_21 Depth 5
                                        ;         Child Loop BB14_26 Depth 4
                                        ;           Child Loop BB14_28 Depth 5
	s_ashr_i32 s17, s16, 31
	s_delay_alu instid0(SALU_CYCLE_1)
	s_lshl_b64 s[18:19], s[16:17], 2
	s_wait_alu 0xfffe
	v_add_co_u32 v30, vcc_lo, v38, s18
	s_wait_alu 0xfffd
	v_add_co_ci_u32_e64 v31, null, s19, v39, vcc_lo
	s_mov_b64 s[18:19], 0
.LBB14_18:                              ;   Parent Loop BB14_5 Depth=1
                                        ;     Parent Loop BB14_14 Depth=2
                                        ;       Parent Loop BB14_17 Depth=3
                                        ; =>      This Inner Loop Header: Depth=4
	flat_load_b32 v40, v[30:31]
	v_add_co_u32 v30, vcc_lo, v30, -4
	s_wait_alu 0xfffd
	v_add_co_ci_u32_e64 v31, null, -1, v31, vcc_lo
	s_wait_alu 0xfffe
	s_mov_b32 m0, s18
	s_add_nc_u64 s[18:19], s[18:19], 1
	s_wait_alu 0xfffe
	s_cmp_eq_u32 s37, s18
	s_wait_loadcnt_dscnt 0x0
	v_mul_f32_e32 v40, s29, v40
	s_delay_alu instid0(VALU_DEP_1)
	v_movreld_b32_e32 v14, v40
	s_cbranch_scc0 .LBB14_18
; %bb.19:                               ;   in Loop: Header=BB14_17 Depth=3
	s_cmp_le_i32 s31, s16
	s_mov_b32 s22, s38
	s_mov_b32 s18, s31
	s_cbranch_scc1 .LBB14_23
.LBB14_20:                              ;   Parent Loop BB14_5 Depth=1
                                        ;     Parent Loop BB14_14 Depth=2
                                        ;       Parent Loop BB14_17 Depth=3
                                        ; =>      This Loop Header: Depth=4
                                        ;           Child Loop BB14_21 Depth 5
	s_wait_alu 0xfffe
	s_ashr_i32 s19, s18, 31
	s_wait_alu 0xfffe
	s_lshl_b64 s[20:21], s[18:19], 2
	s_mov_b32 s19, s22
	s_wait_alu 0xfffe
	v_add_co_u32 v30, vcc_lo, v36, s20
	s_wait_alu 0xfffd
	v_add_co_ci_u32_e64 v31, null, s21, v37, vcc_lo
	s_mov_b64 s[20:21], 0
	flat_load_b32 v30, v[30:31]
.LBB14_21:                              ;   Parent Loop BB14_5 Depth=1
                                        ;     Parent Loop BB14_14 Depth=2
                                        ;       Parent Loop BB14_17 Depth=3
                                        ;         Parent Loop BB14_20 Depth=4
                                        ; =>        This Inner Loop Header: Depth=5
	s_wait_alu 0xfffe
	v_mov_b32_e32 v31, s19
	s_mov_b32 m0, s20
	s_add_nc_u64 s[20:21], s[20:21], 1
	v_movrels_b32_e32 v40, v14
	s_sub_co_i32 s19, s19, 48
	ds_load_b32 v31, v31
	s_wait_alu 0xfffe
	s_cmp_eq_u32 s37, s20
	s_wait_loadcnt_dscnt 0x0
	v_fma_f32 v31, -v30, v31, v40
	s_delay_alu instid0(VALU_DEP_1)
	v_movreld_b32_e32 v14, v31
	s_cbranch_scc0 .LBB14_21
; %bb.22:                               ;   in Loop: Header=BB14_20 Depth=4
	s_add_co_i32 s18, s18, -1
	s_add_co_i32 s22, s22, -4
	s_wait_alu 0xfffe
	s_cmp_le_i32 s18, s16
	s_cbranch_scc0 .LBB14_20
.LBB14_23:                              ;   in Loop: Header=BB14_17 Depth=3
	s_mov_b64 s[18:19], 0
	s_mov_b32 s42, s40
	s_branch .LBB14_26
.LBB14_24:                              ;   in Loop: Header=BB14_26 Depth=4
	s_mov_b32 s22, s16
	s_mov_b64 s[20:21], 0
	s_mov_b64 s[24:25], s[16:17]
.LBB14_25:                              ;   in Loop: Header=BB14_26 Depth=4
	s_wait_alu 0xfffe
	s_mov_b32 m0, s20
	s_mul_i32 s20, s22, 52
	v_movrels_b32_e32 v31, v14
	s_wait_alu 0xfffe
	v_mov_b32_e32 v30, s20
	s_lshl_b64 s[20:21], s[24:25], 2
	s_add_nc_u64 s[18:19], s[18:19], 1
	s_sub_co_i32 s42, s42, 48
	s_wait_alu 0xfffe
	s_cmp_eq_u32 s18, s37
	ds_load_b32 v30, v30
	s_wait_dscnt 0x0
	v_mul_f32_e32 v40, v31, v30
	v_add_co_u32 v30, vcc_lo, v36, s20
	s_wait_alu 0xfffd
	v_add_co_ci_u32_e64 v31, null, s21, v37, vcc_lo
	s_delay_alu instid0(VALU_DEP_3)
	v_movreld_b32_e32 v14, v40
	flat_store_b32 v[30:31], v40
	s_cbranch_scc1 .LBB14_16
.LBB14_26:                              ;   Parent Loop BB14_5 Depth=1
                                        ;     Parent Loop BB14_14 Depth=2
                                        ;       Parent Loop BB14_17 Depth=3
                                        ; =>      This Loop Header: Depth=4
                                        ;           Child Loop BB14_28 Depth 5
	s_wait_alu 0xfffe
	s_cmp_eq_u32 s18, 0
	s_cbranch_scc1 .LBB14_24
; %bb.27:                               ;   in Loop: Header=BB14_26 Depth=4
	s_mov_b64 s[20:21], s[18:19]
	s_mov_b64 s[22:23], 0
	s_mov_b32 s21, s42
.LBB14_28:                              ;   Parent Loop BB14_5 Depth=1
                                        ;     Parent Loop BB14_14 Depth=2
                                        ;       Parent Loop BB14_17 Depth=3
                                        ;         Parent Loop BB14_26 Depth=4
                                        ; =>        This Inner Loop Header: Depth=5
	s_wait_alu 0xfffe
	v_mov_b32_e32 v30, s21
	s_mov_b32 m0, s22
	s_add_nc_u64 s[22:23], s[22:23], 1
	v_movrels_b32_e32 v31, v14
	s_mov_b32 m0, s18
	ds_load_b32 v30, v30
	v_movrels_b32_e32 v40, v14
	s_add_co_i32 s21, s21, -4
	s_wait_alu 0xfffe
	s_cmp_eq_u32 s18, s22
	s_wait_dscnt 0x0
	v_fma_f32 v30, -v31, v30, v40
	s_delay_alu instid0(VALU_DEP_1)
	v_movreld_b32_e32 v14, v30
	s_cbranch_scc0 .LBB14_28
; %bb.29:                               ;   in Loop: Header=BB14_26 Depth=4
	s_sub_co_i32 s22, s16, s18
	s_wait_alu 0xfffe
	s_ashr_i32 s23, s22, 31
	s_wait_alu 0xfffe
	s_mov_b64 s[24:25], s[22:23]
	s_branch .LBB14_25
.LBB14_30:                              ;   in Loop: Header=BB14_14 Depth=2
	s_cmp_gt_i32 s16, -1
	s_cselect_b32 s18, -1, 0
	s_add_co_i32 s17, s14, 1
	s_cmp_lt_u32 s14, 2
	s_cselect_b32 s14, -1, 0
	s_wait_alu 0xfffe
	s_and_b32 s14, s18, s14
	s_delay_alu instid0(SALU_CYCLE_1)
	s_and_b32 vcc_lo, exec_lo, s14
	s_wait_alu 0xfffe
	s_cbranch_vccz .LBB14_32
; %bb.31:                               ;   in Loop: Header=BB14_14 Depth=2
	s_mov_b32 s14, s17
	s_branch .LBB14_14
.LBB14_32:                              ;   in Loop: Header=BB14_5 Depth=1
	s_mov_b32 s14, 0
.LBB14_33:                              ;   in Loop: Header=BB14_5 Depth=1
	s_delay_alu instid0(SALU_CYCLE_1)
	s_and_b32 vcc_lo, exec_lo, s14
	s_wait_alu 0xfffe
	s_cbranch_vccz .LBB14_3
; %bb.34:                               ;   in Loop: Header=BB14_5 Depth=1
	v_add_co_u32 v18, vcc_lo, v28, v33
	s_wait_alu 0xfffd
	v_add_co_ci_u32_e64 v19, null, v29, v34, vcc_lo
	s_mov_b32 s16, 0
	s_mov_b32 s18, 0
.LBB14_35:                              ;   Parent Loop BB14_5 Depth=1
                                        ; =>  This Loop Header: Depth=2
                                        ;       Child Loop BB14_38 Depth 3
                                        ;         Child Loop BB14_39 Depth 4
                                        ;         Child Loop BB14_42 Depth 4
                                        ;           Child Loop BB14_43 Depth 5
                                        ;         Child Loop BB14_48 Depth 4
                                        ;           Child Loop BB14_50 Depth 5
	s_mov_b32 s19, s15
	s_getpc_b64 s[20:21]
	s_wait_alu 0xfffe
	s_sext_i32_i16 s21, s21
	s_add_co_u32 s20, s20, __const._ZL30rocblas_trsm_small_left_deviceILi12ELi12ELb1EffPKPKfPKPfEv13rocblas_fill_18rocblas_operation_17rocblas_diagonal_iiT3_T4_lilT5_lili.step_sizes@rel32@lo+12
	s_wait_alu 0xfffe
	s_add_co_ci_u32 s21, s21, __const._ZL30rocblas_trsm_small_left_deviceILi12ELi12ELb1EffPKPKfPKPfEv13rocblas_fill_18rocblas_operation_17rocblas_diagonal_iiT3_T4_lilT5_lili.step_sizes@rel32@hi+24
	s_lshl_b64 s[22:23], s[18:19], 2
	s_wait_alu 0xfffe
	s_add_nc_u64 s[20:21], s[20:21], s[22:23]
	s_load_b32 s20, s[20:21], 0x0
	s_wait_kmcnt 0x0
	s_add_co_i32 s19, s20, -1
	s_wait_alu 0xfffe
	s_add_co_i32 s14, s19, s16
	s_delay_alu instid0(SALU_CYCLE_1)
	s_cmp_ge_i32 s14, s30
	s_cbranch_scc1 .LBB14_51
; %bb.36:                               ;   in Loop: Header=BB14_35 Depth=2
	s_ashr_i32 s17, s16, 31
	s_ashr_i32 s21, s20, 31
	s_lshl_b64 s[22:23], s[16:17], 2
	s_max_i32 s37, s20, 1
	s_wait_alu 0xfffe
	v_add_co_u32 v14, vcc_lo, v18, s22
	s_wait_alu 0xfffd
	v_add_co_ci_u32_e64 v15, null, s23, v19, vcc_lo
	s_lshl_b64 s[22:23], s[20:21], 2
	s_lshl_b32 s17, s16, 2
	s_lshl_b32 s21, s20, 2
	s_mul_i32 s38, s16, 52
	s_mul_i32 s39, s20, 52
	s_branch .LBB14_38
.LBB14_37:                              ;   in Loop: Header=BB14_38 Depth=3
	v_add_co_u32 v14, vcc_lo, v14, s22
	s_add_co_i32 s16, s16, s20
	s_wait_alu 0xfffd
	v_add_co_ci_u32_e64 v15, null, s23, v15, vcc_lo
	s_add_co_i32 s14, s19, s16
	s_add_co_i32 s17, s17, s21
	;; [unrolled: 1-line block ×3, first 2 shown]
	s_cmp_ge_i32 s14, s30
	s_cbranch_scc1 .LBB14_51
.LBB14_38:                              ;   Parent Loop BB14_5 Depth=1
                                        ;     Parent Loop BB14_35 Depth=2
                                        ; =>    This Loop Header: Depth=3
                                        ;         Child Loop BB14_39 Depth 4
                                        ;         Child Loop BB14_42 Depth 4
                                        ;           Child Loop BB14_43 Depth 5
                                        ;         Child Loop BB14_48 Depth 4
                                        ;           Child Loop BB14_50 Depth 5
	v_dual_mov_b32 v17, v15 :: v_dual_mov_b32 v16, v14
	s_mov_b64 s[24:25], 0
.LBB14_39:                              ;   Parent Loop BB14_5 Depth=1
                                        ;     Parent Loop BB14_35 Depth=2
                                        ;       Parent Loop BB14_38 Depth=3
                                        ; =>      This Inner Loop Header: Depth=4
	flat_load_b32 v20, v[16:17]
	v_add_co_u32 v16, vcc_lo, v16, 4
	s_wait_alu 0xfffd
	v_add_co_ci_u32_e64 v17, null, 0, v17, vcc_lo
	s_wait_alu 0xfffe
	s_mov_b32 m0, s24
	s_add_nc_u64 s[24:25], s[24:25], 1
	s_wait_alu 0xfffe
	s_cmp_eq_u32 s37, s24
	s_wait_loadcnt_dscnt 0x0
	v_mul_f32_e32 v20, s29, v20
	s_delay_alu instid0(VALU_DEP_1)
	v_movreld_b32_e32 v2, v20
	s_cbranch_scc0 .LBB14_39
; %bb.40:                               ;   in Loop: Header=BB14_38 Depth=3
	s_cmp_lt_i32 s16, 1
	s_cbranch_scc1 .LBB14_45
; %bb.41:                               ;   in Loop: Header=BB14_38 Depth=3
	s_mov_b32 s14, 0
	s_mov_b32 s26, s17
.LBB14_42:                              ;   Parent Loop BB14_5 Depth=1
                                        ;     Parent Loop BB14_35 Depth=2
                                        ;       Parent Loop BB14_38 Depth=3
                                        ; =>      This Loop Header: Depth=4
                                        ;           Child Loop BB14_43 Depth 5
	s_lshl_b64 s[24:25], s[14:15], 2
	s_wait_alu 0xfffe
	s_mov_b32 s27, s26
	v_add_co_u32 v16, vcc_lo, v36, s24
	s_wait_alu 0xfffd
	v_add_co_ci_u32_e64 v17, null, s25, v37, vcc_lo
	s_mov_b64 s[24:25], 0
	flat_load_b32 v16, v[16:17]
.LBB14_43:                              ;   Parent Loop BB14_5 Depth=1
                                        ;     Parent Loop BB14_35 Depth=2
                                        ;       Parent Loop BB14_38 Depth=3
                                        ;         Parent Loop BB14_42 Depth=4
                                        ; =>        This Inner Loop Header: Depth=5
	s_wait_alu 0xfffe
	v_mov_b32_e32 v17, s27
	s_mov_b32 m0, s24
	s_add_nc_u64 s[24:25], s[24:25], 1
	v_movrels_b32_e32 v20, v2
	s_add_co_i32 s27, s27, 4
	ds_load_b32 v17, v17
	s_wait_alu 0xfffe
	s_cmp_eq_u32 s37, s24
	s_wait_loadcnt_dscnt 0x0
	v_fma_f32 v17, -v16, v17, v20
	s_delay_alu instid0(VALU_DEP_1)
	v_movreld_b32_e32 v2, v17
	s_cbranch_scc0 .LBB14_43
; %bb.44:                               ;   in Loop: Header=BB14_42 Depth=4
	s_add_co_i32 s14, s14, 1
	s_add_co_i32 s26, s26, 48
	s_cmp_eq_u32 s14, s16
	s_cbranch_scc0 .LBB14_42
.LBB14_45:                              ;   in Loop: Header=BB14_38 Depth=3
	s_mov_b64 s[24:25], 0
	s_mov_b32 s14, s38
	s_branch .LBB14_48
.LBB14_46:                              ;   in Loop: Header=BB14_48 Depth=4
	s_mov_b64 s[26:27], s[24:25]
.LBB14_47:                              ;   in Loop: Header=BB14_48 Depth=4
	s_wait_alu 0xfffe
	s_mov_b32 m0, s26
	s_add_co_i32 s26, s24, s16
	v_movrels_b32_e32 v17, v2
	s_wait_alu 0xfffe
	s_mul_i32 s27, s26, 52
	s_add_nc_u64 s[24:25], s[24:25], 1
	s_wait_alu 0xfffe
	v_mov_b32_e32 v16, s27
	s_ashr_i32 s27, s26, 31
	s_add_co_i32 s14, s14, 4
	s_wait_alu 0xfffe
	s_lshl_b64 s[26:27], s[26:27], 2
	s_cmp_eq_u32 s24, s37
	ds_load_b32 v16, v16
	s_wait_dscnt 0x0
	v_mul_f32_e32 v20, v17, v16
	s_wait_alu 0xfffe
	v_add_co_u32 v16, vcc_lo, v36, s26
	s_wait_alu 0xfffd
	v_add_co_ci_u32_e64 v17, null, s27, v37, vcc_lo
	v_movreld_b32_e32 v2, v20
	flat_store_b32 v[16:17], v20
	s_cbranch_scc1 .LBB14_37
.LBB14_48:                              ;   Parent Loop BB14_5 Depth=1
                                        ;     Parent Loop BB14_35 Depth=2
                                        ;       Parent Loop BB14_38 Depth=3
                                        ; =>      This Loop Header: Depth=4
                                        ;           Child Loop BB14_50 Depth 5
	s_mov_b64 s[26:27], 0
	s_wait_alu 0xfffe
	s_cmp_eq_u32 s24, 0
	s_cbranch_scc1 .LBB14_47
; %bb.49:                               ;   in Loop: Header=BB14_48 Depth=4
	s_mov_b32 s40, s14
.LBB14_50:                              ;   Parent Loop BB14_5 Depth=1
                                        ;     Parent Loop BB14_35 Depth=2
                                        ;       Parent Loop BB14_38 Depth=3
                                        ;         Parent Loop BB14_48 Depth=4
                                        ; =>        This Inner Loop Header: Depth=5
	s_wait_alu 0xfffe
	v_mov_b32_e32 v16, s40
	s_mov_b32 m0, s26
	s_add_nc_u64 s[26:27], s[26:27], 1
	v_movrels_b32_e32 v17, v2
	s_mov_b32 m0, s24
	ds_load_b32 v16, v16
	v_movrels_b32_e32 v20, v2
	s_add_co_i32 s40, s40, 48
	s_wait_alu 0xfffe
	s_cmp_eq_u32 s24, s26
	s_wait_dscnt 0x0
	v_fma_f32 v16, -v17, v16, v20
	s_delay_alu instid0(VALU_DEP_1)
	v_movreld_b32_e32 v2, v16
	s_cbranch_scc0 .LBB14_50
	s_branch .LBB14_46
.LBB14_51:                              ;   in Loop: Header=BB14_35 Depth=2
	s_cmp_lt_i32 s16, s30
	s_cselect_b32 s17, -1, 0
	s_add_co_i32 s14, s18, 1
	s_cmp_lt_u32 s18, 2
	s_cselect_b32 s18, -1, 0
	s_wait_alu 0xfffe
	s_and_b32 s17, s17, s18
	s_delay_alu instid0(SALU_CYCLE_1)
	s_and_not1_b32 vcc_lo, exec_lo, s17
	s_wait_alu 0xfffe
	s_cbranch_vccnz .LBB14_2
; %bb.52:                               ;   in Loop: Header=BB14_35 Depth=2
	s_mov_b32 s18, s14
	s_branch .LBB14_35
.LBB14_53:
	s_endpgm
	.section	.rodata,"a",@progbits
	.p2align	6, 0x0
	.amdhsa_kernel _ZL30rocblas_trsm_small_left_deviceILi12ELi12ELb1EffPKPKfPKPfEv13rocblas_fill_18rocblas_operation_17rocblas_diagonal_iiT3_T4_lilT5_lili
		.amdhsa_group_segment_fixed_size 576
		.amdhsa_private_segment_fixed_size 0
		.amdhsa_kernarg_size 352
		.amdhsa_user_sgpr_count 2
		.amdhsa_user_sgpr_dispatch_ptr 0
		.amdhsa_user_sgpr_queue_ptr 0
		.amdhsa_user_sgpr_kernarg_segment_ptr 1
		.amdhsa_user_sgpr_dispatch_id 0
		.amdhsa_user_sgpr_private_segment_size 0
		.amdhsa_wavefront_size32 1
		.amdhsa_uses_dynamic_stack 0
		.amdhsa_enable_private_segment 0
		.amdhsa_system_sgpr_workgroup_id_x 1
		.amdhsa_system_sgpr_workgroup_id_y 0
		.amdhsa_system_sgpr_workgroup_id_z 1
		.amdhsa_system_sgpr_workgroup_info 0
		.amdhsa_system_vgpr_workitem_id 0
		.amdhsa_next_free_vgpr 41
		.amdhsa_next_free_sgpr 43
		.amdhsa_reserve_vcc 1
		.amdhsa_float_round_mode_32 0
		.amdhsa_float_round_mode_16_64 0
		.amdhsa_float_denorm_mode_32 3
		.amdhsa_float_denorm_mode_16_64 3
		.amdhsa_fp16_overflow 0
		.amdhsa_workgroup_processor_mode 1
		.amdhsa_memory_ordered 1
		.amdhsa_forward_progress 1
		.amdhsa_inst_pref_size 19
		.amdhsa_round_robin_scheduling 0
		.amdhsa_exception_fp_ieee_invalid_op 0
		.amdhsa_exception_fp_denorm_src 0
		.amdhsa_exception_fp_ieee_div_zero 0
		.amdhsa_exception_fp_ieee_overflow 0
		.amdhsa_exception_fp_ieee_underflow 0
		.amdhsa_exception_fp_ieee_inexact 0
		.amdhsa_exception_int_div_zero 0
	.end_amdhsa_kernel
	.section	.text._ZL30rocblas_trsm_small_left_deviceILi12ELi12ELb1EffPKPKfPKPfEv13rocblas_fill_18rocblas_operation_17rocblas_diagonal_iiT3_T4_lilT5_lili,"axG",@progbits,_ZL30rocblas_trsm_small_left_deviceILi12ELi12ELb1EffPKPKfPKPfEv13rocblas_fill_18rocblas_operation_17rocblas_diagonal_iiT3_T4_lilT5_lili,comdat
.Lfunc_end14:
	.size	_ZL30rocblas_trsm_small_left_deviceILi12ELi12ELb1EffPKPKfPKPfEv13rocblas_fill_18rocblas_operation_17rocblas_diagonal_iiT3_T4_lilT5_lili, .Lfunc_end14-_ZL30rocblas_trsm_small_left_deviceILi12ELi12ELb1EffPKPKfPKPfEv13rocblas_fill_18rocblas_operation_17rocblas_diagonal_iiT3_T4_lilT5_lili
                                        ; -- End function
	.set _ZL30rocblas_trsm_small_left_deviceILi12ELi12ELb1EffPKPKfPKPfEv13rocblas_fill_18rocblas_operation_17rocblas_diagonal_iiT3_T4_lilT5_lili.num_vgpr, 41
	.set _ZL30rocblas_trsm_small_left_deviceILi12ELi12ELb1EffPKPKfPKPfEv13rocblas_fill_18rocblas_operation_17rocblas_diagonal_iiT3_T4_lilT5_lili.num_agpr, 0
	.set _ZL30rocblas_trsm_small_left_deviceILi12ELi12ELb1EffPKPKfPKPfEv13rocblas_fill_18rocblas_operation_17rocblas_diagonal_iiT3_T4_lilT5_lili.numbered_sgpr, 43
	.set _ZL30rocblas_trsm_small_left_deviceILi12ELi12ELb1EffPKPKfPKPfEv13rocblas_fill_18rocblas_operation_17rocblas_diagonal_iiT3_T4_lilT5_lili.num_named_barrier, 0
	.set _ZL30rocblas_trsm_small_left_deviceILi12ELi12ELb1EffPKPKfPKPfEv13rocblas_fill_18rocblas_operation_17rocblas_diagonal_iiT3_T4_lilT5_lili.private_seg_size, 0
	.set _ZL30rocblas_trsm_small_left_deviceILi12ELi12ELb1EffPKPKfPKPfEv13rocblas_fill_18rocblas_operation_17rocblas_diagonal_iiT3_T4_lilT5_lili.uses_vcc, 1
	.set _ZL30rocblas_trsm_small_left_deviceILi12ELi12ELb1EffPKPKfPKPfEv13rocblas_fill_18rocblas_operation_17rocblas_diagonal_iiT3_T4_lilT5_lili.uses_flat_scratch, 0
	.set _ZL30rocblas_trsm_small_left_deviceILi12ELi12ELb1EffPKPKfPKPfEv13rocblas_fill_18rocblas_operation_17rocblas_diagonal_iiT3_T4_lilT5_lili.has_dyn_sized_stack, 0
	.set _ZL30rocblas_trsm_small_left_deviceILi12ELi12ELb1EffPKPKfPKPfEv13rocblas_fill_18rocblas_operation_17rocblas_diagonal_iiT3_T4_lilT5_lili.has_recursion, 0
	.set _ZL30rocblas_trsm_small_left_deviceILi12ELi12ELb1EffPKPKfPKPfEv13rocblas_fill_18rocblas_operation_17rocblas_diagonal_iiT3_T4_lilT5_lili.has_indirect_call, 0
	.section	.AMDGPU.csdata,"",@progbits
; Kernel info:
; codeLenInByte = 2420
; TotalNumSgprs: 45
; NumVgprs: 41
; ScratchSize: 0
; MemoryBound: 0
; FloatMode: 240
; IeeeMode: 1
; LDSByteSize: 576 bytes/workgroup (compile time only)
; SGPRBlocks: 0
; VGPRBlocks: 5
; NumSGPRsForWavesPerEU: 45
; NumVGPRsForWavesPerEU: 41
; Occupancy: 16
; WaveLimiterHint : 1
; COMPUTE_PGM_RSRC2:SCRATCH_EN: 0
; COMPUTE_PGM_RSRC2:USER_SGPR: 2
; COMPUTE_PGM_RSRC2:TRAP_HANDLER: 0
; COMPUTE_PGM_RSRC2:TGID_X_EN: 1
; COMPUTE_PGM_RSRC2:TGID_Y_EN: 0
; COMPUTE_PGM_RSRC2:TGID_Z_EN: 1
; COMPUTE_PGM_RSRC2:TIDIG_COMP_CNT: 0
	.section	.text._ZL31rocblas_trsm_small_right_deviceIffPKPKfPKPfLi12EEv13rocblas_fill_18rocblas_operation_17rocblas_diagonal_iiT0_T1_lilT2_lili,"axG",@progbits,_ZL31rocblas_trsm_small_right_deviceIffPKPKfPKPfLi12EEv13rocblas_fill_18rocblas_operation_17rocblas_diagonal_iiT0_T1_lilT2_lili,comdat
	.globl	_ZL31rocblas_trsm_small_right_deviceIffPKPKfPKPfLi12EEv13rocblas_fill_18rocblas_operation_17rocblas_diagonal_iiT0_T1_lilT2_lili ; -- Begin function _ZL31rocblas_trsm_small_right_deviceIffPKPKfPKPfLi12EEv13rocblas_fill_18rocblas_operation_17rocblas_diagonal_iiT0_T1_lilT2_lili
	.p2align	8
	.type	_ZL31rocblas_trsm_small_right_deviceIffPKPKfPKPfLi12EEv13rocblas_fill_18rocblas_operation_17rocblas_diagonal_iiT0_T1_lilT2_lili,@function
_ZL31rocblas_trsm_small_right_deviceIffPKPKfPKPfLi12EEv13rocblas_fill_18rocblas_operation_17rocblas_diagonal_iiT0_T1_lilT2_lili: ; @_ZL31rocblas_trsm_small_right_deviceIffPKPKfPKPfLi12EEv13rocblas_fill_18rocblas_operation_17rocblas_diagonal_iiT0_T1_lilT2_lili
; %bb.0:
	s_load_b32 s22, s[0:1], 0x58
	s_lshr_b32 s2, ttmp7, 16
	s_wait_kmcnt 0x0
	s_cmp_ge_u32 s2, s22
	s_cbranch_scc1 .LBB15_82
; %bb.1:
	s_clause 0x6
	s_load_b32 s20, s[0:1], 0x28
	s_load_b32 s30, s[0:1], 0x48
	s_load_b128 s[16:19], s[0:1], 0x0
	s_load_b64 s[12:13], s[0:1], 0x10
	s_load_b32 s3, s[0:1], 0x60
	s_load_b128 s[4:7], s[0:1], 0x18
	s_load_b128 s[8:11], s[0:1], 0x38
	s_mul_i32 s0, ttmp9, -12
	v_dual_mov_b32 v7, 0 :: v_dual_lshlrev_b32 v6, 2, v0
	v_mul_u32_u24_e32 v2, 48, v0
	v_mov_b32_e32 v11, 1.0
	s_mov_b32 s14, ttmp9
	s_delay_alu instid0(VALU_DEP_3) | instskip(NEXT) | instid1(VALU_DEP_3)
	v_or_b32_e32 v1, 0x240, v6
	v_add_nc_u32_e32 v10, v6, v2
	s_wait_kmcnt 0x0
	s_ashr_i32 s21, s20, 31
	s_ashr_i32 s31, s30, 31
	s_cmp_lg_u32 s16, 0x7a
	s_cselect_b32 s25, -1, 0
	s_min_i32 s1, s12, 12
	s_add_co_i32 s3, s3, -1
	s_add_co_i32 s0, s19, s0
	s_add_co_i32 s23, s1, -1
	s_cmp_ge_u32 ttmp9, s3
	s_mul_i32 s33, s1, 52
	s_cselect_b32 s19, s0, 12
	s_ashr_i32 s15, ttmp9, 31
	s_cmp_eq_u32 s18, 0x84
	v_cmp_gt_i32_e32 vcc_lo, s19, v0
	s_cselect_b32 s24, -1, 0
	s_cmp_gt_i32 s12, 0
	v_cmp_gt_i32_e64 s0, s1, v0
	s_cselect_b32 s18, -1, 0
	s_cmp_lg_u32 s17, 0x6f
	v_lshlrev_b32_e32 v0, 2, v0
	s_cselect_b32 s17, -1, 0
	s_cmp_lg_u32 s16, 0x79
	s_mov_b32 s3, 0
	s_cselect_b32 s16, -1, 0
	s_or_b32 s25, s25, s17
	s_or_b32 s26, s16, s17
	s_cmp_gt_i32 s12, 3
	v_cndmask_b32_e64 v8, 0, 1, s16
	s_cselect_b32 s27, -1, 0
	s_lshl_b64 s[16:17], s[20:21], 2
	s_mul_i32 s20, s1, 48
	s_wait_alu 0xfffe
	s_and_b32 s28, vcc_lo, s18
	v_add3_u32 v9, s20, v6, 0x210
	s_lshl_b64 s[18:19], s[30:31], 2
	s_sub_co_i32 s30, s20, 48
	s_sub_co_i32 s31, s20, 52
	s_lshl_b32 s20, s1, 2
	s_mul_u64 s[14:15], s[14:15], 48
	s_sub_co_i32 s29, s33, 64
	s_addk_co_i32 s33, 0xff3c
	s_wait_alu 0xfffe
	s_add_co_i32 s34, s20, -4
	s_sub_co_i32 s35, s20, 52
	s_lshl_b64 s[6:7], s[6:7], 2
	s_lshl_b64 s[10:11], s[10:11], 2
	s_branch .LBB15_3
.LBB15_2:                               ;   in Loop: Header=BB15_3 Depth=1
	s_wait_alu 0xfffe
	s_or_b32 exec_lo, exec_lo, s20
	s_add_co_i32 s2, s2, 0x10000
	s_delay_alu instid0(SALU_CYCLE_1)
	s_cmp_lt_u32 s2, s22
	s_cbranch_scc0 .LBB15_82
.LBB15_3:                               ; =>This Loop Header: Depth=1
                                        ;     Child Loop BB15_5 Depth 2
                                        ;     Child Loop BB15_10 Depth 2
	;; [unrolled: 1-line block ×3, first 2 shown]
                                        ;       Child Loop BB15_17 Depth 3
                                        ;     Child Loop BB15_23 Depth 2
                                        ;       Child Loop BB15_24 Depth 3
                                        ;     Child Loop BB15_28 Depth 2
	;; [unrolled: 2-line block ×3, first 2 shown]
                                        ;     Child Loop BB15_42 Depth 2
                                        ;       Child Loop BB15_43 Depth 3
                                        ;       Child Loop BB15_45 Depth 3
                                        ;     Child Loop BB15_49 Depth 2
                                        ;       Child Loop BB15_50 Depth 3
                                        ;     Child Loop BB15_57 Depth 2
                                        ;     Child Loop BB15_62 Depth 2
                                        ;       Child Loop BB15_63 Depth 3
                                        ;       Child Loop BB15_65 Depth 3
                                        ;     Child Loop BB15_70 Depth 2
                                        ;       Child Loop BB15_71 Depth 3
                                        ;     Child Loop BB15_77 Depth 2
	;; [unrolled: 2-line block ×3, first 2 shown]
	s_lshl_b64 s[20:21], s[2:3], 3
	s_wait_alu 0xfffe
	s_add_nc_u64 s[36:37], s[8:9], s[20:21]
	global_load_b64 v[2:3], v7, s[36:37]
	s_and_saveexec_b32 s36, s0
	s_cbranch_execz .LBB15_8
; %bb.4:                                ;   in Loop: Header=BB15_3 Depth=1
	s_add_nc_u64 s[20:21], s[4:5], s[20:21]
	v_mov_b32_e32 v12, v6
	global_load_b64 v[4:5], v7, s[20:21]
	s_mov_b32 s20, s1
	s_wait_loadcnt 0x0
	v_add_co_u32 v4, vcc_lo, v4, s6
	s_wait_alu 0xfffd
	v_add_co_ci_u32_e64 v5, null, s7, v5, vcc_lo
	s_delay_alu instid0(VALU_DEP_2) | instskip(SKIP_1) | instid1(VALU_DEP_2)
	v_add_co_u32 v4, vcc_lo, v4, v0
	s_wait_alu 0xfffd
	v_add_co_ci_u32_e64 v5, null, 0, v5, vcc_lo
.LBB15_5:                               ;   Parent Loop BB15_3 Depth=1
                                        ; =>  This Inner Loop Header: Depth=2
	flat_load_b32 v13, v[4:5]
	v_add_co_u32 v4, vcc_lo, v4, s16
	s_wait_alu 0xfffd
	v_add_co_ci_u32_e64 v5, null, s17, v5, vcc_lo
	s_wait_alu 0xfffe
	s_add_co_i32 s20, s20, -1
	s_wait_alu 0xfffe
	s_cmp_eq_u32 s20, 0
	s_wait_loadcnt_dscnt 0x0
	ds_store_b32 v12, v13
	v_add_nc_u32_e32 v12, 48, v12
	s_cbranch_scc0 .LBB15_5
; %bb.6:                                ;   in Loop: Header=BB15_3 Depth=1
	s_and_b32 vcc_lo, exec_lo, s24
	s_wait_alu 0xfffe
	s_cbranch_vccz .LBB15_8
; %bb.7:                                ;   in Loop: Header=BB15_3 Depth=1
	ds_store_b32 v10, v11
.LBB15_8:                               ;   in Loop: Header=BB15_3 Depth=1
	s_wait_alu 0xfffe
	s_or_b32 exec_lo, exec_lo, s36
	s_wait_loadcnt 0x0
	v_add_co_u32 v2, vcc_lo, v2, s10
	s_wait_alu 0xfffd
	v_add_co_ci_u32_e64 v3, null, s11, v3, vcc_lo
	s_delay_alu instid0(VALU_DEP_2) | instskip(SKIP_1) | instid1(VALU_DEP_2)
	v_add_co_u32 v12, vcc_lo, v2, s14
	s_wait_alu 0xfffd
	v_add_co_ci_u32_e64 v13, null, s15, v3, vcc_lo
	s_and_saveexec_b32 s20, s28
	s_cbranch_execz .LBB15_11
; %bb.9:                                ;   in Loop: Header=BB15_3 Depth=1
	v_add_co_u32 v2, vcc_lo, v12, v0
	s_wait_alu 0xfffd
	v_add_co_ci_u32_e64 v3, null, 0, v13, vcc_lo
	v_mov_b32_e32 v4, v1
	s_mov_b32 s21, s12
.LBB15_10:                              ;   Parent Loop BB15_3 Depth=1
                                        ; =>  This Inner Loop Header: Depth=2
	flat_load_b32 v5, v[2:3]
	v_add_co_u32 v2, vcc_lo, v2, s18
	s_wait_alu 0xfffd
	v_add_co_ci_u32_e64 v3, null, s19, v3, vcc_lo
	s_wait_alu 0xfffe
	s_add_co_i32 s21, s21, -1
	s_wait_alu 0xfffe
	s_cmp_lg_u32 s21, 0
	s_wait_loadcnt_dscnt 0x0
	v_mul_f32_e32 v5, s13, v5
	ds_store_b32 v4, v5
	v_add_nc_u32_e32 v4, 48, v4
	s_cbranch_scc1 .LBB15_10
.LBB15_11:                              ;   in Loop: Header=BB15_3 Depth=1
	s_wait_alu 0xfffe
	s_or_b32 exec_lo, exec_lo, s20
	s_delay_alu instid0(SALU_CYCLE_1)
	s_and_b32 vcc_lo, exec_lo, s26
	s_mov_b32 s20, -1
	s_wait_dscnt 0x0
	; wave barrier
	global_inv scope:SCOPE_SE
	s_wait_alu 0xfffe
	s_cbranch_vccz .LBB15_67
; %bb.12:                               ;   in Loop: Header=BB15_3 Depth=1
	s_and_b32 vcc_lo, exec_lo, s25
	s_wait_alu 0xfffe
	s_cbranch_vccz .LBB15_47
; %bb.13:                               ;   in Loop: Header=BB15_3 Depth=1
	v_cmp_ne_u32_e32 vcc_lo, 1, v8
	s_cbranch_vccnz .LBB15_26
; %bb.14:                               ;   in Loop: Header=BB15_3 Depth=1
	s_and_not1_b32 vcc_lo, exec_lo, s27
	s_mov_b32 s36, 0
	s_wait_alu 0xfffe
	s_cbranch_vccnz .LBB15_20
; %bb.15:                               ;   in Loop: Header=BB15_3 Depth=1
	s_mov_b32 s20, 0
	s_mov_b32 s21, 0
.LBB15_16:                              ;   Parent Loop BB15_3 Depth=1
                                        ; =>  This Loop Header: Depth=2
                                        ;       Child Loop BB15_17 Depth 3
	s_wait_alu 0xfffe
	v_mad_co_u64_u32 v[2:3], null, s21, 48, v[1:2]
	s_or_b32 s36, s21, 3
	s_cmp_eq_u32 s21, 0
	s_wait_alu 0xfffe
	s_mul_i32 s36, s36, 48
	s_wait_alu 0xfffe
	v_dual_mov_b32 v16, v1 :: v_dual_add_nc_u32 v5, s36, v1
	s_mov_b32 s36, s20
	ds_load_2addr_b32 v[3:4], v2 offset1:12
	ds_load_b32 v15, v2 offset:96
	ds_load_b32 v14, v5
	s_mov_b32 s37, s21
	s_cbranch_scc1 .LBB15_18
.LBB15_17:                              ;   Parent Loop BB15_3 Depth=1
                                        ;     Parent Loop BB15_16 Depth=2
                                        ; =>    This Inner Loop Header: Depth=3
	s_wait_alu 0xfffe
	v_mov_b32_e32 v17, s36
	s_add_co_i32 s37, s37, -1
	s_add_co_i32 s36, s36, 48
	s_wait_alu 0xfffe
	s_cmp_eq_u32 s37, 0
	ds_load_b32 v21, v16
	ds_load_b128 v[17:20], v17
	v_add_nc_u32_e32 v16, 48, v16
	s_wait_dscnt 0x0
	v_fma_f32 v3, -v21, v17, v3
	v_fma_f32 v4, -v21, v18, v4
	;; [unrolled: 1-line block ×4, first 2 shown]
	s_cbranch_scc0 .LBB15_17
.LBB15_18:                              ;   in Loop: Header=BB15_16 Depth=2
	s_lshl_b32 s36, s21, 2
	s_mul_i32 s37, s21, 48
	s_wait_alu 0xfffe
	s_or_b32 s38, s36, 4
	s_add_co_i32 s37, s36, s37
	s_add_co_i32 s20, s20, 16
	s_wait_alu 0xfffe
	v_mov_b32_e32 v22, s37
	s_add_co_i32 s37, s37, 52
	ds_load_b128 v[16:19], v22
	ds_load_2addr_b32 v[20:21], v22 offset0:13 offset1:14
	s_wait_alu 0xfffe
	s_sub_co_i32 s37, s37, s38
	s_wait_alu 0xfffe
	s_add_co_i32 s36, s37, s36
	s_wait_dscnt 0x1
	v_div_scale_f32 v23, null, v16, v16, v3
	v_div_scale_f32 v26, vcc_lo, v3, v16, v3
	s_delay_alu instid0(VALU_DEP_2) | instskip(NEXT) | instid1(TRANS32_DEP_1)
	v_rcp_f32_e32 v24, v23
	v_fma_f32 v25, -v23, v24, 1.0
	s_delay_alu instid0(VALU_DEP_1) | instskip(NEXT) | instid1(VALU_DEP_1)
	v_fmac_f32_e32 v24, v25, v24
	v_mul_f32_e32 v25, v26, v24
	s_delay_alu instid0(VALU_DEP_1) | instskip(NEXT) | instid1(VALU_DEP_1)
	v_fma_f32 v27, -v23, v25, v26
	v_fmac_f32_e32 v25, v27, v24
	s_delay_alu instid0(VALU_DEP_1) | instskip(SKIP_1) | instid1(VALU_DEP_1)
	v_fma_f32 v23, -v23, v25, v26
	s_wait_alu 0xfffd
	v_div_fmas_f32 v23, v23, v24, v25
	s_delay_alu instid0(VALU_DEP_1) | instskip(NEXT) | instid1(VALU_DEP_1)
	v_div_fixup_f32 v16, v23, v16, v3
	v_fma_f32 v17, -v16, v17, v4
	v_fma_f32 v15, -v16, v18, v15
	;; [unrolled: 1-line block ×3, first 2 shown]
	ds_load_b32 v18, v22 offset:156
	s_wait_dscnt 0x1
	v_div_scale_f32 v23, null, v20, v20, v17
	v_div_scale_f32 v25, vcc_lo, v17, v20, v17
	s_delay_alu instid0(VALU_DEP_2) | instskip(NEXT) | instid1(TRANS32_DEP_1)
	v_rcp_f32_e32 v24, v23
	v_fma_f32 v3, -v23, v24, 1.0
	s_delay_alu instid0(VALU_DEP_1) | instskip(NEXT) | instid1(VALU_DEP_1)
	v_fmac_f32_e32 v24, v3, v24
	v_mul_f32_e32 v26, v25, v24
	s_delay_alu instid0(VALU_DEP_1) | instskip(NEXT) | instid1(VALU_DEP_1)
	v_fma_f32 v3, -v23, v26, v25
	v_fmac_f32_e32 v26, v3, v24
	ds_load_b64 v[3:4], v22 offset:104
	v_fma_f32 v23, -v23, v26, v25
	s_wait_alu 0xfffd
	s_delay_alu instid0(VALU_DEP_1) | instskip(NEXT) | instid1(VALU_DEP_1)
	v_div_fmas_f32 v23, v23, v24, v26
	v_div_fixup_f32 v17, v23, v20, v17
	s_delay_alu instid0(VALU_DEP_1) | instskip(SKIP_4) | instid1(VALU_DEP_2)
	v_fma_f32 v15, -v17, v21, v15
	ds_store_2addr_b32 v2, v16, v17 offset1:12
	s_wait_dscnt 0x1
	v_div_scale_f32 v20, null, v3, v3, v15
	v_div_scale_f32 v23, vcc_lo, v15, v3, v15
	v_rcp_f32_e32 v21, v20
	s_delay_alu instid0(TRANS32_DEP_1) | instskip(SKIP_1) | instid1(VALU_DEP_1)
	v_fma_f32 v22, -v20, v21, 1.0
	s_wait_alu 0xfffe
	v_dual_fmac_f32 v21, v22, v21 :: v_dual_mov_b32 v22, s36
	s_add_co_i32 s36, s21, 4
	s_add_co_i32 s21, s21, 7
	s_delay_alu instid0(VALU_DEP_1) | instskip(SKIP_4) | instid1(VALU_DEP_1)
	v_mul_f32_e32 v24, v23, v21
	ds_load_b32 v22, v22 offset:12
	s_wait_alu 0xfffe
	s_cmp_ge_i32 s21, s1
	v_fma_f32 v25, -v20, v24, v23
	v_fmac_f32_e32 v24, v25, v21
	s_delay_alu instid0(VALU_DEP_1) | instskip(SKIP_1) | instid1(VALU_DEP_1)
	v_fma_f32 v20, -v20, v24, v23
	s_wait_alu 0xfffd
	v_div_fmas_f32 v19, v20, v21, v24
	s_wait_dscnt 0x0
	v_fma_f32 v14, -v17, v22, v14
	s_delay_alu instid0(VALU_DEP_2) | instskip(NEXT) | instid1(VALU_DEP_1)
	v_div_fixup_f32 v3, v19, v3, v15
	v_fma_f32 v4, -v3, v4, v14
	s_delay_alu instid0(VALU_DEP_1) | instskip(SKIP_1) | instid1(VALU_DEP_2)
	v_div_scale_f32 v14, null, v18, v18, v4
	v_div_scale_f32 v20, vcc_lo, v4, v18, v4
	v_rcp_f32_e32 v15, v14
	s_delay_alu instid0(TRANS32_DEP_1) | instskip(NEXT) | instid1(VALU_DEP_1)
	v_fma_f32 v19, -v14, v15, 1.0
	v_fmac_f32_e32 v15, v19, v15
	s_delay_alu instid0(VALU_DEP_1) | instskip(NEXT) | instid1(VALU_DEP_1)
	v_mul_f32_e32 v19, v20, v15
	v_fma_f32 v21, -v14, v19, v20
	s_delay_alu instid0(VALU_DEP_1) | instskip(NEXT) | instid1(VALU_DEP_1)
	v_fmac_f32_e32 v19, v21, v15
	v_fma_f32 v14, -v14, v19, v20
	s_wait_alu 0xfffd
	s_delay_alu instid0(VALU_DEP_1) | instskip(NEXT) | instid1(VALU_DEP_1)
	v_div_fmas_f32 v14, v14, v15, v19
	v_div_fixup_f32 v4, v14, v18, v4
	ds_store_b32 v2, v3 offset:96
	ds_store_b32 v5, v4
	s_cbranch_scc1 .LBB15_20
; %bb.19:                               ;   in Loop: Header=BB15_16 Depth=2
	s_mov_b32 s21, s36
	s_branch .LBB15_16
.LBB15_20:                              ;   in Loop: Header=BB15_3 Depth=1
	s_cmp_ge_i32 s36, s1
	s_cbranch_scc1 .LBB15_25
; %bb.21:                               ;   in Loop: Header=BB15_3 Depth=1
	s_lshl_b32 s20, s36, 2
	s_branch .LBB15_23
.LBB15_22:                              ;   in Loop: Header=BB15_23 Depth=2
	s_lshl_b32 s37, s36, 2
	s_add_co_i32 s36, s36, 1
	s_wait_alu 0xfffe
	s_add_co_i32 s21, s37, s21
	s_add_co_i32 s20, s20, 4
	s_wait_alu 0xfffe
	v_mov_b32_e32 v4, s21
	s_cmp_ge_i32 s36, s1
	ds_load_b32 v4, v4
	s_wait_dscnt 0x0
	v_div_scale_f32 v5, null, v4, v4, v3
	s_delay_alu instid0(VALU_DEP_1) | instskip(NEXT) | instid1(TRANS32_DEP_1)
	v_rcp_f32_e32 v14, v5
	v_fma_f32 v15, -v5, v14, 1.0
	s_delay_alu instid0(VALU_DEP_1) | instskip(SKIP_1) | instid1(VALU_DEP_1)
	v_fmac_f32_e32 v14, v15, v14
	v_div_scale_f32 v15, vcc_lo, v3, v4, v3
	v_mul_f32_e32 v16, v15, v14
	s_delay_alu instid0(VALU_DEP_1) | instskip(NEXT) | instid1(VALU_DEP_1)
	v_fma_f32 v17, -v5, v16, v15
	v_fmac_f32_e32 v16, v17, v14
	s_delay_alu instid0(VALU_DEP_1) | instskip(SKIP_1) | instid1(VALU_DEP_1)
	v_fma_f32 v5, -v5, v16, v15
	s_wait_alu 0xfffd
	v_div_fmas_f32 v5, v5, v14, v16
	s_delay_alu instid0(VALU_DEP_1)
	v_div_fixup_f32 v3, v5, v4, v3
	ds_store_b32 v2, v3
	s_cbranch_scc1 .LBB15_25
.LBB15_23:                              ;   Parent Loop BB15_3 Depth=1
                                        ; =>  This Loop Header: Depth=2
                                        ;       Child Loop BB15_24 Depth 3
	s_mul_i32 s21, s36, 48
	v_mov_b32_e32 v4, v1
	s_wait_alu 0xfffe
	v_add_nc_u32_e32 v2, s21, v1
	s_cmp_eq_u32 s36, 0
	s_mov_b32 s37, s20
	s_mov_b32 s38, s36
	ds_load_b32 v3, v2
	s_cbranch_scc1 .LBB15_22
.LBB15_24:                              ;   Parent Loop BB15_3 Depth=1
                                        ;     Parent Loop BB15_23 Depth=2
                                        ; =>    This Inner Loop Header: Depth=3
	s_wait_alu 0xfffe
	v_mov_b32_e32 v5, s37
	s_add_co_i32 s38, s38, -1
	s_add_co_i32 s37, s37, 48
	s_wait_alu 0xfffe
	s_cmp_eq_u32 s38, 0
	ds_load_b32 v14, v4
	ds_load_b32 v5, v5
	v_add_nc_u32_e32 v4, 48, v4
	s_wait_dscnt 0x0
	v_fma_f32 v3, -v14, v5, v3
	s_cbranch_scc0 .LBB15_24
	s_branch .LBB15_22
.LBB15_25:                              ;   in Loop: Header=BB15_3 Depth=1
	s_mov_b32 s20, 0
.LBB15_26:                              ;   in Loop: Header=BB15_3 Depth=1
	s_wait_alu 0xfffe
	s_and_b32 vcc_lo, exec_lo, s20
	s_wait_alu 0xfffe
	s_cbranch_vccz .LBB15_46
; %bb.27:                               ;   in Loop: Header=BB15_3 Depth=1
	s_mov_b32 s36, s23
	s_and_not1_b32 vcc_lo, exec_lo, s27
	s_mov_b32 s20, s29
	s_mov_b32 s21, s23
	s_wait_alu 0xfffe
	s_cbranch_vccnz .LBB15_33
.LBB15_28:                              ;   Parent Loop BB15_3 Depth=1
                                        ; =>  This Loop Header: Depth=2
                                        ;       Child Loop BB15_29 Depth 3
	s_wait_alu 0xfffe
	s_mul_i32 s37, s21, 48
	s_mov_b32 s38, s20
	s_wait_alu 0xfffe
	v_add_nc_u32_e32 v2, s37, v1
	s_add_co_i32 s36, s37, 0xffffff70
	s_wait_alu 0xfffe
	v_dual_mov_b32 v18, v9 :: v_dual_add_nc_u32 v5, s36, v1
	s_cmp_le_i32 s23, s21
	v_subrev_nc_u32_e32 v3, 48, v2
	v_add_nc_u32_e32 v4, 0xffffffa0, v2
	s_mov_b32 s39, s23
	ds_load_b32 v17, v2
	ds_load_b32 v16, v3
	;; [unrolled: 1-line block ×4, first 2 shown]
	s_cbranch_scc1 .LBB15_30
.LBB15_29:                              ;   Parent Loop BB15_3 Depth=1
                                        ;     Parent Loop BB15_28 Depth=2
                                        ; =>    This Inner Loop Header: Depth=3
	v_mov_b32_e32 v21, s38
	s_wait_alu 0xfffe
	s_add_co_i32 s39, s39, -1
	s_sub_co_i32 s38, s38, 48
	s_wait_alu 0xfffe
	s_cmp_le_i32 s39, s21
	ds_load_b32 v23, v18
	ds_load_2addr_b32 v[19:20], v21 offset0:2 offset1:3
	ds_load_2addr_b32 v[21:22], v21 offset1:1
	v_subrev_nc_u32_e32 v18, 48, v18
	s_wait_dscnt 0x1
	v_fma_f32 v17, -v23, v20, v17
	v_fma_f32 v16, -v23, v19, v16
	s_wait_dscnt 0x0
	v_fma_f32 v15, -v23, v22, v15
	v_fma_f32 v14, -v23, v21, v14
	s_cbranch_scc0 .LBB15_29
.LBB15_30:                              ;   in Loop: Header=BB15_28 Depth=2
	s_add_co_i32 s38, s21, -3
; %bb.31:                               ;   in Loop: Header=BB15_28 Depth=2
	s_lshl_b32 s39, s21, 2
	s_wait_alu 0xfffe
	s_lshl_b32 s38, s38, 2
	s_add_co_i32 s40, s39, s37
	s_wait_alu 0xfffe
	s_add_co_i32 s37, s37, s38
	s_add_co_i32 s41, s40, -4
	s_sub_co_i32 s38, s40, 52
	s_add_co_i32 s40, s40, -12
	s_wait_alu 0xfffe
	v_dual_mov_b32 v18, s41 :: v_dual_mov_b32 v21, s40
	s_sub_co_i32 s41, s37, 48
	s_addk_co_i32 s37, 0xffa0
	s_add_co_i32 s36, s39, s36
	ds_load_2addr_b32 v[18:19], v18 offset1:1
	s_wait_alu 0xfffe
	s_add_co_i32 s36, s36, -12
	s_add_co_i32 s20, s20, -16
	s_wait_dscnt 0x0
	v_div_scale_f32 v25, null, v19, v19, v17
	v_div_scale_f32 v28, vcc_lo, v17, v19, v17
	s_delay_alu instid0(VALU_DEP_2) | instskip(NEXT) | instid1(TRANS32_DEP_1)
	v_rcp_f32_e32 v26, v25
	v_fma_f32 v27, -v25, v26, 1.0
	s_delay_alu instid0(VALU_DEP_1) | instskip(NEXT) | instid1(VALU_DEP_1)
	v_fmac_f32_e32 v26, v27, v26
	v_dual_mov_b32 v20, s38 :: v_dual_mul_f32 v27, v28, v26
	s_delay_alu instid0(VALU_DEP_1) | instskip(NEXT) | instid1(VALU_DEP_1)
	v_fma_f32 v29, -v25, v27, v28
	v_dual_mov_b32 v22, s41 :: v_dual_fmac_f32 v27, v29, v26
	ds_load_b32 v24, v20
	ds_load_2addr_b32 v[20:21], v21 offset1:1
	ds_load_2addr_b32 v[22:23], v22 offset1:1
	v_fma_f32 v25, -v25, v27, v28
	s_wait_alu 0xfffd
	s_delay_alu instid0(VALU_DEP_1) | instskip(NEXT) | instid1(VALU_DEP_1)
	v_div_fmas_f32 v25, v25, v26, v27
	v_div_fixup_f32 v19, v25, v19, v17
	v_mov_b32_e32 v17, s37
	s_delay_alu instid0(VALU_DEP_2)
	v_fma_f32 v18, -v19, v18, v16
	s_wait_dscnt 0x1
	v_fma_f32 v15, -v19, v21, v15
	v_fma_f32 v14, -v19, v20, v14
	s_wait_alu 0xfffe
	v_mov_b32_e32 v21, s36
	s_add_co_i32 s36, s21, -4
	v_div_scale_f32 v25, null, v24, v24, v18
	v_div_scale_f32 v27, vcc_lo, v18, v24, v18
	s_cmp_lt_i32 s21, 7
	v_rcp_f32_e32 v26, v25
	ds_load_b32 v21, v21
	v_fma_f32 v16, -v25, v26, 1.0
	s_delay_alu instid0(VALU_DEP_1) | instskip(NEXT) | instid1(VALU_DEP_1)
	v_fmac_f32_e32 v26, v16, v26
	v_mul_f32_e32 v28, v27, v26
	s_delay_alu instid0(VALU_DEP_1) | instskip(NEXT) | instid1(VALU_DEP_1)
	v_fma_f32 v16, -v25, v28, v27
	v_fmac_f32_e32 v28, v16, v26
	ds_load_2addr_b32 v[16:17], v17 offset1:1
	v_fma_f32 v25, -v25, v28, v27
	s_wait_alu 0xfffd
	s_delay_alu instid0(VALU_DEP_1) | instskip(NEXT) | instid1(VALU_DEP_1)
	v_div_fmas_f32 v25, v25, v26, v28
	v_div_fixup_f32 v18, v25, v24, v18
	s_wait_dscnt 0x2
	s_delay_alu instid0(VALU_DEP_1) | instskip(SKIP_2) | instid1(VALU_DEP_2)
	v_fma_f32 v15, -v18, v23, v15
	v_fma_f32 v14, -v18, v22, v14
	s_wait_dscnt 0x0
	v_div_scale_f32 v23, null, v17, v17, v15
	v_div_scale_f32 v26, vcc_lo, v15, v17, v15
	s_delay_alu instid0(VALU_DEP_2) | instskip(NEXT) | instid1(TRANS32_DEP_1)
	v_rcp_f32_e32 v24, v23
	v_fma_f32 v25, -v23, v24, 1.0
	s_delay_alu instid0(VALU_DEP_1) | instskip(NEXT) | instid1(VALU_DEP_1)
	v_fmac_f32_e32 v24, v25, v24
	v_mul_f32_e32 v25, v26, v24
	s_delay_alu instid0(VALU_DEP_1) | instskip(NEXT) | instid1(VALU_DEP_1)
	v_fma_f32 v27, -v23, v25, v26
	v_fmac_f32_e32 v25, v27, v24
	s_delay_alu instid0(VALU_DEP_1) | instskip(SKIP_1) | instid1(VALU_DEP_1)
	v_fma_f32 v23, -v23, v25, v26
	s_wait_alu 0xfffd
	v_div_fmas_f32 v20, v23, v24, v25
	s_delay_alu instid0(VALU_DEP_1) | instskip(NEXT) | instid1(VALU_DEP_1)
	v_div_fixup_f32 v15, v20, v17, v15
	v_fma_f32 v14, -v15, v16, v14
	s_delay_alu instid0(VALU_DEP_1) | instskip(SKIP_1) | instid1(VALU_DEP_2)
	v_div_scale_f32 v16, null, v21, v21, v14
	v_div_scale_f32 v22, vcc_lo, v14, v21, v14
	v_rcp_f32_e32 v17, v16
	s_delay_alu instid0(TRANS32_DEP_1) | instskip(NEXT) | instid1(VALU_DEP_1)
	v_fma_f32 v20, -v16, v17, 1.0
	v_fmac_f32_e32 v17, v20, v17
	s_delay_alu instid0(VALU_DEP_1) | instskip(NEXT) | instid1(VALU_DEP_1)
	v_mul_f32_e32 v20, v22, v17
	v_fma_f32 v23, -v16, v20, v22
	s_delay_alu instid0(VALU_DEP_1) | instskip(NEXT) | instid1(VALU_DEP_1)
	v_fmac_f32_e32 v20, v23, v17
	v_fma_f32 v16, -v16, v20, v22
	s_wait_alu 0xfffd
	s_delay_alu instid0(VALU_DEP_1) | instskip(NEXT) | instid1(VALU_DEP_1)
	v_div_fmas_f32 v16, v16, v17, v20
	v_div_fixup_f32 v14, v16, v21, v14
	ds_store_b32 v2, v19
	ds_store_b32 v3, v18
	;; [unrolled: 1-line block ×4, first 2 shown]
	s_cbranch_scc1 .LBB15_33
; %bb.32:                               ;   in Loop: Header=BB15_28 Depth=2
	s_wait_alu 0xfffe
	s_mov_b32 s21, s36
	s_branch .LBB15_28
.LBB15_33:                              ;   in Loop: Header=BB15_3 Depth=1
	s_wait_alu 0xfffe
	s_cmp_lt_i32 s36, 0
	s_cbranch_scc1 .LBB15_46
; %bb.34:                               ;   in Loop: Header=BB15_3 Depth=1
	s_bitcmp1_b32 s36, 0
	s_cselect_b32 s20, -1, 0
	s_wait_alu 0xfffe
	s_and_b32 vcc_lo, exec_lo, s20
	s_mov_b32 s20, s36
	s_wait_alu 0xfffe
	s_cbranch_vccnz .LBB15_39
; %bb.35:                               ;   in Loop: Header=BB15_3 Depth=1
	s_mul_i32 s20, s36, 48
	s_cmp_le_i32 s23, s36
	s_wait_alu 0xfffe
	v_add_nc_u32_e32 v2, s20, v1
	ds_load_b32 v3, v2
	s_cbranch_scc1 .LBB15_38
; %bb.36:                               ;   in Loop: Header=BB15_3 Depth=1
	v_mov_b32_e32 v4, v9
	s_lshl_b32 s21, s36, 2
	s_mov_b32 s37, s23
	s_wait_alu 0xfffe
	s_add_co_i32 s21, s30, s21
.LBB15_37:                              ;   Parent Loop BB15_3 Depth=1
                                        ; =>  This Inner Loop Header: Depth=2
	s_wait_alu 0xfffe
	v_mov_b32_e32 v5, s21
	s_add_co_i32 s37, s37, -1
	s_sub_co_i32 s21, s21, 48
	s_wait_alu 0xfffe
	s_cmp_gt_i32 s37, s36
	ds_load_b32 v14, v4
	ds_load_b32 v5, v5
	v_subrev_nc_u32_e32 v4, 48, v4
	s_wait_dscnt 0x0
	v_fma_f32 v3, -v14, v5, v3
	s_cbranch_scc1 .LBB15_37
.LBB15_38:                              ;   in Loop: Header=BB15_3 Depth=1
	s_lshl_b32 s21, s36, 2
	s_wait_alu 0xfffe
	s_add_co_i32 s20, s21, s20
	s_wait_alu 0xfffe
	v_mov_b32_e32 v4, s20
	s_add_co_i32 s20, s36, -1
	ds_load_b32 v4, v4
	s_wait_dscnt 0x0
	v_div_scale_f32 v5, null, v4, v4, v3
	s_delay_alu instid0(VALU_DEP_1) | instskip(NEXT) | instid1(TRANS32_DEP_1)
	v_rcp_f32_e32 v14, v5
	v_fma_f32 v15, -v5, v14, 1.0
	s_delay_alu instid0(VALU_DEP_1) | instskip(SKIP_1) | instid1(VALU_DEP_1)
	v_fmac_f32_e32 v14, v15, v14
	v_div_scale_f32 v15, vcc_lo, v3, v4, v3
	v_mul_f32_e32 v16, v15, v14
	s_delay_alu instid0(VALU_DEP_1) | instskip(NEXT) | instid1(VALU_DEP_1)
	v_fma_f32 v17, -v5, v16, v15
	v_fmac_f32_e32 v16, v17, v14
	s_delay_alu instid0(VALU_DEP_1) | instskip(SKIP_1) | instid1(VALU_DEP_1)
	v_fma_f32 v5, -v5, v16, v15
	s_wait_alu 0xfffd
	v_div_fmas_f32 v5, v5, v14, v16
	s_delay_alu instid0(VALU_DEP_1)
	v_div_fixup_f32 v3, v5, v4, v3
	ds_store_b32 v2, v3
.LBB15_39:                              ;   in Loop: Header=BB15_3 Depth=1
	s_cmp_eq_u32 s36, 0
	s_cbranch_scc1 .LBB15_46
; %bb.40:                               ;   in Loop: Header=BB15_3 Depth=1
	s_wait_alu 0xfffe
	s_lshl_b32 s36, s20, 2
	s_wait_alu 0xfffe
	s_add_co_i32 s21, s30, s36
	s_add_co_i32 s36, s31, s36
	s_branch .LBB15_42
.LBB15_41:                              ;   in Loop: Header=BB15_42 Depth=2
	s_sub_co_i32 s37, s37, 52
	s_add_co_i32 s21, s21, -8
	s_wait_alu 0xfffe
	v_mov_b32_e32 v2, s37
	s_add_co_i32 s37, s20, -2
	s_add_co_i32 s36, s36, -8
	s_cmp_lt_i32 s20, 2
	s_wait_alu 0xfffe
	s_mov_b32 s20, s37
	ds_load_b32 v2, v2
	s_wait_dscnt 0x0
	v_div_scale_f32 v4, null, v2, v2, v5
	v_div_scale_f32 v16, vcc_lo, v5, v2, v5
	s_delay_alu instid0(VALU_DEP_2) | instskip(NEXT) | instid1(TRANS32_DEP_1)
	v_rcp_f32_e32 v14, v4
	v_fma_f32 v15, -v4, v14, 1.0
	s_delay_alu instid0(VALU_DEP_1) | instskip(NEXT) | instid1(VALU_DEP_1)
	v_fmac_f32_e32 v14, v15, v14
	v_mul_f32_e32 v15, v16, v14
	s_delay_alu instid0(VALU_DEP_1) | instskip(NEXT) | instid1(VALU_DEP_1)
	v_fma_f32 v17, -v4, v15, v16
	v_fmac_f32_e32 v15, v17, v14
	s_delay_alu instid0(VALU_DEP_1) | instskip(SKIP_1) | instid1(VALU_DEP_1)
	v_fma_f32 v4, -v4, v15, v16
	s_wait_alu 0xfffd
	v_div_fmas_f32 v4, v4, v14, v15
	s_delay_alu instid0(VALU_DEP_1)
	v_div_fixup_f32 v2, v4, v2, v5
	ds_store_b32 v3, v2
	s_cbranch_scc1 .LBB15_46
.LBB15_42:                              ;   Parent Loop BB15_3 Depth=1
                                        ; =>  This Loop Header: Depth=2
                                        ;       Child Loop BB15_43 Depth 3
                                        ;       Child Loop BB15_45 Depth 3
	s_wait_alu 0xfffe
	s_mul_i32 s38, s20, 48
	s_cmp_le_i32 s23, s20
	s_wait_alu 0xfffe
	v_dual_mov_b32 v3, v9 :: v_dual_add_nc_u32 v2, s38, v1
	s_mov_b32 s37, s21
	s_mov_b32 s39, s23
	ds_load_b32 v4, v2
	s_cbranch_scc1 .LBB15_44
.LBB15_43:                              ;   Parent Loop BB15_3 Depth=1
                                        ;     Parent Loop BB15_42 Depth=2
                                        ; =>    This Inner Loop Header: Depth=3
	s_wait_alu 0xfffe
	v_mov_b32_e32 v5, s37
	s_add_co_i32 s39, s39, -1
	s_sub_co_i32 s37, s37, 48
	s_wait_alu 0xfffe
	s_cmp_le_i32 s39, s20
	ds_load_b32 v14, v3
	ds_load_b32 v5, v5
	v_subrev_nc_u32_e32 v3, 48, v3
	s_wait_dscnt 0x0
	v_fma_f32 v4, -v14, v5, v4
	s_cbranch_scc0 .LBB15_43
.LBB15_44:                              ;   in Loop: Header=BB15_42 Depth=2
	s_lshl_b32 s37, s20, 2
	s_mov_b32 s39, s1
	s_wait_alu 0xfffe
	s_add_co_i32 s37, s37, s38
	s_sub_co_i32 s38, s38, 48
	s_wait_alu 0xfffe
	v_mov_b32_e32 v3, s37
	s_cmp_le_i32 s1, s20
	ds_load_b32 v14, v3
	s_wait_dscnt 0x0
	v_div_scale_f32 v15, null, v14, v14, v4
	s_delay_alu instid0(VALU_DEP_1) | instskip(NEXT) | instid1(TRANS32_DEP_1)
	v_rcp_f32_e32 v16, v15
	v_fma_f32 v17, -v15, v16, 1.0
	s_delay_alu instid0(VALU_DEP_1) | instskip(SKIP_3) | instid1(VALU_DEP_2)
	v_fmac_f32_e32 v16, v17, v16
	v_div_scale_f32 v17, vcc_lo, v4, v14, v4
	v_add_nc_u32_e32 v3, s38, v1
	s_mov_b32 s38, s36
	v_mul_f32_e32 v18, v17, v16
	ds_load_b32 v5, v3
	v_fma_f32 v19, -v15, v18, v17
	s_delay_alu instid0(VALU_DEP_1) | instskip(NEXT) | instid1(VALU_DEP_1)
	v_fmac_f32_e32 v18, v19, v16
	v_fma_f32 v15, -v15, v18, v17
	s_wait_alu 0xfffd
	s_delay_alu instid0(VALU_DEP_1) | instskip(NEXT) | instid1(VALU_DEP_1)
	v_div_fmas_f32 v15, v15, v16, v18
	v_div_fixup_f32 v14, v15, v14, v4
	v_mov_b32_e32 v4, v9
	ds_store_b32 v2, v14
	s_cbranch_scc1 .LBB15_41
.LBB15_45:                              ;   Parent Loop BB15_3 Depth=1
                                        ;     Parent Loop BB15_42 Depth=2
                                        ; =>    This Inner Loop Header: Depth=3
	s_wait_alu 0xfffe
	v_mov_b32_e32 v2, s38
	s_add_co_i32 s39, s39, -1
	s_sub_co_i32 s38, s38, 48
	s_wait_alu 0xfffe
	s_cmp_gt_i32 s39, s20
	ds_load_b32 v14, v4
	ds_load_b32 v2, v2
	v_subrev_nc_u32_e32 v4, 48, v4
	s_wait_dscnt 0x0
	v_fma_f32 v5, -v14, v2, v5
	s_cbranch_scc1 .LBB15_45
	s_branch .LBB15_41
.LBB15_46:                              ;   in Loop: Header=BB15_3 Depth=1
	s_mov_b32 s20, 0
.LBB15_47:                              ;   in Loop: Header=BB15_3 Depth=1
	s_wait_alu 0xfffe
	s_and_not1_b32 vcc_lo, exec_lo, s20
	s_wait_alu 0xfffe
	s_cbranch_vccnz .LBB15_66
; %bb.48:                               ;   in Loop: Header=BB15_3 Depth=1
	s_mov_b32 s36, s23
	s_and_not1_b32 vcc_lo, exec_lo, s27
	s_mov_b32 s20, s33
	s_mov_b32 s21, s23
	s_wait_alu 0xfffe
	s_cbranch_vccnz .LBB15_53
.LBB15_49:                              ;   Parent Loop BB15_3 Depth=1
                                        ; =>  This Loop Header: Depth=2
                                        ;       Child Loop BB15_50 Depth 3
	s_wait_alu 0xfffe
	s_mul_i32 s36, s21, 12
	s_cmp_le_i32 s23, s21
	s_wait_alu 0xfffe
	v_lshl_add_u32 v2, s36, 2, v1
	s_mov_b32 s37, s20
	s_mov_b32 s38, s23
	s_delay_alu instid0(VALU_DEP_1)
	v_dual_mov_b32 v18, v9 :: v_dual_add_nc_u32 v5, 0xffffff70, v2
	v_subrev_nc_u32_e32 v3, 48, v2
	v_add_nc_u32_e32 v4, 0xffffffa0, v2
	ds_load_b32 v17, v2
	ds_load_b32 v16, v3
	;; [unrolled: 1-line block ×4, first 2 shown]
	s_cbranch_scc1 .LBB15_51
.LBB15_50:                              ;   Parent Loop BB15_3 Depth=1
                                        ;     Parent Loop BB15_49 Depth=2
                                        ; =>    This Inner Loop Header: Depth=3
	s_wait_alu 0xfffe
	v_mov_b32_e32 v21, s37
	s_add_co_i32 s38, s38, -1
	s_add_co_i32 s37, s37, -4
	s_wait_alu 0xfffe
	s_cmp_le_i32 s38, s21
	ds_load_b32 v23, v18
	ds_load_2addr_b32 v[19:20], v21 offset0:24 offset1:36
	ds_load_2addr_b32 v[21:22], v21 offset1:12
	v_subrev_nc_u32_e32 v18, 48, v18
	s_wait_dscnt 0x1
	v_fma_f32 v17, -v23, v20, v17
	v_fma_f32 v16, -v23, v19, v16
	s_wait_dscnt 0x0
	v_fma_f32 v15, -v23, v22, v15
	v_fma_f32 v14, -v23, v21, v14
	s_cbranch_scc0 .LBB15_50
.LBB15_51:                              ;   in Loop: Header=BB15_49 Depth=2
	s_mul_i32 s37, s21, 52
	s_lshl_b32 s36, s36, 2
	s_wait_alu 0xfffe
	v_mov_b32_e32 v18, s37
	s_lshl_b32 s37, s21, 2
	s_addk_co_i32 s20, 0xff40
	s_wait_alu 0xfffe
	s_add_co_i32 s36, s36, s37
	s_wait_alu 0xfffe
	s_add_co_i32 s39, s36, 0xffffff98
	s_sub_co_i32 s37, s36, 52
	s_wait_alu 0xfffe
	v_mov_b32_e32 v21, s39
	ds_load_b32 v22, v18
	s_add_co_i32 s38, s36, 0xffffffa0
	s_wait_alu 0xfffe
	v_mov_b32_e32 v20, s38
	s_wait_dscnt 0x0
	v_div_scale_f32 v24, null, v22, v22, v17
	v_div_scale_f32 v27, vcc_lo, v17, v22, v17
	s_delay_alu instid0(VALU_DEP_2) | instskip(NEXT) | instid1(TRANS32_DEP_1)
	v_rcp_f32_e32 v25, v24
	v_fma_f32 v26, -v24, v25, 1.0
	v_mov_b32_e32 v18, s37
	s_add_co_i32 s37, s36, 0xffffff6c
	s_addk_co_i32 s36, 0xff64
	s_delay_alu instid0(VALU_DEP_2) | instskip(SKIP_4) | instid1(VALU_DEP_1)
	v_fmac_f32_e32 v25, v26, v25
	ds_load_2addr_b32 v[18:19], v18 offset1:1
	ds_load_b32 v23, v20
	ds_load_2addr_b32 v[20:21], v21 offset1:1
	v_mul_f32_e32 v26, v27, v25
	v_fma_f32 v28, -v24, v26, v27
	s_delay_alu instid0(VALU_DEP_1) | instskip(NEXT) | instid1(VALU_DEP_1)
	v_fmac_f32_e32 v26, v28, v25
	v_fma_f32 v24, -v24, v26, v27
	s_wait_alu 0xfffd
	s_delay_alu instid0(VALU_DEP_1) | instskip(NEXT) | instid1(VALU_DEP_1)
	v_div_fmas_f32 v24, v24, v25, v26
	v_div_fixup_f32 v22, v24, v22, v17
	s_wait_dscnt 0x2
	s_delay_alu instid0(VALU_DEP_1) | instskip(SKIP_2) | instid1(VALU_DEP_2)
	v_fma_f32 v16, -v22, v19, v16
	s_wait_dscnt 0x1
	v_fma_f32 v15, -v22, v23, v15
	v_div_scale_f32 v17, null, v18, v18, v16
	v_div_scale_f32 v25, vcc_lo, v16, v18, v16
	s_delay_alu instid0(VALU_DEP_2) | instskip(NEXT) | instid1(TRANS32_DEP_1)
	v_rcp_f32_e32 v19, v17
	v_fma_f32 v24, -v17, v19, 1.0
	s_delay_alu instid0(VALU_DEP_1) | instskip(NEXT) | instid1(VALU_DEP_1)
	v_fmac_f32_e32 v19, v24, v19
	v_mul_f32_e32 v24, v25, v19
	s_delay_alu instid0(VALU_DEP_1) | instskip(NEXT) | instid1(VALU_DEP_1)
	v_fma_f32 v26, -v17, v24, v25
	v_fmac_f32_e32 v24, v26, v19
	s_delay_alu instid0(VALU_DEP_1) | instskip(SKIP_1) | instid1(VALU_DEP_1)
	v_fma_f32 v17, -v17, v24, v25
	s_wait_alu 0xfffd
	v_div_fmas_f32 v17, v17, v19, v24
	s_delay_alu instid0(VALU_DEP_1)
	v_div_fixup_f32 v19, v17, v18, v16
	s_wait_alu 0xfffe
	v_dual_mov_b32 v16, s37 :: v_dual_mov_b32 v17, s36
	s_add_co_i32 s36, s21, -4
	s_cmp_lt_i32 s21, 7
	s_wait_dscnt 0x0
	v_fma_f32 v21, -v19, v21, v15
	ds_load_2addr_b32 v[17:18], v17 offset1:1
	v_div_scale_f32 v23, null, v20, v20, v21
	v_div_scale_f32 v25, vcc_lo, v21, v20, v21
	s_delay_alu instid0(VALU_DEP_2) | instskip(NEXT) | instid1(TRANS32_DEP_1)
	v_rcp_f32_e32 v24, v23
	v_fma_f32 v15, -v23, v24, 1.0
	s_delay_alu instid0(VALU_DEP_1) | instskip(SKIP_2) | instid1(VALU_DEP_1)
	v_fmac_f32_e32 v24, v15, v24
	ds_load_2addr_b32 v[15:16], v16 offset1:1
	v_mul_f32_e32 v26, v25, v24
	v_fma_f32 v27, -v23, v26, v25
	s_delay_alu instid0(VALU_DEP_1) | instskip(NEXT) | instid1(VALU_DEP_1)
	v_fmac_f32_e32 v26, v27, v24
	v_fma_f32 v23, -v23, v26, v25
	s_wait_dscnt 0x0
	v_fma_f32 v14, -v22, v16, v14
	s_wait_alu 0xfffd
	s_delay_alu instid0(VALU_DEP_2) | instskip(NEXT) | instid1(VALU_DEP_2)
	v_div_fmas_f32 v16, v23, v24, v26
	v_fma_f32 v14, -v19, v15, v14
	s_delay_alu instid0(VALU_DEP_2) | instskip(NEXT) | instid1(VALU_DEP_1)
	v_div_fixup_f32 v15, v16, v20, v21
	v_fma_f32 v14, -v15, v18, v14
	s_delay_alu instid0(VALU_DEP_1) | instskip(SKIP_1) | instid1(VALU_DEP_2)
	v_div_scale_f32 v16, null, v17, v17, v14
	v_div_scale_f32 v21, vcc_lo, v14, v17, v14
	v_rcp_f32_e32 v18, v16
	s_delay_alu instid0(TRANS32_DEP_1) | instskip(NEXT) | instid1(VALU_DEP_1)
	v_fma_f32 v20, -v16, v18, 1.0
	v_fmac_f32_e32 v18, v20, v18
	s_delay_alu instid0(VALU_DEP_1) | instskip(NEXT) | instid1(VALU_DEP_1)
	v_mul_f32_e32 v20, v21, v18
	v_fma_f32 v23, -v16, v20, v21
	s_delay_alu instid0(VALU_DEP_1) | instskip(NEXT) | instid1(VALU_DEP_1)
	v_fmac_f32_e32 v20, v23, v18
	v_fma_f32 v16, -v16, v20, v21
	s_wait_alu 0xfffd
	s_delay_alu instid0(VALU_DEP_1) | instskip(NEXT) | instid1(VALU_DEP_1)
	v_div_fmas_f32 v16, v16, v18, v20
	v_div_fixup_f32 v14, v16, v17, v14
	ds_store_b32 v2, v22
	ds_store_b32 v3, v19
	;; [unrolled: 1-line block ×4, first 2 shown]
	s_cbranch_scc1 .LBB15_53
; %bb.52:                               ;   in Loop: Header=BB15_49 Depth=2
	s_wait_alu 0xfffe
	s_mov_b32 s21, s36
	s_branch .LBB15_49
.LBB15_53:                              ;   in Loop: Header=BB15_3 Depth=1
	s_wait_alu 0xfffe
	s_cmp_lt_i32 s36, 0
	s_cbranch_scc1 .LBB15_66
; %bb.54:                               ;   in Loop: Header=BB15_3 Depth=1
	s_bitcmp1_b32 s36, 0
	s_cselect_b32 s20, -1, 0
	s_wait_alu 0xfffe
	s_and_b32 vcc_lo, exec_lo, s20
	s_mov_b32 s20, s36
	s_wait_alu 0xfffe
	s_cbranch_vccnz .LBB15_59
; %bb.55:                               ;   in Loop: Header=BB15_3 Depth=1
	v_mad_co_u64_u32 v[2:3], null, s36, 48, v[1:2]
	s_cmp_le_i32 s23, s36
	ds_load_b32 v3, v2
	s_cbranch_scc1 .LBB15_58
; %bb.56:                               ;   in Loop: Header=BB15_3 Depth=1
	v_mov_b32_e32 v4, v9
	s_mul_i32 s20, s36, 48
	s_mov_b32 s21, s23
	s_wait_alu 0xfffe
	s_add_co_i32 s20, s34, s20
.LBB15_57:                              ;   Parent Loop BB15_3 Depth=1
                                        ; =>  This Inner Loop Header: Depth=2
	s_wait_alu 0xfffe
	v_mov_b32_e32 v5, s20
	s_add_co_i32 s21, s21, -1
	s_add_co_i32 s20, s20, -4
	s_wait_alu 0xfffe
	s_cmp_gt_u32 s21, s36
	ds_load_b32 v14, v4
	ds_load_b32 v5, v5
	v_subrev_nc_u32_e32 v4, 48, v4
	s_wait_dscnt 0x0
	v_fma_f32 v3, -v14, v5, v3
	s_cbranch_scc1 .LBB15_57
.LBB15_58:                              ;   in Loop: Header=BB15_3 Depth=1
	s_mul_i32 s20, s36, 52
	s_wait_alu 0xfffe
	v_mov_b32_e32 v4, s20
	s_add_co_i32 s20, s36, -1
	ds_load_b32 v4, v4
	s_wait_dscnt 0x0
	v_div_scale_f32 v5, null, v4, v4, v3
	s_delay_alu instid0(VALU_DEP_1) | instskip(NEXT) | instid1(TRANS32_DEP_1)
	v_rcp_f32_e32 v14, v5
	v_fma_f32 v15, -v5, v14, 1.0
	s_delay_alu instid0(VALU_DEP_1) | instskip(SKIP_1) | instid1(VALU_DEP_1)
	v_fmac_f32_e32 v14, v15, v14
	v_div_scale_f32 v15, vcc_lo, v3, v4, v3
	v_mul_f32_e32 v16, v15, v14
	s_delay_alu instid0(VALU_DEP_1) | instskip(NEXT) | instid1(VALU_DEP_1)
	v_fma_f32 v17, -v5, v16, v15
	v_fmac_f32_e32 v16, v17, v14
	s_delay_alu instid0(VALU_DEP_1) | instskip(SKIP_1) | instid1(VALU_DEP_1)
	v_fma_f32 v5, -v5, v16, v15
	s_wait_alu 0xfffd
	v_div_fmas_f32 v5, v5, v14, v16
	s_delay_alu instid0(VALU_DEP_1)
	v_div_fixup_f32 v3, v5, v4, v3
	ds_store_b32 v2, v3
.LBB15_59:                              ;   in Loop: Header=BB15_3 Depth=1
	s_cmp_eq_u32 s36, 0
	s_cbranch_scc1 .LBB15_66
; %bb.60:                               ;   in Loop: Header=BB15_3 Depth=1
	s_wait_alu 0xfffe
	s_mul_i32 s36, s20, 48
	s_wait_alu 0xfffe
	s_add_co_i32 s21, s34, s36
	s_add_co_i32 s36, s35, s36
	s_branch .LBB15_62
.LBB15_61:                              ;   in Loop: Header=BB15_62 Depth=2
	s_sub_co_i32 s37, s37, 52
	s_add_co_i32 s20, s20, -2
	s_wait_alu 0xfffe
	v_mov_b32_e32 v2, s37
	s_addk_co_i32 s21, 0xffa0
	s_addk_co_i32 s36, 0xffa0
	s_cmp_eq_u32 s38, 0
	ds_load_b32 v2, v2
	s_wait_dscnt 0x0
	v_div_scale_f32 v4, null, v2, v2, v5
	v_div_scale_f32 v16, vcc_lo, v5, v2, v5
	s_delay_alu instid0(VALU_DEP_2) | instskip(NEXT) | instid1(TRANS32_DEP_1)
	v_rcp_f32_e32 v14, v4
	v_fma_f32 v15, -v4, v14, 1.0
	s_delay_alu instid0(VALU_DEP_1) | instskip(NEXT) | instid1(VALU_DEP_1)
	v_fmac_f32_e32 v14, v15, v14
	v_mul_f32_e32 v15, v16, v14
	s_delay_alu instid0(VALU_DEP_1) | instskip(NEXT) | instid1(VALU_DEP_1)
	v_fma_f32 v17, -v4, v15, v16
	v_fmac_f32_e32 v15, v17, v14
	s_delay_alu instid0(VALU_DEP_1) | instskip(SKIP_1) | instid1(VALU_DEP_1)
	v_fma_f32 v4, -v4, v15, v16
	s_wait_alu 0xfffd
	v_div_fmas_f32 v4, v4, v14, v15
	s_delay_alu instid0(VALU_DEP_1)
	v_div_fixup_f32 v2, v4, v2, v5
	ds_store_b32 v3, v2
	s_cbranch_scc1 .LBB15_66
.LBB15_62:                              ;   Parent Loop BB15_3 Depth=1
                                        ; =>  This Loop Header: Depth=2
                                        ;       Child Loop BB15_63 Depth 3
                                        ;       Child Loop BB15_65 Depth 3
	v_mad_co_u64_u32 v[2:3], null, s20, 48, v[1:2]
	v_mov_b32_e32 v3, v9
	s_cmp_le_i32 s23, s20
	s_wait_alu 0xfffe
	s_mov_b32 s37, s21
	s_mov_b32 s38, s23
	ds_load_b32 v4, v2
	s_cbranch_scc1 .LBB15_64
.LBB15_63:                              ;   Parent Loop BB15_3 Depth=1
                                        ;     Parent Loop BB15_62 Depth=2
                                        ; =>    This Inner Loop Header: Depth=3
	s_wait_alu 0xfffe
	v_mov_b32_e32 v5, s37
	s_add_co_i32 s38, s38, -1
	s_add_co_i32 s37, s37, -4
	s_wait_alu 0xfffe
	s_cmp_le_u32 s38, s20
	ds_load_b32 v14, v3
	ds_load_b32 v5, v5
	v_subrev_nc_u32_e32 v3, 48, v3
	s_wait_dscnt 0x0
	v_fma_f32 v4, -v14, v5, v4
	s_cbranch_scc0 .LBB15_63
.LBB15_64:                              ;   in Loop: Header=BB15_62 Depth=2
	s_mul_i32 s37, s20, 52
	s_add_co_i32 s38, s20, -1
	s_wait_alu 0xfffe
	v_mov_b32_e32 v3, s37
	s_cmp_le_i32 s1, s20
	s_mov_b32 s39, s36
	s_mov_b32 s40, s23
	ds_load_b32 v14, v3
	v_subrev_nc_u32_e32 v3, 48, v2
	ds_load_b32 v5, v3
	s_wait_dscnt 0x1
	v_div_scale_f32 v15, null, v14, v14, v4
	v_div_scale_f32 v18, vcc_lo, v4, v14, v4
	s_delay_alu instid0(VALU_DEP_2) | instskip(NEXT) | instid1(TRANS32_DEP_1)
	v_rcp_f32_e32 v16, v15
	v_fma_f32 v17, -v15, v16, 1.0
	s_delay_alu instid0(VALU_DEP_1) | instskip(NEXT) | instid1(VALU_DEP_1)
	v_fmac_f32_e32 v16, v17, v16
	v_mul_f32_e32 v17, v18, v16
	s_delay_alu instid0(VALU_DEP_1) | instskip(NEXT) | instid1(VALU_DEP_1)
	v_fma_f32 v19, -v15, v17, v18
	v_fmac_f32_e32 v17, v19, v16
	s_delay_alu instid0(VALU_DEP_1) | instskip(SKIP_1) | instid1(VALU_DEP_1)
	v_fma_f32 v15, -v15, v17, v18
	s_wait_alu 0xfffd
	v_div_fmas_f32 v15, v15, v16, v17
	s_delay_alu instid0(VALU_DEP_1)
	v_div_fixup_f32 v14, v15, v14, v4
	v_mov_b32_e32 v4, v9
	ds_store_b32 v2, v14
	s_cbranch_scc1 .LBB15_61
.LBB15_65:                              ;   Parent Loop BB15_3 Depth=1
                                        ;     Parent Loop BB15_62 Depth=2
                                        ; =>    This Inner Loop Header: Depth=3
	s_wait_alu 0xfffe
	v_mov_b32_e32 v2, s39
	s_add_co_i32 s40, s40, -1
	s_add_co_i32 s39, s39, -4
	s_wait_alu 0xfffe
	s_cmp_gt_u32 s40, s38
	ds_load_b32 v14, v4
	ds_load_b32 v2, v2
	v_subrev_nc_u32_e32 v4, 48, v4
	s_wait_dscnt 0x0
	v_fma_f32 v5, -v14, v2, v5
	s_cbranch_scc1 .LBB15_65
	s_branch .LBB15_61
.LBB15_66:                              ;   in Loop: Header=BB15_3 Depth=1
	s_mov_b32 s20, 0
.LBB15_67:                              ;   in Loop: Header=BB15_3 Depth=1
	s_wait_alu 0xfffe
	s_and_not1_b32 vcc_lo, exec_lo, s20
	s_wait_alu 0xfffe
	s_cbranch_vccnz .LBB15_79
; %bb.68:                               ;   in Loop: Header=BB15_3 Depth=1
	s_and_not1_b32 vcc_lo, exec_lo, s27
	s_mov_b32 s36, 0
	s_wait_alu 0xfffe
	s_cbranch_vccnz .LBB15_74
; %bb.69:                               ;   in Loop: Header=BB15_3 Depth=1
	s_mov_b32 s20, 0
	s_mov_b32 s21, 0
.LBB15_70:                              ;   Parent Loop BB15_3 Depth=1
                                        ; =>  This Loop Header: Depth=2
                                        ;       Child Loop BB15_71 Depth 3
	s_wait_alu 0xfffe
	s_mul_i32 s36, s21, 12
	v_mov_b32_e32 v15, v1
	s_wait_alu 0xfffe
	v_lshl_add_u32 v14, s36, 2, v1
	s_cmp_eq_u32 s21, 0
	s_mov_b32 s37, s20
	s_mov_b32 s38, s21
	ds_load_2addr_b32 v[4:5], v14 offset1:12
	ds_load_2addr_b32 v[2:3], v14 offset0:24 offset1:36
	s_cbranch_scc1 .LBB15_72
.LBB15_71:                              ;   Parent Loop BB15_3 Depth=1
                                        ;     Parent Loop BB15_70 Depth=2
                                        ; =>    This Inner Loop Header: Depth=3
	s_wait_alu 0xfffe
	v_mov_b32_e32 v18, s37
	s_add_co_i32 s38, s38, -1
	s_add_co_i32 s37, s37, 4
	s_wait_alu 0xfffe
	s_cmp_eq_u32 s38, 0
	ds_load_b32 v20, v15
	ds_load_2addr_b32 v[16:17], v18 offset1:12
	ds_load_2addr_b32 v[18:19], v18 offset0:24 offset1:36
	v_add_nc_u32_e32 v15, 48, v15
	s_wait_dscnt 0x1
	v_fma_f32 v4, -v20, v16, v4
	v_fma_f32 v5, -v20, v17, v5
	s_wait_dscnt 0x0
	v_fma_f32 v2, -v20, v18, v2
	v_fma_f32 v3, -v20, v19, v3
	s_cbranch_scc0 .LBB15_71
.LBB15_72:                              ;   in Loop: Header=BB15_70 Depth=2
	s_mul_i32 s37, s21, 52
	s_lshl_b32 s36, s36, 2
	s_wait_alu 0xfffe
	v_mov_b32_e32 v15, s37
	s_lshl_b32 s37, s21, 2
	s_addk_co_i32 s20, 0xc0
	s_wait_alu 0xfffe
	s_add_co_i32 s36, s36, s37
	ds_load_b32 v20, v15
	s_wait_dscnt 0x0
	v_div_scale_f32 v22, null, v20, v20, v4
	v_div_scale_f32 v25, vcc_lo, v4, v20, v4
	s_delay_alu instid0(VALU_DEP_2) | instskip(NEXT) | instid1(TRANS32_DEP_1)
	v_rcp_f32_e32 v23, v22
	v_fma_f32 v24, -v22, v23, 1.0
	s_delay_alu instid0(VALU_DEP_1) | instskip(NEXT) | instid1(VALU_DEP_1)
	v_fmac_f32_e32 v23, v24, v23
	v_mul_f32_e32 v24, v25, v23
	s_delay_alu instid0(VALU_DEP_1)
	v_fma_f32 v26, -v22, v24, v25
	s_wait_alu 0xfffe
	v_mov_b32_e32 v21, s36
	s_add_co_i32 s36, s21, 4
	s_add_co_i32 s21, s21, 7
	s_wait_alu 0xfffe
	s_cmp_ge_i32 s21, s1
	v_fmac_f32_e32 v24, v26, v23
	ds_load_b64 v[15:16], v21 offset:48
	ds_load_b96 v[17:19], v21 offset:96
	v_fma_f32 v22, -v22, v24, v25
	s_wait_alu 0xfffd
	s_delay_alu instid0(VALU_DEP_1) | instskip(NEXT) | instid1(VALU_DEP_1)
	v_div_fmas_f32 v22, v22, v23, v24
	v_div_fixup_f32 v4, v22, v20, v4
	s_wait_dscnt 0x1
	s_delay_alu instid0(VALU_DEP_1) | instskip(SKIP_2) | instid1(VALU_DEP_2)
	v_fma_f32 v5, -v4, v15, v5
	s_wait_dscnt 0x0
	v_fma_f32 v2, -v4, v17, v2
	v_div_scale_f32 v15, null, v16, v16, v5
	v_div_scale_f32 v23, vcc_lo, v5, v16, v5
	s_delay_alu instid0(VALU_DEP_2) | instskip(NEXT) | instid1(TRANS32_DEP_1)
	v_rcp_f32_e32 v20, v15
	v_fma_f32 v22, -v15, v20, 1.0
	s_delay_alu instid0(VALU_DEP_1) | instskip(NEXT) | instid1(VALU_DEP_1)
	v_fmac_f32_e32 v20, v22, v20
	v_mul_f32_e32 v22, v23, v20
	s_delay_alu instid0(VALU_DEP_1) | instskip(NEXT) | instid1(VALU_DEP_1)
	v_fma_f32 v24, -v15, v22, v23
	v_fmac_f32_e32 v22, v24, v20
	s_delay_alu instid0(VALU_DEP_1) | instskip(SKIP_1) | instid1(VALU_DEP_1)
	v_fma_f32 v15, -v15, v22, v23
	s_wait_alu 0xfffd
	v_div_fmas_f32 v15, v15, v20, v22
	s_delay_alu instid0(VALU_DEP_1) | instskip(NEXT) | instid1(VALU_DEP_1)
	v_div_fixup_f32 v5, v15, v16, v5
	v_fma_f32 v2, -v5, v18, v2
	s_delay_alu instid0(VALU_DEP_1) | instskip(SKIP_1) | instid1(VALU_DEP_2)
	v_div_scale_f32 v20, null, v19, v19, v2
	v_div_scale_f32 v23, vcc_lo, v2, v19, v2
	v_rcp_f32_e32 v22, v20
	s_delay_alu instid0(TRANS32_DEP_1) | instskip(NEXT) | instid1(VALU_DEP_1)
	v_fma_f32 v15, -v20, v22, 1.0
	v_fmac_f32_e32 v22, v15, v22
	ds_load_b128 v[15:18], v21 offset:144
	v_mul_f32_e32 v21, v23, v22
	s_delay_alu instid0(VALU_DEP_1) | instskip(NEXT) | instid1(VALU_DEP_1)
	v_fma_f32 v24, -v20, v21, v23
	v_fmac_f32_e32 v21, v24, v22
	s_delay_alu instid0(VALU_DEP_1) | instskip(SKIP_3) | instid1(VALU_DEP_2)
	v_fma_f32 v20, -v20, v21, v23
	s_wait_dscnt 0x0
	v_fma_f32 v3, -v4, v15, v3
	s_wait_alu 0xfffd
	v_div_fmas_f32 v15, v20, v22, v21
	s_delay_alu instid0(VALU_DEP_2) | instskip(NEXT) | instid1(VALU_DEP_2)
	v_fma_f32 v3, -v5, v16, v3
	v_div_fixup_f32 v2, v15, v19, v2
	s_delay_alu instid0(VALU_DEP_1) | instskip(NEXT) | instid1(VALU_DEP_1)
	v_fma_f32 v3, -v2, v17, v3
	v_div_scale_f32 v15, null, v18, v18, v3
	v_div_scale_f32 v19, vcc_lo, v3, v18, v3
	s_delay_alu instid0(VALU_DEP_2) | instskip(NEXT) | instid1(TRANS32_DEP_1)
	v_rcp_f32_e32 v16, v15
	v_fma_f32 v17, -v15, v16, 1.0
	s_delay_alu instid0(VALU_DEP_1) | instskip(NEXT) | instid1(VALU_DEP_1)
	v_fmac_f32_e32 v16, v17, v16
	v_mul_f32_e32 v17, v19, v16
	s_delay_alu instid0(VALU_DEP_1) | instskip(NEXT) | instid1(VALU_DEP_1)
	v_fma_f32 v20, -v15, v17, v19
	v_fmac_f32_e32 v17, v20, v16
	s_delay_alu instid0(VALU_DEP_1) | instskip(SKIP_1) | instid1(VALU_DEP_1)
	v_fma_f32 v15, -v15, v17, v19
	s_wait_alu 0xfffd
	v_div_fmas_f32 v15, v15, v16, v17
	s_delay_alu instid0(VALU_DEP_1)
	v_div_fixup_f32 v3, v15, v18, v3
	ds_store_2addr_b32 v14, v4, v5 offset1:12
	ds_store_2addr_b32 v14, v2, v3 offset0:24 offset1:36
	s_cbranch_scc1 .LBB15_74
; %bb.73:                               ;   in Loop: Header=BB15_70 Depth=2
	s_mov_b32 s21, s36
	s_branch .LBB15_70
.LBB15_74:                              ;   in Loop: Header=BB15_3 Depth=1
	s_cmp_ge_i32 s36, s1
	s_cbranch_scc1 .LBB15_79
; %bb.75:                               ;   in Loop: Header=BB15_3 Depth=1
	s_mul_i32 s20, s36, 48
	s_branch .LBB15_77
.LBB15_76:                              ;   in Loop: Header=BB15_77 Depth=2
	s_mul_i32 s21, s36, 52
	s_add_co_i32 s36, s36, 1
	s_wait_alu 0xfffe
	v_mov_b32_e32 v4, s21
	s_add_co_i32 s20, s20, 48
	s_cmp_ge_i32 s36, s1
	ds_load_b32 v4, v4
	s_wait_dscnt 0x0
	v_div_scale_f32 v5, null, v4, v4, v3
	s_delay_alu instid0(VALU_DEP_1) | instskip(NEXT) | instid1(TRANS32_DEP_1)
	v_rcp_f32_e32 v14, v5
	v_fma_f32 v15, -v5, v14, 1.0
	s_delay_alu instid0(VALU_DEP_1) | instskip(SKIP_1) | instid1(VALU_DEP_1)
	v_fmac_f32_e32 v14, v15, v14
	v_div_scale_f32 v15, vcc_lo, v3, v4, v3
	v_mul_f32_e32 v16, v15, v14
	s_delay_alu instid0(VALU_DEP_1) | instskip(NEXT) | instid1(VALU_DEP_1)
	v_fma_f32 v17, -v5, v16, v15
	v_fmac_f32_e32 v16, v17, v14
	s_delay_alu instid0(VALU_DEP_1) | instskip(SKIP_1) | instid1(VALU_DEP_1)
	v_fma_f32 v5, -v5, v16, v15
	s_wait_alu 0xfffd
	v_div_fmas_f32 v5, v5, v14, v16
	s_delay_alu instid0(VALU_DEP_1)
	v_div_fixup_f32 v3, v5, v4, v3
	ds_store_b32 v2, v3
	s_cbranch_scc1 .LBB15_79
.LBB15_77:                              ;   Parent Loop BB15_3 Depth=1
                                        ; =>  This Loop Header: Depth=2
                                        ;       Child Loop BB15_78 Depth 3
	v_mad_co_u64_u32 v[2:3], null, s36, 48, v[1:2]
	v_mov_b32_e32 v4, v1
	s_cmp_eq_u32 s36, 0
	s_wait_alu 0xfffe
	s_mov_b32 s21, s20
	s_mov_b32 s37, s36
	ds_load_b32 v3, v2
	s_cbranch_scc1 .LBB15_76
.LBB15_78:                              ;   Parent Loop BB15_3 Depth=1
                                        ;     Parent Loop BB15_77 Depth=2
                                        ; =>    This Inner Loop Header: Depth=3
	s_wait_alu 0xfffe
	v_mov_b32_e32 v5, s21
	s_add_co_i32 s37, s37, -1
	s_add_co_i32 s21, s21, 4
	s_wait_alu 0xfffe
	s_cmp_eq_u32 s37, 0
	ds_load_b32 v14, v4
	ds_load_b32 v5, v5
	v_add_nc_u32_e32 v4, 48, v4
	s_wait_dscnt 0x0
	v_fma_f32 v3, -v14, v5, v3
	s_cbranch_scc0 .LBB15_78
	s_branch .LBB15_76
.LBB15_79:                              ;   in Loop: Header=BB15_3 Depth=1
	s_and_saveexec_b32 s20, s28
	s_cbranch_execz .LBB15_2
; %bb.80:                               ;   in Loop: Header=BB15_3 Depth=1
	v_add_co_u32 v2, vcc_lo, v12, v0
	s_wait_alu 0xfffd
	v_add_co_ci_u32_e64 v3, null, 0, v13, vcc_lo
	v_mov_b32_e32 v4, v1
	s_mov_b32 s21, s12
.LBB15_81:                              ;   Parent Loop BB15_3 Depth=1
                                        ; =>  This Inner Loop Header: Depth=2
	ds_load_b32 v5, v4
	v_add_nc_u32_e32 v4, 48, v4
	s_wait_alu 0xfffe
	s_add_co_i32 s21, s21, -1
	s_wait_alu 0xfffe
	s_cmp_lg_u32 s21, 0
	s_wait_dscnt 0x0
	flat_store_b32 v[2:3], v5
	v_add_co_u32 v2, vcc_lo, v2, s18
	s_wait_alu 0xfffd
	v_add_co_ci_u32_e64 v3, null, s19, v3, vcc_lo
	s_cbranch_scc1 .LBB15_81
	s_branch .LBB15_2
.LBB15_82:
	s_endpgm
	.section	.rodata,"a",@progbits
	.p2align	6, 0x0
	.amdhsa_kernel _ZL31rocblas_trsm_small_right_deviceIffPKPKfPKPfLi12EEv13rocblas_fill_18rocblas_operation_17rocblas_diagonal_iiT0_T1_lilT2_lili
		.amdhsa_group_segment_fixed_size 1152
		.amdhsa_private_segment_fixed_size 0
		.amdhsa_kernarg_size 352
		.amdhsa_user_sgpr_count 2
		.amdhsa_user_sgpr_dispatch_ptr 0
		.amdhsa_user_sgpr_queue_ptr 0
		.amdhsa_user_sgpr_kernarg_segment_ptr 1
		.amdhsa_user_sgpr_dispatch_id 0
		.amdhsa_user_sgpr_private_segment_size 0
		.amdhsa_wavefront_size32 1
		.amdhsa_uses_dynamic_stack 0
		.amdhsa_enable_private_segment 0
		.amdhsa_system_sgpr_workgroup_id_x 1
		.amdhsa_system_sgpr_workgroup_id_y 0
		.amdhsa_system_sgpr_workgroup_id_z 1
		.amdhsa_system_sgpr_workgroup_info 0
		.amdhsa_system_vgpr_workitem_id 0
		.amdhsa_next_free_vgpr 30
		.amdhsa_next_free_sgpr 42
		.amdhsa_reserve_vcc 1
		.amdhsa_float_round_mode_32 0
		.amdhsa_float_round_mode_16_64 0
		.amdhsa_float_denorm_mode_32 3
		.amdhsa_float_denorm_mode_16_64 3
		.amdhsa_fp16_overflow 0
		.amdhsa_workgroup_processor_mode 1
		.amdhsa_memory_ordered 1
		.amdhsa_forward_progress 1
		.amdhsa_inst_pref_size 50
		.amdhsa_round_robin_scheduling 0
		.amdhsa_exception_fp_ieee_invalid_op 0
		.amdhsa_exception_fp_denorm_src 0
		.amdhsa_exception_fp_ieee_div_zero 0
		.amdhsa_exception_fp_ieee_overflow 0
		.amdhsa_exception_fp_ieee_underflow 0
		.amdhsa_exception_fp_ieee_inexact 0
		.amdhsa_exception_int_div_zero 0
	.end_amdhsa_kernel
	.section	.text._ZL31rocblas_trsm_small_right_deviceIffPKPKfPKPfLi12EEv13rocblas_fill_18rocblas_operation_17rocblas_diagonal_iiT0_T1_lilT2_lili,"axG",@progbits,_ZL31rocblas_trsm_small_right_deviceIffPKPKfPKPfLi12EEv13rocblas_fill_18rocblas_operation_17rocblas_diagonal_iiT0_T1_lilT2_lili,comdat
.Lfunc_end15:
	.size	_ZL31rocblas_trsm_small_right_deviceIffPKPKfPKPfLi12EEv13rocblas_fill_18rocblas_operation_17rocblas_diagonal_iiT0_T1_lilT2_lili, .Lfunc_end15-_ZL31rocblas_trsm_small_right_deviceIffPKPKfPKPfLi12EEv13rocblas_fill_18rocblas_operation_17rocblas_diagonal_iiT0_T1_lilT2_lili
                                        ; -- End function
	.set _ZL31rocblas_trsm_small_right_deviceIffPKPKfPKPfLi12EEv13rocblas_fill_18rocblas_operation_17rocblas_diagonal_iiT0_T1_lilT2_lili.num_vgpr, 30
	.set _ZL31rocblas_trsm_small_right_deviceIffPKPKfPKPfLi12EEv13rocblas_fill_18rocblas_operation_17rocblas_diagonal_iiT0_T1_lilT2_lili.num_agpr, 0
	.set _ZL31rocblas_trsm_small_right_deviceIffPKPKfPKPfLi12EEv13rocblas_fill_18rocblas_operation_17rocblas_diagonal_iiT0_T1_lilT2_lili.numbered_sgpr, 42
	.set _ZL31rocblas_trsm_small_right_deviceIffPKPKfPKPfLi12EEv13rocblas_fill_18rocblas_operation_17rocblas_diagonal_iiT0_T1_lilT2_lili.num_named_barrier, 0
	.set _ZL31rocblas_trsm_small_right_deviceIffPKPKfPKPfLi12EEv13rocblas_fill_18rocblas_operation_17rocblas_diagonal_iiT0_T1_lilT2_lili.private_seg_size, 0
	.set _ZL31rocblas_trsm_small_right_deviceIffPKPKfPKPfLi12EEv13rocblas_fill_18rocblas_operation_17rocblas_diagonal_iiT0_T1_lilT2_lili.uses_vcc, 1
	.set _ZL31rocblas_trsm_small_right_deviceIffPKPKfPKPfLi12EEv13rocblas_fill_18rocblas_operation_17rocblas_diagonal_iiT0_T1_lilT2_lili.uses_flat_scratch, 0
	.set _ZL31rocblas_trsm_small_right_deviceIffPKPKfPKPfLi12EEv13rocblas_fill_18rocblas_operation_17rocblas_diagonal_iiT0_T1_lilT2_lili.has_dyn_sized_stack, 0
	.set _ZL31rocblas_trsm_small_right_deviceIffPKPKfPKPfLi12EEv13rocblas_fill_18rocblas_operation_17rocblas_diagonal_iiT0_T1_lilT2_lili.has_recursion, 0
	.set _ZL31rocblas_trsm_small_right_deviceIffPKPKfPKPfLi12EEv13rocblas_fill_18rocblas_operation_17rocblas_diagonal_iiT0_T1_lilT2_lili.has_indirect_call, 0
	.section	.AMDGPU.csdata,"",@progbits
; Kernel info:
; codeLenInByte = 6356
; TotalNumSgprs: 44
; NumVgprs: 30
; ScratchSize: 0
; MemoryBound: 0
; FloatMode: 240
; IeeeMode: 1
; LDSByteSize: 1152 bytes/workgroup (compile time only)
; SGPRBlocks: 0
; VGPRBlocks: 3
; NumSGPRsForWavesPerEU: 44
; NumVGPRsForWavesPerEU: 30
; Occupancy: 16
; WaveLimiterHint : 0
; COMPUTE_PGM_RSRC2:SCRATCH_EN: 0
; COMPUTE_PGM_RSRC2:USER_SGPR: 2
; COMPUTE_PGM_RSRC2:TRAP_HANDLER: 0
; COMPUTE_PGM_RSRC2:TGID_X_EN: 1
; COMPUTE_PGM_RSRC2:TGID_Y_EN: 0
; COMPUTE_PGM_RSRC2:TGID_Z_EN: 1
; COMPUTE_PGM_RSRC2:TIDIG_COMP_CNT: 0
	.section	.text._ZL38rocblas_trsm_small_left_device_sharedBILi16ELi16ELb0EffPKPKfPKPfEv13rocblas_fill_18rocblas_operation_17rocblas_diagonal_iiT3_T4_lilT5_lili,"axG",@progbits,_ZL38rocblas_trsm_small_left_device_sharedBILi16ELi16ELb0EffPKPKfPKPfEv13rocblas_fill_18rocblas_operation_17rocblas_diagonal_iiT3_T4_lilT5_lili,comdat
	.globl	_ZL38rocblas_trsm_small_left_device_sharedBILi16ELi16ELb0EffPKPKfPKPfEv13rocblas_fill_18rocblas_operation_17rocblas_diagonal_iiT3_T4_lilT5_lili ; -- Begin function _ZL38rocblas_trsm_small_left_device_sharedBILi16ELi16ELb0EffPKPKfPKPfEv13rocblas_fill_18rocblas_operation_17rocblas_diagonal_iiT3_T4_lilT5_lili
	.p2align	8
	.type	_ZL38rocblas_trsm_small_left_device_sharedBILi16ELi16ELb0EffPKPKfPKPfEv13rocblas_fill_18rocblas_operation_17rocblas_diagonal_iiT3_T4_lilT5_lili,@function
_ZL38rocblas_trsm_small_left_device_sharedBILi16ELi16ELb0EffPKPKfPKPfEv13rocblas_fill_18rocblas_operation_17rocblas_diagonal_iiT3_T4_lilT5_lili: ; @_ZL38rocblas_trsm_small_left_device_sharedBILi16ELi16ELb0EffPKPKfPKPfEv13rocblas_fill_18rocblas_operation_17rocblas_diagonal_iiT3_T4_lilT5_lili
; %bb.0:
	s_load_b32 s24, s[0:1], 0x58
	s_lshr_b32 s2, ttmp7, 16
	s_wait_kmcnt 0x0
	s_cmp_ge_u32 s2, s24
	s_cbranch_scc1 .LBB16_57
; %bb.1:
	s_clause 0x6
	s_load_b32 s18, s[0:1], 0x28
	s_load_b32 s20, s[0:1], 0x48
	s_load_b128 s[12:15], s[0:1], 0x4
	s_load_b32 s3, s[0:1], 0x60
	s_load_b128 s[4:7], s[0:1], 0x18
	s_load_b128 s[8:11], s[0:1], 0x38
	s_load_b32 s1, s[0:1], 0x14
	v_dual_mov_b32 v1, 0 :: v_dual_lshlrev_b32 v36, 2, v0
	s_lshl_b32 s22, ttmp9, 4
	v_lshlrev_b32_e32 v19, 6, v0
	s_mov_b32 s17, 0
	s_delay_alu instid0(VALU_DEP_2)
	v_or_b32_e32 v37, 0x400, v36
	v_dual_mov_b32 v15, v1 :: v_dual_mov_b32 v16, v1
	v_dual_mov_b32 v2, v1 :: v_dual_mov_b32 v3, v1
	v_dual_mov_b32 v4, v1 :: v_dual_mov_b32 v5, v1
	v_mov_b32_e32 v6, v1
	s_wait_kmcnt 0x0
	s_ashr_i32 s19, s18, 31
	s_ashr_i32 s21, s20, 31
	s_min_i32 s25, s14, 16
	s_add_co_i32 s3, s3, -1
	s_sub_co_i32 s0, s15, s22
	s_add_co_i32 s26, s25, -1
	v_mad_co_i64_i32 v[17:18], null, s20, v0, 0
	s_cmp_ge_u32 ttmp9, s3
	v_dual_mov_b32 v7, v1 :: v_dual_mov_b32 v8, v1
	s_cselect_b32 s3, s0, 16
	s_ashr_i32 s23, s22, 31
	s_cmp_lg_u32 s13, 0x84
	v_cmp_gt_i32_e32 vcc_lo, s3, v0
	s_cselect_b32 s27, -1, 0
	s_cmp_gt_i32 s14, 0
	v_dual_mov_b32 v9, v1 :: v_dual_mov_b32 v10, v1
	v_dual_mov_b32 v11, v1 :: v_dual_mov_b32 v12, v1
	;; [unrolled: 1-line block ×3, first 2 shown]
	v_cmp_gt_i32_e64 s0, s25, v0
	s_cselect_b32 s3, -1, 0
	s_cmp_lg_u32 s12, 0x6f
	v_lshlrev_b32_e32 v0, 2, v0
	v_lshlrev_b64_e32 v[34:35], 2, v[17:18]
	v_mov_b32_e32 v17, v16
	v_mov_b32_e32 v16, v15
	v_dual_mov_b32 v15, v14 :: v_dual_add_nc_u32 v38, v36, v19
	v_mov_b32_e32 v14, v13
	v_mov_b32_e32 v13, v12
	;; [unrolled: 1-line block ×13, first 2 shown]
	s_mul_u64 s[14:15], s[20:21], s[22:23]
	s_cselect_b32 s28, -1, 0
	s_wait_alu 0xfffe
	s_and_b32 s29, vcc_lo, s3
	s_lshl_b32 s3, s25, 6
	s_lshl_b64 s[12:13], s[18:19], 2
	s_wait_alu 0xfffe
	s_sub_co_i32 s30, s3, 64
	s_lshl_b64 s[6:7], s[6:7], 2
	s_lshl_b64 s[10:11], s[10:11], 2
	;; [unrolled: 1-line block ×3, first 2 shown]
	s_branch .LBB16_3
.LBB16_2:                               ;   in Loop: Header=BB16_3 Depth=1
	s_wait_alu 0xfffe
	s_or_b32 exec_lo, exec_lo, s3
	v_dual_mov_b32 v2, v18 :: v_dual_mov_b32 v3, v19
	v_dual_mov_b32 v4, v20 :: v_dual_mov_b32 v5, v21
	;; [unrolled: 1-line block ×8, first 2 shown]
	s_add_co_i32 s2, s2, 0x10000
	s_wait_alu 0xfffe
	s_cmp_lt_u32 s2, s24
	s_cbranch_scc0 .LBB16_57
.LBB16_3:                               ; =>This Loop Header: Depth=1
                                        ;     Child Loop BB16_5 Depth 2
                                        ;     Child Loop BB16_11 Depth 2
	;; [unrolled: 1-line block ×3, first 2 shown]
                                        ;       Child Loop BB16_17 Depth 3
                                        ;         Child Loop BB16_18 Depth 4
                                        ;         Child Loop BB16_21 Depth 4
                                        ;           Child Loop BB16_22 Depth 5
                                        ;         Child Loop BB16_27 Depth 4
                                        ;           Child Loop BB16_29 Depth 5
                                        ;     Child Loop BB16_35 Depth 2
                                        ;       Child Loop BB16_38 Depth 3
                                        ;         Child Loop BB16_39 Depth 4
                                        ;         Child Loop BB16_41 Depth 4
                                        ;           Child Loop BB16_42 Depth 5
                                        ;         Child Loop BB16_47 Depth 4
                                        ;           Child Loop BB16_49 Depth 5
                                        ;     Child Loop BB16_56 Depth 2
	s_mov_b32 s3, s17
	s_wait_alu 0xfffe
	s_lshl_b64 s[18:19], s[2:3], 3
	s_delay_alu instid0(SALU_CYCLE_1)
	s_add_nc_u64 s[20:21], s[8:9], s[18:19]
	global_load_b64 v[18:19], v1, s[20:21]
	s_and_saveexec_b32 s3, s0
	s_cbranch_execz .LBB16_9
; %bb.4:                                ;   in Loop: Header=BB16_3 Depth=1
	s_add_nc_u64 s[18:19], s[4:5], s[18:19]
	v_mov_b32_e32 v22, v36
	global_load_b64 v[20:21], v1, s[18:19]
	s_mov_b32 s16, s25
	s_wait_loadcnt 0x0
	v_add_co_u32 v20, vcc_lo, v20, s6
	s_wait_alu 0xfffd
	v_add_co_ci_u32_e64 v21, null, s7, v21, vcc_lo
	s_delay_alu instid0(VALU_DEP_2) | instskip(SKIP_1) | instid1(VALU_DEP_2)
	v_add_co_u32 v20, vcc_lo, v20, v0
	s_wait_alu 0xfffd
	v_add_co_ci_u32_e64 v21, null, 0, v21, vcc_lo
.LBB16_5:                               ;   Parent Loop BB16_3 Depth=1
                                        ; =>  This Inner Loop Header: Depth=2
	flat_load_b32 v23, v[20:21]
	v_add_co_u32 v20, vcc_lo, v20, s12
	s_wait_alu 0xfffd
	v_add_co_ci_u32_e64 v21, null, s13, v21, vcc_lo
	s_add_co_i32 s16, s16, -1
	s_delay_alu instid0(SALU_CYCLE_1)
	s_cmp_eq_u32 s16, 0
	s_wait_loadcnt_dscnt 0x0
	ds_store_b32 v22, v23
	v_add_nc_u32_e32 v22, 64, v22
	s_cbranch_scc0 .LBB16_5
; %bb.6:                                ;   in Loop: Header=BB16_3 Depth=1
	v_mov_b32_e32 v20, 1.0
	s_and_b32 vcc_lo, exec_lo, s27
	s_wait_alu 0xfffe
	s_cbranch_vccz .LBB16_8
; %bb.7:                                ;   in Loop: Header=BB16_3 Depth=1
	ds_load_b32 v20, v38
	s_wait_dscnt 0x0
	v_div_scale_f32 v21, null, v20, v20, 1.0
	s_delay_alu instid0(VALU_DEP_1) | instskip(NEXT) | instid1(TRANS32_DEP_1)
	v_rcp_f32_e32 v22, v21
	v_fma_f32 v23, -v21, v22, 1.0
	s_delay_alu instid0(VALU_DEP_1) | instskip(SKIP_1) | instid1(VALU_DEP_1)
	v_fmac_f32_e32 v22, v23, v22
	v_div_scale_f32 v23, vcc_lo, 1.0, v20, 1.0
	v_mul_f32_e32 v24, v23, v22
	s_delay_alu instid0(VALU_DEP_1) | instskip(NEXT) | instid1(VALU_DEP_1)
	v_fma_f32 v25, -v21, v24, v23
	v_fmac_f32_e32 v24, v25, v22
	s_delay_alu instid0(VALU_DEP_1) | instskip(SKIP_1) | instid1(VALU_DEP_1)
	v_fma_f32 v21, -v21, v24, v23
	s_wait_alu 0xfffd
	v_div_fmas_f32 v21, v21, v22, v24
	s_delay_alu instid0(VALU_DEP_1)
	v_div_fixup_f32 v20, v21, v20, 1.0
.LBB16_8:                               ;   in Loop: Header=BB16_3 Depth=1
	ds_store_b32 v38, v20
.LBB16_9:                               ;   in Loop: Header=BB16_3 Depth=1
	s_wait_alu 0xfffe
	s_or_b32 exec_lo, exec_lo, s3
	s_wait_loadcnt 0x0
	v_add_co_u32 v18, vcc_lo, v18, s10
	s_wait_alu 0xfffd
	v_add_co_ci_u32_e64 v19, null, s11, v19, vcc_lo
	s_delay_alu instid0(VALU_DEP_2) | instskip(SKIP_1) | instid1(VALU_DEP_2)
	v_add_co_u32 v39, vcc_lo, v18, s14
	s_wait_alu 0xfffd
	v_add_co_ci_u32_e64 v40, null, s15, v19, vcc_lo
	s_and_saveexec_b32 s3, s29
	s_cbranch_execz .LBB16_12
; %bb.10:                               ;   in Loop: Header=BB16_3 Depth=1
	v_add_co_u32 v18, vcc_lo, v39, v34
	s_wait_alu 0xfffd
	v_add_co_ci_u32_e64 v19, null, v40, v35, vcc_lo
	v_mov_b32_e32 v20, v37
	s_mov_b32 s16, s25
.LBB16_11:                              ;   Parent Loop BB16_3 Depth=1
                                        ; =>  This Inner Loop Header: Depth=2
	flat_load_b32 v21, v[18:19]
	v_add_co_u32 v18, vcc_lo, v18, 4
	s_wait_alu 0xfffd
	v_add_co_ci_u32_e64 v19, null, 0, v19, vcc_lo
	s_add_co_i32 s16, s16, -1
	s_delay_alu instid0(SALU_CYCLE_1)
	s_cmp_lg_u32 s16, 0
	s_wait_loadcnt_dscnt 0x0
	v_mul_f32_e32 v21, s1, v21
	ds_store_b32 v20, v21
	v_add_nc_u32_e32 v20, 64, v20
	s_cbranch_scc1 .LBB16_11
.LBB16_12:                              ;   in Loop: Header=BB16_3 Depth=1
	s_wait_alu 0xfffe
	s_or_b32 exec_lo, exec_lo, s3
	s_delay_alu instid0(SALU_CYCLE_1)
	s_and_not1_b32 vcc_lo, exec_lo, s28
	s_mov_b32 s3, -1
	s_wait_dscnt 0x0
	; wave barrier
	global_inv scope:SCOPE_SE
                                        ; implicit-def: $vgpr18_vgpr19_vgpr20_vgpr21_vgpr22_vgpr23_vgpr24_vgpr25_vgpr26_vgpr27_vgpr28_vgpr29_vgpr30_vgpr31_vgpr32_vgpr33
	s_wait_alu 0xfffe
	s_cbranch_vccnz .LBB16_33
; %bb.13:                               ;   in Loop: Header=BB16_3 Depth=1
	v_dual_mov_b32 v33, v17 :: v_dual_mov_b32 v32, v16
	v_dual_mov_b32 v31, v15 :: v_dual_mov_b32 v30, v14
	;; [unrolled: 1-line block ×8, first 2 shown]
	s_mov_b32 s16, 0
	s_delay_alu instid0(SALU_CYCLE_1)
	s_mov_b32 s3, s16
.LBB16_14:                              ;   Parent Loop BB16_3 Depth=1
                                        ; =>  This Loop Header: Depth=2
                                        ;       Child Loop BB16_17 Depth 3
                                        ;         Child Loop BB16_18 Depth 4
                                        ;         Child Loop BB16_21 Depth 4
                                        ;           Child Loop BB16_22 Depth 5
                                        ;         Child Loop BB16_27 Depth 4
                                        ;           Child Loop BB16_29 Depth 5
	s_getpc_b64 s[18:19]
	s_sext_i32_i16 s19, s19
	s_add_co_u32 s18, s18, __const._ZL38rocblas_trsm_small_left_device_sharedBILi16ELi16ELb0EffPKPKfPKPfEv13rocblas_fill_18rocblas_operation_17rocblas_diagonal_iiT3_T4_lilT5_lili.step_sizes@rel32@lo+8
	s_add_co_ci_u32 s19, s19, __const._ZL38rocblas_trsm_small_left_device_sharedBILi16ELi16ELb0EffPKPKfPKPfEv13rocblas_fill_18rocblas_operation_17rocblas_diagonal_iiT3_T4_lilT5_lili.step_sizes@rel32@hi+16
	s_lshl_b64 s[20:21], s[16:17], 2
	s_wait_alu 0xfffe
	s_add_nc_u64 s[18:19], s[18:19], s[20:21]
	s_load_b32 s31, s[18:19], 0x0
	s_wait_kmcnt 0x0
	s_add_co_i32 s33, s31, -1
	s_wait_alu 0xfffe
	s_add_co_i32 s18, s33, s3
	s_delay_alu instid0(SALU_CYCLE_1)
	s_cmp_ge_i32 s18, s25
	s_cbranch_scc1 .LBB16_30
; %bb.15:                               ;   in Loop: Header=BB16_14 Depth=2
	s_lshl_b32 s34, s3, 6
	s_max_i32 s35, s31, 1
	s_wait_alu 0xfffe
	v_add_nc_u32_e32 v41, s34, v37
	s_lshl_b32 s36, s31, 6
	s_mul_i32 s37, s3, 0x44
	s_mul_i32 s38, s31, 0x44
	s_branch .LBB16_17
.LBB16_16:                              ;   in Loop: Header=BB16_17 Depth=3
	s_add_co_i32 s3, s3, s31
	v_add_nc_u32_e32 v41, s36, v41
	s_wait_alu 0xfffe
	s_add_co_i32 s18, s33, s3
	s_add_co_i32 s34, s34, s36
	;; [unrolled: 1-line block ×3, first 2 shown]
	s_cmp_ge_i32 s18, s25
	s_cbranch_scc1 .LBB16_30
.LBB16_17:                              ;   Parent Loop BB16_3 Depth=1
                                        ;     Parent Loop BB16_14 Depth=2
                                        ; =>    This Loop Header: Depth=3
                                        ;         Child Loop BB16_18 Depth 4
                                        ;         Child Loop BB16_21 Depth 4
                                        ;           Child Loop BB16_22 Depth 5
                                        ;         Child Loop BB16_27 Depth 4
                                        ;           Child Loop BB16_29 Depth 5
	v_mov_b32_e32 v42, v41
	s_mov_b64 s[18:19], 0
.LBB16_18:                              ;   Parent Loop BB16_3 Depth=1
                                        ;     Parent Loop BB16_14 Depth=2
                                        ;       Parent Loop BB16_17 Depth=3
                                        ; =>      This Inner Loop Header: Depth=4
	ds_load_b32 v43, v42
	v_add_nc_u32_e32 v42, 64, v42
	s_mov_b32 m0, s18
	s_add_nc_u64 s[18:19], s[18:19], 1
	s_delay_alu instid0(SALU_CYCLE_1)
	s_cmp_eq_u32 s35, s18
	s_wait_dscnt 0x0
	v_movreld_b32_e32 v18, v43
	s_cbranch_scc0 .LBB16_18
; %bb.19:                               ;   in Loop: Header=BB16_17 Depth=3
	s_cmp_lt_i32 s3, 1
	s_cbranch_scc1 .LBB16_24
; %bb.20:                               ;   in Loop: Header=BB16_17 Depth=3
	s_mov_b32 s20, 0
	s_wait_alu 0xfffe
	s_mov_b32 s21, s34
.LBB16_21:                              ;   Parent Loop BB16_3 Depth=1
                                        ;     Parent Loop BB16_14 Depth=2
                                        ;       Parent Loop BB16_17 Depth=3
                                        ; =>      This Loop Header: Depth=4
                                        ;           Child Loop BB16_22 Depth 5
	s_wait_alu 0xfffe
	v_lshl_add_u32 v42, s20, 6, v37
	s_mov_b64 s[18:19], 0
	s_mov_b32 s22, s21
	ds_load_b32 v42, v42
.LBB16_22:                              ;   Parent Loop BB16_3 Depth=1
                                        ;     Parent Loop BB16_14 Depth=2
                                        ;       Parent Loop BB16_17 Depth=3
                                        ;         Parent Loop BB16_21 Depth=4
                                        ; =>        This Inner Loop Header: Depth=5
	s_wait_alu 0xfffe
	v_mov_b32_e32 v43, s22
	s_mov_b32 m0, s18
	s_add_nc_u64 s[18:19], s[18:19], 1
	v_movrels_b32_e32 v44, v18
	s_add_co_i32 s22, s22, 64
	ds_load_b32 v43, v43
	s_cmp_eq_u32 s35, s18
	s_wait_dscnt 0x0
	v_fma_f32 v43, -v42, v43, v44
	s_delay_alu instid0(VALU_DEP_1)
	v_movreld_b32_e32 v18, v43
	s_cbranch_scc0 .LBB16_22
; %bb.23:                               ;   in Loop: Header=BB16_21 Depth=4
	s_add_co_i32 s20, s20, 1
	s_add_co_i32 s21, s21, 4
	s_wait_alu 0xfffe
	s_cmp_eq_u32 s20, s3
	s_cbranch_scc0 .LBB16_21
.LBB16_24:                              ;   in Loop: Header=BB16_17 Depth=3
	s_lshl_b32 s39, s3, 6
	s_mov_b64 s[18:19], 0
	s_wait_alu 0xfffe
	s_mov_b32 s40, s37
	s_branch .LBB16_27
.LBB16_25:                              ;   in Loop: Header=BB16_27 Depth=4
	s_mov_b32 s42, s3
	s_mov_b64 s[20:21], 0
	s_mov_b32 s41, s39
.LBB16_26:                              ;   in Loop: Header=BB16_27 Depth=4
	s_wait_alu 0xfffe
	s_mov_b32 m0, s20
	s_mul_i32 s20, s42, 0x44
	v_movrels_b32_e32 v43, v18
	s_wait_alu 0xfffe
	v_mov_b32_e32 v42, s20
	s_add_nc_u64 s[18:19], s[18:19], 1
	s_add_co_i32 s40, s40, 64
	s_cmp_eq_u32 s18, s35
	ds_load_b32 v42, v42
	s_wait_dscnt 0x0
	v_dual_mul_f32 v42, v43, v42 :: v_dual_add_nc_u32 v43, s41, v37
	s_delay_alu instid0(VALU_DEP_1)
	v_movreld_b32_e32 v18, v42
	ds_store_b32 v43, v42
	s_cbranch_scc1 .LBB16_16
.LBB16_27:                              ;   Parent Loop BB16_3 Depth=1
                                        ;     Parent Loop BB16_14 Depth=2
                                        ;       Parent Loop BB16_17 Depth=3
                                        ; =>      This Loop Header: Depth=4
                                        ;           Child Loop BB16_29 Depth 5
	s_cmp_eq_u32 s18, 0
	s_cbranch_scc1 .LBB16_25
; %bb.28:                               ;   in Loop: Header=BB16_27 Depth=4
	s_add_co_i32 s42, s18, s3
	s_mov_b64 s[20:21], s[18:19]
	s_mov_b64 s[22:23], 0
	s_lshl_b32 s41, s42, 6
	s_wait_alu 0xfffe
	s_mov_b32 s21, s40
.LBB16_29:                              ;   Parent Loop BB16_3 Depth=1
                                        ;     Parent Loop BB16_14 Depth=2
                                        ;       Parent Loop BB16_17 Depth=3
                                        ;         Parent Loop BB16_27 Depth=4
                                        ; =>        This Inner Loop Header: Depth=5
	s_wait_alu 0xfffe
	v_mov_b32_e32 v42, s21
	s_mov_b32 m0, s22
	s_add_nc_u64 s[22:23], s[22:23], 1
	v_movrels_b32_e32 v43, v18
	s_mov_b32 m0, s18
	ds_load_b32 v42, v42
	v_movrels_b32_e32 v44, v18
	s_add_co_i32 s21, s21, 4
	s_wait_alu 0xfffe
	s_cmp_eq_u32 s18, s22
	s_wait_dscnt 0x0
	v_fma_f32 v42, -v43, v42, v44
	s_delay_alu instid0(VALU_DEP_1)
	v_movreld_b32_e32 v18, v42
	s_cbranch_scc0 .LBB16_29
	s_branch .LBB16_26
.LBB16_30:                              ;   in Loop: Header=BB16_14 Depth=2
	s_cmp_lt_i32 s3, s25
	s_cselect_b32 s19, -1, 0
	s_add_co_i32 s18, s16, 1
	s_cmp_lt_u32 s16, 2
	s_cselect_b32 s16, -1, 0
	s_delay_alu instid0(SALU_CYCLE_1) | instskip(NEXT) | instid1(SALU_CYCLE_1)
	s_and_b32 s16, s19, s16
	s_and_b32 vcc_lo, exec_lo, s16
	s_wait_alu 0xfffe
	s_cbranch_vccz .LBB16_32
; %bb.31:                               ;   in Loop: Header=BB16_14 Depth=2
	s_mov_b32 s16, s18
	s_branch .LBB16_14
.LBB16_32:                              ;   in Loop: Header=BB16_3 Depth=1
	s_mov_b32 s3, 0
.LBB16_33:                              ;   in Loop: Header=BB16_3 Depth=1
	s_wait_alu 0xfffe
	s_and_b32 vcc_lo, exec_lo, s3
	s_wait_alu 0xfffe
	s_cbranch_vccz .LBB16_54
; %bb.34:                               ;   in Loop: Header=BB16_3 Depth=1
	s_mov_b32 s16, 0
	s_mov_b32 s3, s26
.LBB16_35:                              ;   Parent Loop BB16_3 Depth=1
                                        ; =>  This Loop Header: Depth=2
                                        ;       Child Loop BB16_38 Depth 3
                                        ;         Child Loop BB16_39 Depth 4
                                        ;         Child Loop BB16_41 Depth 4
                                        ;           Child Loop BB16_42 Depth 5
                                        ;         Child Loop BB16_47 Depth 4
                                        ;           Child Loop BB16_49 Depth 5
	s_getpc_b64 s[18:19]
	s_sext_i32_i16 s19, s19
	s_add_co_u32 s18, s18, __const._ZL38rocblas_trsm_small_left_device_sharedBILi16ELi16ELb0EffPKPKfPKPfEv13rocblas_fill_18rocblas_operation_17rocblas_diagonal_iiT3_T4_lilT5_lili.step_sizes@rel32@lo+8
	s_add_co_ci_u32 s19, s19, __const._ZL38rocblas_trsm_small_left_device_sharedBILi16ELi16ELb0EffPKPKfPKPfEv13rocblas_fill_18rocblas_operation_17rocblas_diagonal_iiT3_T4_lilT5_lili.step_sizes@rel32@hi+16
	s_lshl_b64 s[20:21], s[16:17], 2
	s_wait_alu 0xfffe
	s_add_nc_u64 s[18:19], s[18:19], s[20:21]
	s_load_b32 s22, s[18:19], 0x0
	s_wait_kmcnt 0x0
	s_add_co_i32 s23, s22, -1
	s_wait_alu 0xfffe
	s_cmp_lt_i32 s3, s23
	s_cbranch_scc1 .LBB16_51
; %bb.36:                               ;   in Loop: Header=BB16_35 Depth=2
	s_lshl_b32 s18, s22, 6
	v_lshl_add_u32 v18, s3, 6, v37
	s_sub_co_i32 s33, 0, s18
	s_lshl_b32 s18, s3, 2
	s_lshl_b32 s19, s22, 2
	s_max_i32 s31, s22, 1
	s_add_co_i32 s34, s30, s18
	s_sub_co_i32 s35, 0, s19
	s_mul_i32 s36, s3, 0x44
	s_mul_i32 s37, s22, 0xffffffbc
	s_branch .LBB16_38
.LBB16_37:                              ;   in Loop: Header=BB16_38 Depth=3
	v_add_nc_u32_e32 v18, s33, v18
	s_sub_co_i32 s3, s3, s22
	s_add_co_i32 s34, s34, s35
	s_add_co_i32 s36, s36, s37
	s_wait_alu 0xfffe
	s_cmp_lt_i32 s3, s23
	s_cbranch_scc1 .LBB16_51
.LBB16_38:                              ;   Parent Loop BB16_3 Depth=1
                                        ;     Parent Loop BB16_35 Depth=2
                                        ; =>    This Loop Header: Depth=3
                                        ;         Child Loop BB16_39 Depth 4
                                        ;         Child Loop BB16_41 Depth 4
                                        ;           Child Loop BB16_42 Depth 5
                                        ;         Child Loop BB16_47 Depth 4
                                        ;           Child Loop BB16_49 Depth 5
	v_mov_b32_e32 v19, v18
	s_mov_b64 s[18:19], 0
.LBB16_39:                              ;   Parent Loop BB16_3 Depth=1
                                        ;     Parent Loop BB16_35 Depth=2
                                        ;       Parent Loop BB16_38 Depth=3
                                        ; =>      This Inner Loop Header: Depth=4
	ds_load_b32 v20, v19
	v_subrev_nc_u32_e32 v19, 64, v19
	s_mov_b32 m0, s18
	s_add_nc_u64 s[18:19], s[18:19], 1
	s_delay_alu instid0(SALU_CYCLE_1)
	s_cmp_eq_u32 s31, s18
	s_wait_dscnt 0x0
	v_movreld_b32_e32 v2, v20
	s_cbranch_scc0 .LBB16_39
; %bb.40:                               ;   in Loop: Header=BB16_38 Depth=3
	s_cmp_le_i32 s26, s3
	s_wait_alu 0xfffe
	s_mov_b32 s20, s34
	s_mov_b32 s21, s26
	s_cbranch_scc1 .LBB16_44
.LBB16_41:                              ;   Parent Loop BB16_3 Depth=1
                                        ;     Parent Loop BB16_35 Depth=2
                                        ;       Parent Loop BB16_38 Depth=3
                                        ; =>      This Loop Header: Depth=4
                                        ;           Child Loop BB16_42 Depth 5
	s_wait_alu 0xfffe
	v_lshl_add_u32 v19, s21, 6, v37
	s_mov_b64 s[18:19], 0
	s_mov_b32 s38, s20
	ds_load_b32 v19, v19
.LBB16_42:                              ;   Parent Loop BB16_3 Depth=1
                                        ;     Parent Loop BB16_35 Depth=2
                                        ;       Parent Loop BB16_38 Depth=3
                                        ;         Parent Loop BB16_41 Depth=4
                                        ; =>        This Inner Loop Header: Depth=5
	s_wait_alu 0xfffe
	v_mov_b32_e32 v20, s38
	s_mov_b32 m0, s18
	s_add_nc_u64 s[18:19], s[18:19], 1
	v_movrels_b32_e32 v21, v2
	s_add_co_i32 s38, s38, -4
	ds_load_b32 v20, v20
	s_cmp_eq_u32 s31, s18
	s_wait_dscnt 0x0
	v_fma_f32 v20, -v19, v20, v21
	s_delay_alu instid0(VALU_DEP_1)
	v_movreld_b32_e32 v2, v20
	s_cbranch_scc0 .LBB16_42
; %bb.43:                               ;   in Loop: Header=BB16_41 Depth=4
	s_add_co_i32 s21, s21, -1
	s_sub_co_i32 s20, s20, 64
	s_wait_alu 0xfffe
	s_cmp_le_i32 s21, s3
	s_cbranch_scc0 .LBB16_41
.LBB16_44:                              ;   in Loop: Header=BB16_38 Depth=3
	s_mov_b64 s[18:19], 0
	s_mov_b32 s38, s36
	s_branch .LBB16_47
.LBB16_45:                              ;   in Loop: Header=BB16_47 Depth=4
	s_mov_b32 s39, s3
	s_mov_b64 s[20:21], 0
.LBB16_46:                              ;   in Loop: Header=BB16_47 Depth=4
	s_wait_alu 0xfffe
	s_mov_b32 m0, s20
	s_mul_i32 s20, s39, 0x44
	v_movrels_b32_e32 v20, v2
	s_wait_alu 0xfffe
	v_mov_b32_e32 v19, s20
	s_add_nc_u64 s[18:19], s[18:19], 1
	s_add_co_i32 s38, s38, -4
	s_cmp_eq_u32 s18, s31
	ds_load_b32 v19, v19
	s_wait_dscnt 0x0
	v_mul_f32_e32 v19, v20, v19
	v_lshl_add_u32 v20, s39, 6, v37
	s_delay_alu instid0(VALU_DEP_2)
	v_movreld_b32_e32 v2, v19
	ds_store_b32 v20, v19
	s_cbranch_scc1 .LBB16_37
.LBB16_47:                              ;   Parent Loop BB16_3 Depth=1
                                        ;     Parent Loop BB16_35 Depth=2
                                        ;       Parent Loop BB16_38 Depth=3
                                        ; =>      This Loop Header: Depth=4
                                        ;           Child Loop BB16_49 Depth 5
	s_cmp_eq_u32 s18, 0
	s_cbranch_scc1 .LBB16_45
; %bb.48:                               ;   in Loop: Header=BB16_47 Depth=4
	s_sub_co_i32 s39, s3, s18
	s_mov_b64 s[20:21], 0
	s_wait_alu 0xfffe
	s_mov_b32 s40, s38
.LBB16_49:                              ;   Parent Loop BB16_3 Depth=1
                                        ;     Parent Loop BB16_35 Depth=2
                                        ;       Parent Loop BB16_38 Depth=3
                                        ;         Parent Loop BB16_47 Depth=4
                                        ; =>        This Inner Loop Header: Depth=5
	s_wait_alu 0xfffe
	v_mov_b32_e32 v19, s40
	s_mov_b32 m0, s20
	s_add_nc_u64 s[20:21], s[20:21], 1
	v_movrels_b32_e32 v20, v2
	s_mov_b32 m0, s18
	ds_load_b32 v19, v19
	v_movrels_b32_e32 v21, v2
	s_sub_co_i32 s40, s40, 64
	s_wait_alu 0xfffe
	s_cmp_eq_u32 s18, s20
	s_wait_dscnt 0x0
	v_fma_f32 v19, -v20, v19, v21
	s_delay_alu instid0(VALU_DEP_1)
	v_movreld_b32_e32 v2, v19
	s_cbranch_scc0 .LBB16_49
; %bb.50:                               ;   in Loop: Header=BB16_47 Depth=4
	s_mov_b64 s[20:21], s[18:19]
	s_branch .LBB16_46
.LBB16_51:                              ;   in Loop: Header=BB16_35 Depth=2
	s_cmp_gt_i32 s3, -1
	s_cselect_b32 s19, -1, 0
	s_add_co_i32 s18, s16, 1
	s_cmp_lt_u32 s16, 2
	s_cselect_b32 s16, -1, 0
	s_delay_alu instid0(SALU_CYCLE_1) | instskip(NEXT) | instid1(SALU_CYCLE_1)
	s_and_b32 s16, s19, s16
	s_and_not1_b32 vcc_lo, exec_lo, s16
	s_wait_alu 0xfffe
	s_cbranch_vccnz .LBB16_53
; %bb.52:                               ;   in Loop: Header=BB16_35 Depth=2
	s_mov_b32 s16, s18
	s_branch .LBB16_35
.LBB16_53:                              ;   in Loop: Header=BB16_3 Depth=1
	v_dual_mov_b32 v33, v17 :: v_dual_mov_b32 v32, v16
	v_dual_mov_b32 v31, v15 :: v_dual_mov_b32 v30, v14
	;; [unrolled: 1-line block ×8, first 2 shown]
.LBB16_54:                              ;   in Loop: Header=BB16_3 Depth=1
	; wave barrier
	s_wait_loadcnt_dscnt 0x0
	global_inv scope:SCOPE_SE
	s_and_saveexec_b32 s3, s29
	s_cbranch_execz .LBB16_2
; %bb.55:                               ;   in Loop: Header=BB16_3 Depth=1
	v_add_co_u32 v2, vcc_lo, v39, v34
	s_wait_alu 0xfffd
	v_add_co_ci_u32_e64 v3, null, v40, v35, vcc_lo
	v_mov_b32_e32 v4, v37
	s_mov_b32 s16, s25
.LBB16_56:                              ;   Parent Loop BB16_3 Depth=1
                                        ; =>  This Inner Loop Header: Depth=2
	ds_load_b32 v5, v4
	v_add_nc_u32_e32 v4, 64, v4
	s_add_co_i32 s16, s16, -1
	s_delay_alu instid0(SALU_CYCLE_1)
	s_cmp_lg_u32 s16, 0
	s_wait_dscnt 0x0
	flat_store_b32 v[2:3], v5
	v_add_co_u32 v2, vcc_lo, v2, 4
	s_wait_alu 0xfffd
	v_add_co_ci_u32_e64 v3, null, 0, v3, vcc_lo
	s_cbranch_scc1 .LBB16_56
	s_branch .LBB16_2
.LBB16_57:
	s_endpgm
	.section	.rodata,"a",@progbits
	.p2align	6, 0x0
	.amdhsa_kernel _ZL38rocblas_trsm_small_left_device_sharedBILi16ELi16ELb0EffPKPKfPKPfEv13rocblas_fill_18rocblas_operation_17rocblas_diagonal_iiT3_T4_lilT5_lili
		.amdhsa_group_segment_fixed_size 2048
		.amdhsa_private_segment_fixed_size 0
		.amdhsa_kernarg_size 352
		.amdhsa_user_sgpr_count 2
		.amdhsa_user_sgpr_dispatch_ptr 0
		.amdhsa_user_sgpr_queue_ptr 0
		.amdhsa_user_sgpr_kernarg_segment_ptr 1
		.amdhsa_user_sgpr_dispatch_id 0
		.amdhsa_user_sgpr_private_segment_size 0
		.amdhsa_wavefront_size32 1
		.amdhsa_uses_dynamic_stack 0
		.amdhsa_enable_private_segment 0
		.amdhsa_system_sgpr_workgroup_id_x 1
		.amdhsa_system_sgpr_workgroup_id_y 0
		.amdhsa_system_sgpr_workgroup_id_z 1
		.amdhsa_system_sgpr_workgroup_info 0
		.amdhsa_system_vgpr_workitem_id 0
		.amdhsa_next_free_vgpr 45
		.amdhsa_next_free_sgpr 43
		.amdhsa_reserve_vcc 1
		.amdhsa_float_round_mode_32 0
		.amdhsa_float_round_mode_16_64 0
		.amdhsa_float_denorm_mode_32 3
		.amdhsa_float_denorm_mode_16_64 3
		.amdhsa_fp16_overflow 0
		.amdhsa_workgroup_processor_mode 1
		.amdhsa_memory_ordered 1
		.amdhsa_forward_progress 1
		.amdhsa_inst_pref_size 20
		.amdhsa_round_robin_scheduling 0
		.amdhsa_exception_fp_ieee_invalid_op 0
		.amdhsa_exception_fp_denorm_src 0
		.amdhsa_exception_fp_ieee_div_zero 0
		.amdhsa_exception_fp_ieee_overflow 0
		.amdhsa_exception_fp_ieee_underflow 0
		.amdhsa_exception_fp_ieee_inexact 0
		.amdhsa_exception_int_div_zero 0
	.end_amdhsa_kernel
	.section	.text._ZL38rocblas_trsm_small_left_device_sharedBILi16ELi16ELb0EffPKPKfPKPfEv13rocblas_fill_18rocblas_operation_17rocblas_diagonal_iiT3_T4_lilT5_lili,"axG",@progbits,_ZL38rocblas_trsm_small_left_device_sharedBILi16ELi16ELb0EffPKPKfPKPfEv13rocblas_fill_18rocblas_operation_17rocblas_diagonal_iiT3_T4_lilT5_lili,comdat
.Lfunc_end16:
	.size	_ZL38rocblas_trsm_small_left_device_sharedBILi16ELi16ELb0EffPKPKfPKPfEv13rocblas_fill_18rocblas_operation_17rocblas_diagonal_iiT3_T4_lilT5_lili, .Lfunc_end16-_ZL38rocblas_trsm_small_left_device_sharedBILi16ELi16ELb0EffPKPKfPKPfEv13rocblas_fill_18rocblas_operation_17rocblas_diagonal_iiT3_T4_lilT5_lili
                                        ; -- End function
	.set _ZL38rocblas_trsm_small_left_device_sharedBILi16ELi16ELb0EffPKPKfPKPfEv13rocblas_fill_18rocblas_operation_17rocblas_diagonal_iiT3_T4_lilT5_lili.num_vgpr, 45
	.set _ZL38rocblas_trsm_small_left_device_sharedBILi16ELi16ELb0EffPKPKfPKPfEv13rocblas_fill_18rocblas_operation_17rocblas_diagonal_iiT3_T4_lilT5_lili.num_agpr, 0
	.set _ZL38rocblas_trsm_small_left_device_sharedBILi16ELi16ELb0EffPKPKfPKPfEv13rocblas_fill_18rocblas_operation_17rocblas_diagonal_iiT3_T4_lilT5_lili.numbered_sgpr, 43
	.set _ZL38rocblas_trsm_small_left_device_sharedBILi16ELi16ELb0EffPKPKfPKPfEv13rocblas_fill_18rocblas_operation_17rocblas_diagonal_iiT3_T4_lilT5_lili.num_named_barrier, 0
	.set _ZL38rocblas_trsm_small_left_device_sharedBILi16ELi16ELb0EffPKPKfPKPfEv13rocblas_fill_18rocblas_operation_17rocblas_diagonal_iiT3_T4_lilT5_lili.private_seg_size, 0
	.set _ZL38rocblas_trsm_small_left_device_sharedBILi16ELi16ELb0EffPKPKfPKPfEv13rocblas_fill_18rocblas_operation_17rocblas_diagonal_iiT3_T4_lilT5_lili.uses_vcc, 1
	.set _ZL38rocblas_trsm_small_left_device_sharedBILi16ELi16ELb0EffPKPKfPKPfEv13rocblas_fill_18rocblas_operation_17rocblas_diagonal_iiT3_T4_lilT5_lili.uses_flat_scratch, 0
	.set _ZL38rocblas_trsm_small_left_device_sharedBILi16ELi16ELb0EffPKPKfPKPfEv13rocblas_fill_18rocblas_operation_17rocblas_diagonal_iiT3_T4_lilT5_lili.has_dyn_sized_stack, 0
	.set _ZL38rocblas_trsm_small_left_device_sharedBILi16ELi16ELb0EffPKPKfPKPfEv13rocblas_fill_18rocblas_operation_17rocblas_diagonal_iiT3_T4_lilT5_lili.has_recursion, 0
	.set _ZL38rocblas_trsm_small_left_device_sharedBILi16ELi16ELb0EffPKPKfPKPfEv13rocblas_fill_18rocblas_operation_17rocblas_diagonal_iiT3_T4_lilT5_lili.has_indirect_call, 0
	.section	.AMDGPU.csdata,"",@progbits
; Kernel info:
; codeLenInByte = 2452
; TotalNumSgprs: 45
; NumVgprs: 45
; ScratchSize: 0
; MemoryBound: 0
; FloatMode: 240
; IeeeMode: 1
; LDSByteSize: 2048 bytes/workgroup (compile time only)
; SGPRBlocks: 0
; VGPRBlocks: 5
; NumSGPRsForWavesPerEU: 45
; NumVGPRsForWavesPerEU: 45
; Occupancy: 16
; WaveLimiterHint : 0
; COMPUTE_PGM_RSRC2:SCRATCH_EN: 0
; COMPUTE_PGM_RSRC2:USER_SGPR: 2
; COMPUTE_PGM_RSRC2:TRAP_HANDLER: 0
; COMPUTE_PGM_RSRC2:TGID_X_EN: 1
; COMPUTE_PGM_RSRC2:TGID_Y_EN: 0
; COMPUTE_PGM_RSRC2:TGID_Z_EN: 1
; COMPUTE_PGM_RSRC2:TIDIG_COMP_CNT: 0
	.section	.text._ZL30rocblas_trsm_small_left_deviceILi16ELi16ELb0EffPKPKfPKPfEv13rocblas_fill_18rocblas_operation_17rocblas_diagonal_iiT3_T4_lilT5_lili,"axG",@progbits,_ZL30rocblas_trsm_small_left_deviceILi16ELi16ELb0EffPKPKfPKPfEv13rocblas_fill_18rocblas_operation_17rocblas_diagonal_iiT3_T4_lilT5_lili,comdat
	.globl	_ZL30rocblas_trsm_small_left_deviceILi16ELi16ELb0EffPKPKfPKPfEv13rocblas_fill_18rocblas_operation_17rocblas_diagonal_iiT3_T4_lilT5_lili ; -- Begin function _ZL30rocblas_trsm_small_left_deviceILi16ELi16ELb0EffPKPKfPKPfEv13rocblas_fill_18rocblas_operation_17rocblas_diagonal_iiT3_T4_lilT5_lili
	.p2align	8
	.type	_ZL30rocblas_trsm_small_left_deviceILi16ELi16ELb0EffPKPKfPKPfEv13rocblas_fill_18rocblas_operation_17rocblas_diagonal_iiT3_T4_lilT5_lili,@function
_ZL30rocblas_trsm_small_left_deviceILi16ELi16ELb0EffPKPKfPKPfEv13rocblas_fill_18rocblas_operation_17rocblas_diagonal_iiT3_T4_lilT5_lili: ; @_ZL30rocblas_trsm_small_left_deviceILi16ELi16ELb0EffPKPKfPKPfEv13rocblas_fill_18rocblas_operation_17rocblas_diagonal_iiT3_T4_lilT5_lili
; %bb.0:
	s_load_b32 s33, s[0:1], 0x58
	s_lshr_b32 s2, ttmp7, 16
	s_wait_kmcnt 0x0
	s_cmp_ge_u32 s2, s33
	s_cbranch_scc1 .LBB17_53
; %bb.1:
	s_clause 0x6
	s_load_b32 s16, s[0:1], 0x28
	s_load_b128 s[12:15], s[0:1], 0x4
	s_load_b32 s3, s[0:1], 0x60
	s_load_b32 s18, s[0:1], 0x48
	s_load_b128 s[4:7], s[0:1], 0x18
	s_load_b128 s[8:11], s[0:1], 0x38
	s_load_b32 s34, s[0:1], 0x14
	s_lshl_b32 s0, ttmp9, 4
	v_dual_mov_b32 v1, 0 :: v_dual_lshlrev_b32 v42, 2, v0
	v_or_b32_e32 v2, s0, v0
	v_lshlrev_b32_e32 v17, 6, v0
	s_mov_b32 s40, 0
	s_delay_alu instid0(VALU_DEP_3)
	v_dual_mov_b32 v15, v1 :: v_dual_mov_b32 v16, v1
	v_dual_mov_b32 v5, v1 :: v_dual_mov_b32 v6, v1
	;; [unrolled: 1-line block ×3, first 2 shown]
	s_wait_kmcnt 0x0
	s_ashr_i32 s17, s16, 31
	s_min_i32 s35, s14, 16
	s_add_co_i32 s3, s3, -1
	v_mad_co_i64_i32 v[2:3], null, s18, v2, 0
	s_sub_co_i32 s0, s15, s0
	s_add_co_i32 s36, s35, -1
	s_wait_alu 0xfffe
	s_cmp_ge_u32 ttmp9, s3
	v_dual_mov_b32 v9, v1 :: v_dual_mov_b32 v10, v1
	s_cselect_b32 s1, s0, 16
	s_cmp_lg_u32 s13, 0x84
	v_lshlrev_b64_e32 v[34:35], 2, v[2:3]
	s_cselect_b32 s37, -1, 0
	s_cmp_lg_u32 s12, 0x6f
	v_mov_b32_e32 v2, v1
	s_cselect_b32 s38, -1, 0
	s_lshl_b64 s[10:11], s[10:11], 2
	v_dual_mov_b32 v3, v1 :: v_dual_mov_b32 v4, v1
	v_dual_mov_b32 v11, v1 :: v_dual_mov_b32 v12, v1
	;; [unrolled: 1-line block ×3, first 2 shown]
	v_add_co_u32 v43, vcc_lo, v34, s10
	v_cmp_gt_i32_e64 s0, s35, v0
	s_wait_alu 0xfffe
	v_cmp_gt_i32_e64 s1, s1, v0
	v_lshlrev_b32_e32 v0, 2, v0
	v_add_nc_u32_e32 v45, v42, v17
	v_mov_b32_e32 v17, v16
	v_add_co_ci_u32_e64 v44, null, s11, v35, vcc_lo
	v_mov_b32_e32 v16, v15
	v_mov_b32_e32 v15, v14
	v_mov_b32_e32 v14, v13
	v_mov_b32_e32 v13, v12
	v_mov_b32_e32 v12, v11
	v_mov_b32_e32 v11, v10
	v_mov_b32_e32 v10, v9
	v_mov_b32_e32 v9, v8
	v_mov_b32_e32 v8, v7
	v_mov_b32_e32 v7, v6
	v_mov_b32_e32 v6, v5
	v_mov_b32_e32 v5, v4
	v_mov_b32_e32 v4, v3
	v_mov_b32_e32 v3, v2
	v_mov_b32_e32 v2, v1
	s_lshl_b32 s3, s35, 6
	s_lshl_b64 s[12:13], s[16:17], 2
	s_sub_co_i32 s39, s3, 64
	s_mov_b32 s15, 0
	s_lshl_b64 s[6:7], s[6:7], 2
	s_branch .LBB17_5
.LBB17_2:                               ;   in Loop: Header=BB17_5 Depth=1
	v_dual_mov_b32 v33, v17 :: v_dual_mov_b32 v32, v16
	v_dual_mov_b32 v31, v15 :: v_dual_mov_b32 v30, v14
	;; [unrolled: 1-line block ×8, first 2 shown]
.LBB17_3:                               ;   in Loop: Header=BB17_5 Depth=1
	s_add_co_i32 s2, s2, 0x10000
	s_delay_alu instid0(SALU_CYCLE_1) | instskip(SKIP_1) | instid1(SALU_CYCLE_1)
	s_cmp_ge_u32 s2, s33
	s_cselect_b32 s14, -1, 0
	s_or_not1_b32 s14, s14, exec_lo
.LBB17_4:                               ;   in Loop: Header=BB17_5 Depth=1
	s_or_b32 exec_lo, exec_lo, s3
	v_dual_mov_b32 v2, v18 :: v_dual_mov_b32 v3, v19
	v_dual_mov_b32 v4, v20 :: v_dual_mov_b32 v5, v21
	v_dual_mov_b32 v6, v22 :: v_dual_mov_b32 v7, v23
	v_dual_mov_b32 v8, v24 :: v_dual_mov_b32 v9, v25
	v_dual_mov_b32 v10, v26 :: v_dual_mov_b32 v11, v27
	v_dual_mov_b32 v12, v28 :: v_dual_mov_b32 v13, v29
	v_dual_mov_b32 v14, v30 :: v_dual_mov_b32 v15, v31
	v_dual_mov_b32 v16, v32 :: v_dual_mov_b32 v17, v33
	s_and_b32 s3, exec_lo, s14
	s_delay_alu instid0(SALU_CYCLE_1) | instskip(NEXT) | instid1(SALU_CYCLE_1)
	s_or_b32 s40, s3, s40
	s_and_not1_b32 exec_lo, exec_lo, s40
	s_cbranch_execz .LBB17_53
.LBB17_5:                               ; =>This Loop Header: Depth=1
                                        ;     Child Loop BB17_7 Depth 2
                                        ;     Child Loop BB17_14 Depth 2
                                        ;       Child Loop BB17_17 Depth 3
                                        ;         Child Loop BB17_18 Depth 4
                                        ;         Child Loop BB17_21 Depth 4
                                        ;           Child Loop BB17_22 Depth 5
                                        ;         Child Loop BB17_27 Depth 4
                                        ;           Child Loop BB17_29 Depth 5
                                        ;     Child Loop BB17_35 Depth 2
                                        ;       Child Loop BB17_38 Depth 3
                                        ;         Child Loop BB17_39 Depth 4
                                        ;         Child Loop BB17_41 Depth 4
                                        ;           Child Loop BB17_42 Depth 5
                                        ;         Child Loop BB17_47 Depth 4
                                        ;           Child Loop BB17_49 Depth 5
	s_mov_b32 s3, s15
	s_delay_alu instid0(SALU_CYCLE_1) | instskip(NEXT) | instid1(SALU_CYCLE_1)
	s_lshl_b64 s[16:17], s[2:3], 3
	s_add_nc_u64 s[18:19], s[8:9], s[16:17]
	global_load_b64 v[36:37], v1, s[18:19]
	s_and_saveexec_b32 s3, s0
	s_cbranch_execz .LBB17_11
; %bb.6:                                ;   in Loop: Header=BB17_5 Depth=1
	s_add_nc_u64 s[16:17], s[4:5], s[16:17]
	v_mov_b32_e32 v20, v42
	global_load_b64 v[18:19], v1, s[16:17]
	s_mov_b32 s14, s35
	s_wait_loadcnt 0x0
	v_add_co_u32 v18, vcc_lo, v18, s6
	s_wait_alu 0xfffd
	v_add_co_ci_u32_e64 v19, null, s7, v19, vcc_lo
	s_delay_alu instid0(VALU_DEP_2) | instskip(SKIP_1) | instid1(VALU_DEP_2)
	v_add_co_u32 v18, vcc_lo, v18, v0
	s_wait_alu 0xfffd
	v_add_co_ci_u32_e64 v19, null, 0, v19, vcc_lo
.LBB17_7:                               ;   Parent Loop BB17_5 Depth=1
                                        ; =>  This Inner Loop Header: Depth=2
	flat_load_b32 v21, v[18:19]
	v_add_co_u32 v18, vcc_lo, v18, s12
	s_wait_alu 0xfffd
	v_add_co_ci_u32_e64 v19, null, s13, v19, vcc_lo
	s_add_co_i32 s14, s14, -1
	s_delay_alu instid0(SALU_CYCLE_1)
	s_cmp_eq_u32 s14, 0
	s_wait_loadcnt_dscnt 0x0
	ds_store_b32 v20, v21
	v_add_nc_u32_e32 v20, 64, v20
	s_cbranch_scc0 .LBB17_7
; %bb.8:                                ;   in Loop: Header=BB17_5 Depth=1
	v_mov_b32_e32 v18, 1.0
	s_and_b32 vcc_lo, exec_lo, s37
	s_wait_alu 0xfffe
	s_cbranch_vccz .LBB17_10
; %bb.9:                                ;   in Loop: Header=BB17_5 Depth=1
	ds_load_b32 v18, v45
	s_wait_dscnt 0x0
	v_div_scale_f32 v19, null, v18, v18, 1.0
	s_delay_alu instid0(VALU_DEP_1) | instskip(NEXT) | instid1(TRANS32_DEP_1)
	v_rcp_f32_e32 v20, v19
	v_fma_f32 v21, -v19, v20, 1.0
	s_delay_alu instid0(VALU_DEP_1) | instskip(SKIP_1) | instid1(VALU_DEP_1)
	v_fmac_f32_e32 v20, v21, v20
	v_div_scale_f32 v21, vcc_lo, 1.0, v18, 1.0
	v_mul_f32_e32 v22, v21, v20
	s_delay_alu instid0(VALU_DEP_1) | instskip(NEXT) | instid1(VALU_DEP_1)
	v_fma_f32 v23, -v19, v22, v21
	v_fmac_f32_e32 v22, v23, v20
	s_delay_alu instid0(VALU_DEP_1) | instskip(SKIP_1) | instid1(VALU_DEP_1)
	v_fma_f32 v19, -v19, v22, v21
	s_wait_alu 0xfffd
	v_div_fmas_f32 v19, v19, v20, v22
	s_delay_alu instid0(VALU_DEP_1)
	v_div_fixup_f32 v18, v19, v18, 1.0
.LBB17_10:                              ;   in Loop: Header=BB17_5 Depth=1
	ds_store_b32 v45, v18
.LBB17_11:                              ;   in Loop: Header=BB17_5 Depth=1
	s_or_b32 exec_lo, exec_lo, s3
	s_mov_b32 s14, -1
	; wave barrier
	s_wait_loadcnt_dscnt 0x0
	global_inv scope:SCOPE_SE
                                        ; implicit-def: $vgpr18_vgpr19_vgpr20_vgpr21_vgpr22_vgpr23_vgpr24_vgpr25_vgpr26_vgpr27_vgpr28_vgpr29_vgpr30_vgpr31_vgpr32_vgpr33
	s_and_saveexec_b32 s3, s1
	s_cbranch_execz .LBB17_4
; %bb.12:                               ;   in Loop: Header=BB17_5 Depth=1
	v_add_co_u32 v18, vcc_lo, v36, s10
	s_wait_alu 0xfffd
	v_add_co_ci_u32_e64 v19, null, s11, v37, vcc_lo
	s_delay_alu instid0(VALU_DEP_2) | instskip(SKIP_1) | instid1(VALU_DEP_2)
	v_add_co_u32 v46, vcc_lo, v18, v34
	s_wait_alu 0xfffd
	v_add_co_ci_u32_e64 v47, null, v19, v35, vcc_lo
	s_and_not1_b32 vcc_lo, exec_lo, s38
                                        ; implicit-def: $vgpr18_vgpr19_vgpr20_vgpr21_vgpr22_vgpr23_vgpr24_vgpr25_vgpr26_vgpr27_vgpr28_vgpr29_vgpr30_vgpr31_vgpr32_vgpr33
	s_wait_alu 0xfffe
	s_cbranch_vccnz .LBB17_33
; %bb.13:                               ;   in Loop: Header=BB17_5 Depth=1
	v_add_co_u32 v48, vcc_lo, v36, v43
	v_dual_mov_b32 v33, v17 :: v_dual_mov_b32 v32, v16
	v_dual_mov_b32 v31, v15 :: v_dual_mov_b32 v30, v14
	;; [unrolled: 1-line block ×8, first 2 shown]
	s_wait_alu 0xfffd
	v_add_co_ci_u32_e64 v49, null, v37, v44, vcc_lo
	s_mov_b32 s18, 0
	s_mov_b32 s16, 0
.LBB17_14:                              ;   Parent Loop BB17_5 Depth=1
                                        ; =>  This Loop Header: Depth=2
                                        ;       Child Loop BB17_17 Depth 3
                                        ;         Child Loop BB17_18 Depth 4
                                        ;         Child Loop BB17_21 Depth 4
                                        ;           Child Loop BB17_22 Depth 5
                                        ;         Child Loop BB17_27 Depth 4
                                        ;           Child Loop BB17_29 Depth 5
	s_mov_b32 s19, s15
	s_getpc_b64 s[20:21]
	s_wait_alu 0xfffe
	s_sext_i32_i16 s21, s21
	s_add_co_u32 s20, s20, __const._ZL30rocblas_trsm_small_left_deviceILi16ELi16ELb0EffPKPKfPKPfEv13rocblas_fill_18rocblas_operation_17rocblas_diagonal_iiT3_T4_lilT5_lili.step_sizes@rel32@lo+12
	s_wait_alu 0xfffe
	s_add_co_ci_u32 s21, s21, __const._ZL30rocblas_trsm_small_left_deviceILi16ELi16ELb0EffPKPKfPKPfEv13rocblas_fill_18rocblas_operation_17rocblas_diagonal_iiT3_T4_lilT5_lili.step_sizes@rel32@hi+24
	s_lshl_b64 s[22:23], s[18:19], 2
	s_wait_alu 0xfffe
	s_add_nc_u64 s[20:21], s[20:21], s[22:23]
	s_load_b32 s20, s[20:21], 0x0
	s_wait_kmcnt 0x0
	s_add_co_i32 s19, s20, -1
	s_wait_alu 0xfffe
	s_add_co_i32 s14, s19, s16
	s_delay_alu instid0(SALU_CYCLE_1)
	s_cmp_ge_i32 s14, s35
	s_cbranch_scc1 .LBB17_30
; %bb.15:                               ;   in Loop: Header=BB17_14 Depth=2
	s_ashr_i32 s17, s16, 31
	s_ashr_i32 s21, s20, 31
	s_lshl_b64 s[22:23], s[16:17], 2
	s_max_i32 s41, s20, 1
	s_wait_alu 0xfffe
	v_add_co_u32 v38, vcc_lo, v48, s22
	s_wait_alu 0xfffd
	v_add_co_ci_u32_e64 v39, null, s23, v49, vcc_lo
	s_lshl_b64 s[22:23], s[20:21], 2
	s_lshl_b32 s17, s16, 6
	s_lshl_b32 s21, s20, 6
	s_mul_i32 s42, s16, 0x44
	s_mul_i32 s43, s20, 0x44
	s_branch .LBB17_17
.LBB17_16:                              ;   in Loop: Header=BB17_17 Depth=3
	v_add_co_u32 v38, vcc_lo, v38, s22
	s_add_co_i32 s16, s16, s20
	s_wait_alu 0xfffd
	v_add_co_ci_u32_e64 v39, null, s23, v39, vcc_lo
	s_add_co_i32 s14, s19, s16
	s_add_co_i32 s17, s17, s21
	;; [unrolled: 1-line block ×3, first 2 shown]
	s_cmp_ge_i32 s14, s35
	s_cbranch_scc1 .LBB17_30
.LBB17_17:                              ;   Parent Loop BB17_5 Depth=1
                                        ;     Parent Loop BB17_14 Depth=2
                                        ; =>    This Loop Header: Depth=3
                                        ;         Child Loop BB17_18 Depth 4
                                        ;         Child Loop BB17_21 Depth 4
                                        ;           Child Loop BB17_22 Depth 5
                                        ;         Child Loop BB17_27 Depth 4
                                        ;           Child Loop BB17_29 Depth 5
	v_dual_mov_b32 v41, v39 :: v_dual_mov_b32 v40, v38
	s_mov_b64 s[24:25], 0
.LBB17_18:                              ;   Parent Loop BB17_5 Depth=1
                                        ;     Parent Loop BB17_14 Depth=2
                                        ;       Parent Loop BB17_17 Depth=3
                                        ; =>      This Inner Loop Header: Depth=4
	flat_load_b32 v50, v[40:41]
	v_add_co_u32 v40, vcc_lo, v40, 4
	s_wait_alu 0xfffd
	v_add_co_ci_u32_e64 v41, null, 0, v41, vcc_lo
	s_wait_alu 0xfffe
	s_mov_b32 m0, s24
	s_add_nc_u64 s[24:25], s[24:25], 1
	s_wait_alu 0xfffe
	s_cmp_eq_u32 s41, s24
	s_wait_loadcnt_dscnt 0x0
	v_mul_f32_e32 v50, s34, v50
	s_delay_alu instid0(VALU_DEP_1)
	v_movreld_b32_e32 v18, v50
	s_cbranch_scc0 .LBB17_18
; %bb.19:                               ;   in Loop: Header=BB17_17 Depth=3
	s_cmp_lt_i32 s16, 1
	s_cbranch_scc1 .LBB17_24
; %bb.20:                               ;   in Loop: Header=BB17_17 Depth=3
	s_mov_b32 s14, 0
	s_mov_b32 s26, s17
.LBB17_21:                              ;   Parent Loop BB17_5 Depth=1
                                        ;     Parent Loop BB17_14 Depth=2
                                        ;       Parent Loop BB17_17 Depth=3
                                        ; =>      This Loop Header: Depth=4
                                        ;           Child Loop BB17_22 Depth 5
	s_lshl_b64 s[24:25], s[14:15], 2
	s_wait_alu 0xfffe
	s_mov_b32 s27, s26
	v_add_co_u32 v40, vcc_lo, v46, s24
	s_wait_alu 0xfffd
	v_add_co_ci_u32_e64 v41, null, s25, v47, vcc_lo
	s_mov_b64 s[24:25], 0
	flat_load_b32 v40, v[40:41]
.LBB17_22:                              ;   Parent Loop BB17_5 Depth=1
                                        ;     Parent Loop BB17_14 Depth=2
                                        ;       Parent Loop BB17_17 Depth=3
                                        ;         Parent Loop BB17_21 Depth=4
                                        ; =>        This Inner Loop Header: Depth=5
	s_wait_alu 0xfffe
	v_mov_b32_e32 v41, s27
	s_mov_b32 m0, s24
	s_add_nc_u64 s[24:25], s[24:25], 1
	v_movrels_b32_e32 v50, v18
	s_add_co_i32 s27, s27, 64
	ds_load_b32 v41, v41
	s_wait_alu 0xfffe
	s_cmp_eq_u32 s41, s24
	s_wait_loadcnt_dscnt 0x0
	v_fma_f32 v41, -v40, v41, v50
	s_delay_alu instid0(VALU_DEP_1)
	v_movreld_b32_e32 v18, v41
	s_cbranch_scc0 .LBB17_22
; %bb.23:                               ;   in Loop: Header=BB17_21 Depth=4
	s_add_co_i32 s14, s14, 1
	s_add_co_i32 s26, s26, 4
	s_cmp_eq_u32 s14, s16
	s_cbranch_scc0 .LBB17_21
.LBB17_24:                              ;   in Loop: Header=BB17_17 Depth=3
	s_mov_b64 s[24:25], 0
	s_mov_b32 s14, s42
	s_branch .LBB17_27
.LBB17_25:                              ;   in Loop: Header=BB17_27 Depth=4
	s_mov_b32 s26, s16
	s_mov_b64 s[28:29], 0
.LBB17_26:                              ;   in Loop: Header=BB17_27 Depth=4
	s_wait_alu 0xfffe
	s_mul_i32 s27, s26, 0x44
	s_mov_b32 m0, s28
	s_wait_alu 0xfffe
	v_mov_b32_e32 v40, s27
	v_movrels_b32_e32 v41, v18
	s_ashr_i32 s27, s26, 31
	s_add_nc_u64 s[24:25], s[24:25], 1
	s_wait_alu 0xfffe
	s_lshl_b64 s[26:27], s[26:27], 2
	ds_load_b32 v40, v40
	s_add_co_i32 s14, s14, 64
	s_cmp_eq_u32 s24, s41
	s_wait_dscnt 0x0
	v_mul_f32_e32 v50, v41, v40
	s_wait_alu 0xfffe
	v_add_co_u32 v40, vcc_lo, v46, s26
	s_wait_alu 0xfffd
	v_add_co_ci_u32_e64 v41, null, s27, v47, vcc_lo
	v_movreld_b32_e32 v18, v50
	flat_store_b32 v[40:41], v50
	s_cbranch_scc1 .LBB17_16
.LBB17_27:                              ;   Parent Loop BB17_5 Depth=1
                                        ;     Parent Loop BB17_14 Depth=2
                                        ;       Parent Loop BB17_17 Depth=3
                                        ; =>      This Loop Header: Depth=4
                                        ;           Child Loop BB17_29 Depth 5
	s_wait_alu 0xfffe
	s_cmp_eq_u32 s24, 0
	s_cbranch_scc1 .LBB17_25
; %bb.28:                               ;   in Loop: Header=BB17_27 Depth=4
	s_add_co_i32 s26, s24, s16
	s_mov_b64 s[30:31], 0
	s_mov_b64 s[28:29], s[24:25]
	s_mov_b32 s27, s14
.LBB17_29:                              ;   Parent Loop BB17_5 Depth=1
                                        ;     Parent Loop BB17_14 Depth=2
                                        ;       Parent Loop BB17_17 Depth=3
                                        ;         Parent Loop BB17_27 Depth=4
                                        ; =>        This Inner Loop Header: Depth=5
	s_wait_alu 0xfffe
	v_mov_b32_e32 v40, s27
	s_mov_b32 m0, s30
	s_add_nc_u64 s[30:31], s[30:31], 1
	v_movrels_b32_e32 v41, v18
	s_mov_b32 m0, s24
	ds_load_b32 v40, v40
	v_movrels_b32_e32 v50, v18
	s_add_co_i32 s27, s27, 4
	s_cmp_eq_u32 s24, s30
	s_wait_dscnt 0x0
	s_delay_alu instid0(VALU_DEP_1) | instskip(NEXT) | instid1(VALU_DEP_1)
	v_fma_f32 v40, -v41, v40, v50
	v_movreld_b32_e32 v18, v40
	s_cbranch_scc0 .LBB17_29
	s_branch .LBB17_26
.LBB17_30:                              ;   in Loop: Header=BB17_14 Depth=2
	s_cmp_lt_i32 s16, s35
	s_cselect_b32 s17, -1, 0
	s_add_co_i32 s14, s18, 1
	s_cmp_lt_u32 s18, 2
	s_cselect_b32 s18, -1, 0
	s_wait_alu 0xfffe
	s_and_b32 s17, s17, s18
	s_delay_alu instid0(SALU_CYCLE_1)
	s_and_b32 vcc_lo, exec_lo, s17
	s_wait_alu 0xfffe
	s_cbranch_vccz .LBB17_32
; %bb.31:                               ;   in Loop: Header=BB17_14 Depth=2
	s_mov_b32 s18, s14
	s_branch .LBB17_14
.LBB17_32:                              ;   in Loop: Header=BB17_5 Depth=1
	s_mov_b32 s14, 0
.LBB17_33:                              ;   in Loop: Header=BB17_5 Depth=1
	s_delay_alu instid0(SALU_CYCLE_1)
	s_and_b32 vcc_lo, exec_lo, s14
	s_wait_alu 0xfffe
	s_cbranch_vccz .LBB17_3
; %bb.34:                               ;   in Loop: Header=BB17_5 Depth=1
	v_add_co_u32 v20, vcc_lo, v36, v43
	s_wait_alu 0xfffd
	v_add_co_ci_u32_e64 v21, null, v37, v44, vcc_lo
	s_mov_b32 s14, 0
	s_mov_b32 s16, s36
.LBB17_35:                              ;   Parent Loop BB17_5 Depth=1
                                        ; =>  This Loop Header: Depth=2
                                        ;       Child Loop BB17_38 Depth 3
                                        ;         Child Loop BB17_39 Depth 4
                                        ;         Child Loop BB17_41 Depth 4
                                        ;           Child Loop BB17_42 Depth 5
                                        ;         Child Loop BB17_47 Depth 4
                                        ;           Child Loop BB17_49 Depth 5
	s_getpc_b64 s[18:19]
	s_wait_alu 0xfffe
	s_sext_i32_i16 s19, s19
	s_add_co_u32 s18, s18, __const._ZL30rocblas_trsm_small_left_deviceILi16ELi16ELb0EffPKPKfPKPfEv13rocblas_fill_18rocblas_operation_17rocblas_diagonal_iiT3_T4_lilT5_lili.step_sizes@rel32@lo+12
	s_wait_alu 0xfffe
	s_add_co_ci_u32 s19, s19, __const._ZL30rocblas_trsm_small_left_deviceILi16ELi16ELb0EffPKPKfPKPfEv13rocblas_fill_18rocblas_operation_17rocblas_diagonal_iiT3_T4_lilT5_lili.step_sizes@rel32@hi+24
	s_lshl_b64 s[20:21], s[14:15], 2
	s_wait_alu 0xfffe
	s_add_nc_u64 s[18:19], s[18:19], s[20:21]
	s_load_b32 s26, s[18:19], 0x0
	s_wait_kmcnt 0x0
	s_add_co_i32 s27, s26, -1
	s_wait_alu 0xfffe
	s_cmp_lt_i32 s16, s27
	s_cbranch_scc1 .LBB17_51
; %bb.36:                               ;   in Loop: Header=BB17_35 Depth=2
	s_lshl_b32 s17, s16, 2
	s_lshl_b32 s18, s26, 2
	s_max_i32 s28, s26, 1
	s_add_co_i32 s29, s39, s17
	s_wait_alu 0xfffe
	s_sub_co_i32 s30, 0, s18
	s_mul_i32 s31, s16, 0x44
	s_mul_i32 s41, s26, 0xffffffbc
	s_branch .LBB17_38
.LBB17_37:                              ;   in Loop: Header=BB17_38 Depth=3
	s_sub_co_i32 s16, s16, s26
	s_add_co_i32 s29, s29, s30
	s_add_co_i32 s31, s31, s41
	s_cmp_lt_i32 s16, s27
	s_cbranch_scc1 .LBB17_51
.LBB17_38:                              ;   Parent Loop BB17_5 Depth=1
                                        ;     Parent Loop BB17_35 Depth=2
                                        ; =>    This Loop Header: Depth=3
                                        ;         Child Loop BB17_39 Depth 4
                                        ;         Child Loop BB17_41 Depth 4
                                        ;           Child Loop BB17_42 Depth 5
                                        ;         Child Loop BB17_47 Depth 4
                                        ;           Child Loop BB17_49 Depth 5
	s_ashr_i32 s17, s16, 31
	s_delay_alu instid0(SALU_CYCLE_1)
	s_lshl_b64 s[18:19], s[16:17], 2
	s_wait_alu 0xfffe
	v_add_co_u32 v18, vcc_lo, v20, s18
	s_wait_alu 0xfffd
	v_add_co_ci_u32_e64 v19, null, s19, v21, vcc_lo
	s_mov_b64 s[18:19], 0
.LBB17_39:                              ;   Parent Loop BB17_5 Depth=1
                                        ;     Parent Loop BB17_35 Depth=2
                                        ;       Parent Loop BB17_38 Depth=3
                                        ; =>      This Inner Loop Header: Depth=4
	flat_load_b32 v22, v[18:19]
	v_add_co_u32 v18, vcc_lo, v18, -4
	s_wait_alu 0xfffd
	v_add_co_ci_u32_e64 v19, null, -1, v19, vcc_lo
	s_wait_alu 0xfffe
	s_mov_b32 m0, s18
	s_add_nc_u64 s[18:19], s[18:19], 1
	s_wait_alu 0xfffe
	s_cmp_eq_u32 s28, s18
	s_wait_loadcnt_dscnt 0x0
	v_mul_f32_e32 v22, s34, v22
	s_delay_alu instid0(VALU_DEP_1)
	v_movreld_b32_e32 v2, v22
	s_cbranch_scc0 .LBB17_39
; %bb.40:                               ;   in Loop: Header=BB17_38 Depth=3
	s_cmp_le_i32 s36, s16
	s_mov_b32 s22, s29
	s_mov_b32 s18, s36
	s_cbranch_scc1 .LBB17_44
.LBB17_41:                              ;   Parent Loop BB17_5 Depth=1
                                        ;     Parent Loop BB17_35 Depth=2
                                        ;       Parent Loop BB17_38 Depth=3
                                        ; =>      This Loop Header: Depth=4
                                        ;           Child Loop BB17_42 Depth 5
	s_wait_alu 0xfffe
	s_ashr_i32 s19, s18, 31
	s_wait_alu 0xfffe
	s_lshl_b64 s[20:21], s[18:19], 2
	s_mov_b32 s19, s22
	s_wait_alu 0xfffe
	v_add_co_u32 v18, vcc_lo, v46, s20
	s_wait_alu 0xfffd
	v_add_co_ci_u32_e64 v19, null, s21, v47, vcc_lo
	s_mov_b64 s[20:21], 0
	flat_load_b32 v18, v[18:19]
.LBB17_42:                              ;   Parent Loop BB17_5 Depth=1
                                        ;     Parent Loop BB17_35 Depth=2
                                        ;       Parent Loop BB17_38 Depth=3
                                        ;         Parent Loop BB17_41 Depth=4
                                        ; =>        This Inner Loop Header: Depth=5
	s_wait_alu 0xfffe
	v_mov_b32_e32 v19, s19
	s_mov_b32 m0, s20
	s_add_nc_u64 s[20:21], s[20:21], 1
	v_movrels_b32_e32 v22, v2
	s_add_co_i32 s19, s19, -4
	ds_load_b32 v19, v19
	s_wait_alu 0xfffe
	s_cmp_eq_u32 s28, s20
	s_wait_loadcnt_dscnt 0x0
	v_fma_f32 v19, -v18, v19, v22
	s_delay_alu instid0(VALU_DEP_1)
	v_movreld_b32_e32 v2, v19
	s_cbranch_scc0 .LBB17_42
; %bb.43:                               ;   in Loop: Header=BB17_41 Depth=4
	s_add_co_i32 s18, s18, -1
	s_sub_co_i32 s22, s22, 64
	s_wait_alu 0xfffe
	s_cmp_le_i32 s18, s16
	s_cbranch_scc0 .LBB17_41
.LBB17_44:                              ;   in Loop: Header=BB17_38 Depth=3
	s_mov_b64 s[18:19], 0
	s_mov_b32 s42, s31
	s_branch .LBB17_47
.LBB17_45:                              ;   in Loop: Header=BB17_47 Depth=4
	s_mov_b32 s20, s16
	s_mov_b64 s[24:25], 0
	s_mov_b64 s[22:23], s[16:17]
.LBB17_46:                              ;   in Loop: Header=BB17_47 Depth=4
	s_wait_alu 0xfffe
	s_mulk_i32 s20, 0x44
	s_mov_b32 m0, s24
	s_wait_alu 0xfffe
	v_mov_b32_e32 v18, s20
	v_movrels_b32_e32 v19, v2
	s_lshl_b64 s[20:21], s[22:23], 2
	s_add_nc_u64 s[18:19], s[18:19], 1
	s_add_co_i32 s42, s42, -4
	ds_load_b32 v18, v18
	s_wait_alu 0xfffe
	s_cmp_eq_u32 s18, s28
	s_wait_dscnt 0x0
	v_mul_f32_e32 v22, v19, v18
	v_add_co_u32 v18, vcc_lo, v46, s20
	s_wait_alu 0xfffd
	v_add_co_ci_u32_e64 v19, null, s21, v47, vcc_lo
	s_delay_alu instid0(VALU_DEP_3)
	v_movreld_b32_e32 v2, v22
	flat_store_b32 v[18:19], v22
	s_cbranch_scc1 .LBB17_37
.LBB17_47:                              ;   Parent Loop BB17_5 Depth=1
                                        ;     Parent Loop BB17_35 Depth=2
                                        ;       Parent Loop BB17_38 Depth=3
                                        ; =>      This Loop Header: Depth=4
                                        ;           Child Loop BB17_49 Depth 5
	s_wait_alu 0xfffe
	s_cmp_eq_u32 s18, 0
	s_cbranch_scc1 .LBB17_45
; %bb.48:                               ;   in Loop: Header=BB17_47 Depth=4
	s_mov_b64 s[20:21], 0
	s_mov_b32 s22, s42
.LBB17_49:                              ;   Parent Loop BB17_5 Depth=1
                                        ;     Parent Loop BB17_35 Depth=2
                                        ;       Parent Loop BB17_38 Depth=3
                                        ;         Parent Loop BB17_47 Depth=4
                                        ; =>        This Inner Loop Header: Depth=5
	s_wait_alu 0xfffe
	v_mov_b32_e32 v18, s22
	s_mov_b32 m0, s20
	s_add_nc_u64 s[20:21], s[20:21], 1
	v_movrels_b32_e32 v19, v2
	s_mov_b32 m0, s18
	ds_load_b32 v18, v18
	v_movrels_b32_e32 v22, v2
	s_sub_co_i32 s22, s22, 64
	s_wait_alu 0xfffe
	s_cmp_eq_u32 s18, s20
	s_wait_dscnt 0x0
	v_fma_f32 v18, -v19, v18, v22
	s_delay_alu instid0(VALU_DEP_1)
	v_movreld_b32_e32 v2, v18
	s_cbranch_scc0 .LBB17_49
; %bb.50:                               ;   in Loop: Header=BB17_47 Depth=4
	s_sub_co_i32 s20, s16, s18
	s_mov_b64 s[24:25], s[18:19]
	s_wait_alu 0xfffe
	s_ashr_i32 s21, s20, 31
	s_wait_alu 0xfffe
	s_mov_b64 s[22:23], s[20:21]
	s_branch .LBB17_46
.LBB17_51:                              ;   in Loop: Header=BB17_35 Depth=2
	s_cmp_gt_i32 s16, -1
	s_cselect_b32 s18, -1, 0
	s_add_co_i32 s17, s14, 1
	s_cmp_lt_u32 s14, 2
	s_cselect_b32 s14, -1, 0
	s_wait_alu 0xfffe
	s_and_b32 s14, s18, s14
	s_delay_alu instid0(SALU_CYCLE_1)
	s_and_not1_b32 vcc_lo, exec_lo, s14
	s_wait_alu 0xfffe
	s_cbranch_vccnz .LBB17_2
; %bb.52:                               ;   in Loop: Header=BB17_35 Depth=2
	s_mov_b32 s14, s17
	s_branch .LBB17_35
.LBB17_53:
	s_endpgm
	.section	.rodata,"a",@progbits
	.p2align	6, 0x0
	.amdhsa_kernel _ZL30rocblas_trsm_small_left_deviceILi16ELi16ELb0EffPKPKfPKPfEv13rocblas_fill_18rocblas_operation_17rocblas_diagonal_iiT3_T4_lilT5_lili
		.amdhsa_group_segment_fixed_size 1024
		.amdhsa_private_segment_fixed_size 0
		.amdhsa_kernarg_size 352
		.amdhsa_user_sgpr_count 2
		.amdhsa_user_sgpr_dispatch_ptr 0
		.amdhsa_user_sgpr_queue_ptr 0
		.amdhsa_user_sgpr_kernarg_segment_ptr 1
		.amdhsa_user_sgpr_dispatch_id 0
		.amdhsa_user_sgpr_private_segment_size 0
		.amdhsa_wavefront_size32 1
		.amdhsa_uses_dynamic_stack 0
		.amdhsa_enable_private_segment 0
		.amdhsa_system_sgpr_workgroup_id_x 1
		.amdhsa_system_sgpr_workgroup_id_y 0
		.amdhsa_system_sgpr_workgroup_id_z 1
		.amdhsa_system_sgpr_workgroup_info 0
		.amdhsa_system_vgpr_workitem_id 0
		.amdhsa_next_free_vgpr 51
		.amdhsa_next_free_sgpr 44
		.amdhsa_reserve_vcc 1
		.amdhsa_float_round_mode_32 0
		.amdhsa_float_round_mode_16_64 0
		.amdhsa_float_denorm_mode_32 3
		.amdhsa_float_denorm_mode_16_64 3
		.amdhsa_fp16_overflow 0
		.amdhsa_workgroup_processor_mode 1
		.amdhsa_memory_ordered 1
		.amdhsa_forward_progress 1
		.amdhsa_inst_pref_size 20
		.amdhsa_round_robin_scheduling 0
		.amdhsa_exception_fp_ieee_invalid_op 0
		.amdhsa_exception_fp_denorm_src 0
		.amdhsa_exception_fp_ieee_div_zero 0
		.amdhsa_exception_fp_ieee_overflow 0
		.amdhsa_exception_fp_ieee_underflow 0
		.amdhsa_exception_fp_ieee_inexact 0
		.amdhsa_exception_int_div_zero 0
	.end_amdhsa_kernel
	.section	.text._ZL30rocblas_trsm_small_left_deviceILi16ELi16ELb0EffPKPKfPKPfEv13rocblas_fill_18rocblas_operation_17rocblas_diagonal_iiT3_T4_lilT5_lili,"axG",@progbits,_ZL30rocblas_trsm_small_left_deviceILi16ELi16ELb0EffPKPKfPKPfEv13rocblas_fill_18rocblas_operation_17rocblas_diagonal_iiT3_T4_lilT5_lili,comdat
.Lfunc_end17:
	.size	_ZL30rocblas_trsm_small_left_deviceILi16ELi16ELb0EffPKPKfPKPfEv13rocblas_fill_18rocblas_operation_17rocblas_diagonal_iiT3_T4_lilT5_lili, .Lfunc_end17-_ZL30rocblas_trsm_small_left_deviceILi16ELi16ELb0EffPKPKfPKPfEv13rocblas_fill_18rocblas_operation_17rocblas_diagonal_iiT3_T4_lilT5_lili
                                        ; -- End function
	.set _ZL30rocblas_trsm_small_left_deviceILi16ELi16ELb0EffPKPKfPKPfEv13rocblas_fill_18rocblas_operation_17rocblas_diagonal_iiT3_T4_lilT5_lili.num_vgpr, 51
	.set _ZL30rocblas_trsm_small_left_deviceILi16ELi16ELb0EffPKPKfPKPfEv13rocblas_fill_18rocblas_operation_17rocblas_diagonal_iiT3_T4_lilT5_lili.num_agpr, 0
	.set _ZL30rocblas_trsm_small_left_deviceILi16ELi16ELb0EffPKPKfPKPfEv13rocblas_fill_18rocblas_operation_17rocblas_diagonal_iiT3_T4_lilT5_lili.numbered_sgpr, 44
	.set _ZL30rocblas_trsm_small_left_deviceILi16ELi16ELb0EffPKPKfPKPfEv13rocblas_fill_18rocblas_operation_17rocblas_diagonal_iiT3_T4_lilT5_lili.num_named_barrier, 0
	.set _ZL30rocblas_trsm_small_left_deviceILi16ELi16ELb0EffPKPKfPKPfEv13rocblas_fill_18rocblas_operation_17rocblas_diagonal_iiT3_T4_lilT5_lili.private_seg_size, 0
	.set _ZL30rocblas_trsm_small_left_deviceILi16ELi16ELb0EffPKPKfPKPfEv13rocblas_fill_18rocblas_operation_17rocblas_diagonal_iiT3_T4_lilT5_lili.uses_vcc, 1
	.set _ZL30rocblas_trsm_small_left_deviceILi16ELi16ELb0EffPKPKfPKPfEv13rocblas_fill_18rocblas_operation_17rocblas_diagonal_iiT3_T4_lilT5_lili.uses_flat_scratch, 0
	.set _ZL30rocblas_trsm_small_left_deviceILi16ELi16ELb0EffPKPKfPKPfEv13rocblas_fill_18rocblas_operation_17rocblas_diagonal_iiT3_T4_lilT5_lili.has_dyn_sized_stack, 0
	.set _ZL30rocblas_trsm_small_left_deviceILi16ELi16ELb0EffPKPKfPKPfEv13rocblas_fill_18rocblas_operation_17rocblas_diagonal_iiT3_T4_lilT5_lili.has_recursion, 0
	.set _ZL30rocblas_trsm_small_left_deviceILi16ELi16ELb0EffPKPKfPKPfEv13rocblas_fill_18rocblas_operation_17rocblas_diagonal_iiT3_T4_lilT5_lili.has_indirect_call, 0
	.section	.AMDGPU.csdata,"",@progbits
; Kernel info:
; codeLenInByte = 2512
; TotalNumSgprs: 46
; NumVgprs: 51
; ScratchSize: 0
; MemoryBound: 0
; FloatMode: 240
; IeeeMode: 1
; LDSByteSize: 1024 bytes/workgroup (compile time only)
; SGPRBlocks: 0
; VGPRBlocks: 6
; NumSGPRsForWavesPerEU: 46
; NumVGPRsForWavesPerEU: 51
; Occupancy: 16
; WaveLimiterHint : 1
; COMPUTE_PGM_RSRC2:SCRATCH_EN: 0
; COMPUTE_PGM_RSRC2:USER_SGPR: 2
; COMPUTE_PGM_RSRC2:TRAP_HANDLER: 0
; COMPUTE_PGM_RSRC2:TGID_X_EN: 1
; COMPUTE_PGM_RSRC2:TGID_Y_EN: 0
; COMPUTE_PGM_RSRC2:TGID_Z_EN: 1
; COMPUTE_PGM_RSRC2:TIDIG_COMP_CNT: 0
	.section	.text._ZL38rocblas_trsm_small_left_device_sharedBILi16ELi16ELb1EffPKPKfPKPfEv13rocblas_fill_18rocblas_operation_17rocblas_diagonal_iiT3_T4_lilT5_lili,"axG",@progbits,_ZL38rocblas_trsm_small_left_device_sharedBILi16ELi16ELb1EffPKPKfPKPfEv13rocblas_fill_18rocblas_operation_17rocblas_diagonal_iiT3_T4_lilT5_lili,comdat
	.globl	_ZL38rocblas_trsm_small_left_device_sharedBILi16ELi16ELb1EffPKPKfPKPfEv13rocblas_fill_18rocblas_operation_17rocblas_diagonal_iiT3_T4_lilT5_lili ; -- Begin function _ZL38rocblas_trsm_small_left_device_sharedBILi16ELi16ELb1EffPKPKfPKPfEv13rocblas_fill_18rocblas_operation_17rocblas_diagonal_iiT3_T4_lilT5_lili
	.p2align	8
	.type	_ZL38rocblas_trsm_small_left_device_sharedBILi16ELi16ELb1EffPKPKfPKPfEv13rocblas_fill_18rocblas_operation_17rocblas_diagonal_iiT3_T4_lilT5_lili,@function
_ZL38rocblas_trsm_small_left_device_sharedBILi16ELi16ELb1EffPKPKfPKPfEv13rocblas_fill_18rocblas_operation_17rocblas_diagonal_iiT3_T4_lilT5_lili: ; @_ZL38rocblas_trsm_small_left_device_sharedBILi16ELi16ELb1EffPKPKfPKPfEv13rocblas_fill_18rocblas_operation_17rocblas_diagonal_iiT3_T4_lilT5_lili
; %bb.0:
	s_load_b32 s24, s[0:1], 0x58
	s_lshr_b32 s2, ttmp7, 16
	s_wait_kmcnt 0x0
	s_cmp_ge_u32 s2, s24
	s_cbranch_scc1 .LBB18_56
; %bb.1:
	s_clause 0x6
	s_load_b32 s18, s[0:1], 0x28
	s_load_b32 s20, s[0:1], 0x48
	s_load_b128 s[12:15], s[0:1], 0x4
	s_load_b32 s3, s[0:1], 0x60
	s_load_b128 s[4:7], s[0:1], 0x18
	s_load_b128 s[8:11], s[0:1], 0x38
	s_load_b32 s1, s[0:1], 0x14
	v_dual_mov_b32 v1, 0 :: v_dual_lshlrev_b32 v36, 2, v0
	s_lshl_b32 s22, ttmp9, 4
	v_lshlrev_b32_e32 v19, 6, v0
	s_mov_b32 s17, 0
	s_delay_alu instid0(VALU_DEP_2)
	v_or_b32_e32 v37, 0x400, v36
	v_dual_mov_b32 v15, v1 :: v_dual_mov_b32 v16, v1
	v_dual_mov_b32 v2, v1 :: v_dual_mov_b32 v3, v1
	;; [unrolled: 1-line block ×3, first 2 shown]
	v_mov_b32_e32 v6, v1
	s_wait_kmcnt 0x0
	s_ashr_i32 s19, s18, 31
	s_ashr_i32 s21, s20, 31
	s_min_i32 s25, s14, 16
	s_add_co_i32 s3, s3, -1
	s_sub_co_i32 s0, s15, s22
	s_add_co_i32 s26, s25, -1
	v_mad_co_i64_i32 v[17:18], null, s20, v0, 0
	s_cmp_ge_u32 ttmp9, s3
	v_dual_mov_b32 v7, v1 :: v_dual_mov_b32 v8, v1
	s_cselect_b32 s3, s0, 16
	s_ashr_i32 s23, s22, 31
	s_cmp_lg_u32 s13, 0x84
	v_cmp_gt_i32_e32 vcc_lo, s3, v0
	s_cselect_b32 s27, -1, 0
	s_cmp_gt_i32 s14, 0
	v_dual_mov_b32 v9, v1 :: v_dual_mov_b32 v10, v1
	v_dual_mov_b32 v11, v1 :: v_dual_mov_b32 v12, v1
	;; [unrolled: 1-line block ×3, first 2 shown]
	v_cmp_gt_i32_e64 s0, s25, v0
	s_cselect_b32 s3, -1, 0
	s_cmp_lg_u32 s12, 0x6f
	v_lshlrev_b32_e32 v0, 2, v0
	v_lshlrev_b64_e32 v[34:35], 2, v[17:18]
	v_mov_b32_e32 v17, v16
	v_mov_b32_e32 v16, v15
	v_dual_mov_b32 v15, v14 :: v_dual_add_nc_u32 v38, v36, v19
	v_mov_b32_e32 v14, v13
	v_mov_b32_e32 v13, v12
	;; [unrolled: 1-line block ×13, first 2 shown]
	s_mul_u64 s[14:15], s[20:21], s[22:23]
	s_cselect_b32 s28, -1, 0
	s_lshl_b32 s30, s25, 2
	s_wait_alu 0xfffe
	s_and_b32 s29, vcc_lo, s3
	s_lshl_b64 s[12:13], s[18:19], 2
	s_add_co_i32 s30, s30, -4
	s_lshl_b64 s[6:7], s[6:7], 2
	s_lshl_b64 s[10:11], s[10:11], 2
	s_lshl_b64 s[14:15], s[14:15], 2
	s_branch .LBB18_3
.LBB18_2:                               ;   in Loop: Header=BB18_3 Depth=1
	s_wait_alu 0xfffe
	s_or_b32 exec_lo, exec_lo, s3
	v_dual_mov_b32 v2, v18 :: v_dual_mov_b32 v3, v19
	v_dual_mov_b32 v4, v20 :: v_dual_mov_b32 v5, v21
	;; [unrolled: 1-line block ×8, first 2 shown]
	s_add_co_i32 s2, s2, 0x10000
	s_wait_alu 0xfffe
	s_cmp_lt_u32 s2, s24
	s_cbranch_scc0 .LBB18_56
.LBB18_3:                               ; =>This Loop Header: Depth=1
                                        ;     Child Loop BB18_5 Depth 2
                                        ;     Child Loop BB18_11 Depth 2
	;; [unrolled: 1-line block ×3, first 2 shown]
                                        ;       Child Loop BB18_17 Depth 3
                                        ;         Child Loop BB18_18 Depth 4
                                        ;         Child Loop BB18_20 Depth 4
                                        ;           Child Loop BB18_21 Depth 5
                                        ;         Child Loop BB18_26 Depth 4
                                        ;           Child Loop BB18_28 Depth 5
                                        ;     Child Loop BB18_34 Depth 2
                                        ;       Child Loop BB18_37 Depth 3
                                        ;         Child Loop BB18_38 Depth 4
                                        ;         Child Loop BB18_41 Depth 4
                                        ;           Child Loop BB18_42 Depth 5
                                        ;         Child Loop BB18_47 Depth 4
                                        ;           Child Loop BB18_49 Depth 5
                                        ;     Child Loop BB18_55 Depth 2
	s_mov_b32 s3, s17
	s_wait_alu 0xfffe
	s_lshl_b64 s[18:19], s[2:3], 3
	s_wait_alu 0xfffe
	s_add_nc_u64 s[20:21], s[8:9], s[18:19]
	global_load_b64 v[18:19], v1, s[20:21]
	s_and_saveexec_b32 s3, s0
	s_cbranch_execz .LBB18_9
; %bb.4:                                ;   in Loop: Header=BB18_3 Depth=1
	s_add_nc_u64 s[18:19], s[4:5], s[18:19]
	v_mov_b32_e32 v22, v36
	global_load_b64 v[20:21], v1, s[18:19]
	s_mov_b32 s16, s25
	s_wait_loadcnt 0x0
	v_add_co_u32 v20, vcc_lo, v20, s6
	s_wait_alu 0xfffd
	v_add_co_ci_u32_e64 v21, null, s7, v21, vcc_lo
	s_delay_alu instid0(VALU_DEP_2) | instskip(SKIP_1) | instid1(VALU_DEP_2)
	v_add_co_u32 v20, vcc_lo, v20, v0
	s_wait_alu 0xfffd
	v_add_co_ci_u32_e64 v21, null, 0, v21, vcc_lo
.LBB18_5:                               ;   Parent Loop BB18_3 Depth=1
                                        ; =>  This Inner Loop Header: Depth=2
	flat_load_b32 v23, v[20:21]
	v_add_co_u32 v20, vcc_lo, v20, s12
	s_wait_alu 0xfffd
	v_add_co_ci_u32_e64 v21, null, s13, v21, vcc_lo
	s_add_co_i32 s16, s16, -1
	s_delay_alu instid0(SALU_CYCLE_1)
	s_cmp_eq_u32 s16, 0
	s_wait_loadcnt_dscnt 0x0
	ds_store_b32 v22, v23
	v_add_nc_u32_e32 v22, 64, v22
	s_cbranch_scc0 .LBB18_5
; %bb.6:                                ;   in Loop: Header=BB18_3 Depth=1
	v_mov_b32_e32 v20, 1.0
	s_and_b32 vcc_lo, exec_lo, s27
	s_wait_alu 0xfffe
	s_cbranch_vccz .LBB18_8
; %bb.7:                                ;   in Loop: Header=BB18_3 Depth=1
	ds_load_b32 v20, v38
	s_wait_dscnt 0x0
	v_div_scale_f32 v21, null, v20, v20, 1.0
	s_delay_alu instid0(VALU_DEP_1) | instskip(NEXT) | instid1(TRANS32_DEP_1)
	v_rcp_f32_e32 v22, v21
	v_fma_f32 v23, -v21, v22, 1.0
	s_delay_alu instid0(VALU_DEP_1) | instskip(SKIP_1) | instid1(VALU_DEP_1)
	v_fmac_f32_e32 v22, v23, v22
	v_div_scale_f32 v23, vcc_lo, 1.0, v20, 1.0
	v_mul_f32_e32 v24, v23, v22
	s_delay_alu instid0(VALU_DEP_1) | instskip(NEXT) | instid1(VALU_DEP_1)
	v_fma_f32 v25, -v21, v24, v23
	v_fmac_f32_e32 v24, v25, v22
	s_delay_alu instid0(VALU_DEP_1) | instskip(SKIP_1) | instid1(VALU_DEP_1)
	v_fma_f32 v21, -v21, v24, v23
	s_wait_alu 0xfffd
	v_div_fmas_f32 v21, v21, v22, v24
	s_delay_alu instid0(VALU_DEP_1)
	v_div_fixup_f32 v20, v21, v20, 1.0
.LBB18_8:                               ;   in Loop: Header=BB18_3 Depth=1
	ds_store_b32 v38, v20
.LBB18_9:                               ;   in Loop: Header=BB18_3 Depth=1
	s_wait_alu 0xfffe
	s_or_b32 exec_lo, exec_lo, s3
	s_wait_loadcnt 0x0
	v_add_co_u32 v18, vcc_lo, v18, s10
	s_wait_alu 0xfffd
	v_add_co_ci_u32_e64 v19, null, s11, v19, vcc_lo
	s_delay_alu instid0(VALU_DEP_2) | instskip(SKIP_1) | instid1(VALU_DEP_2)
	v_add_co_u32 v39, vcc_lo, v18, s14
	s_wait_alu 0xfffd
	v_add_co_ci_u32_e64 v40, null, s15, v19, vcc_lo
	s_and_saveexec_b32 s3, s29
	s_cbranch_execz .LBB18_12
; %bb.10:                               ;   in Loop: Header=BB18_3 Depth=1
	v_add_co_u32 v18, vcc_lo, v39, v34
	s_wait_alu 0xfffd
	v_add_co_ci_u32_e64 v19, null, v40, v35, vcc_lo
	v_mov_b32_e32 v20, v37
	s_mov_b32 s16, s25
.LBB18_11:                              ;   Parent Loop BB18_3 Depth=1
                                        ; =>  This Inner Loop Header: Depth=2
	flat_load_b32 v21, v[18:19]
	v_add_co_u32 v18, vcc_lo, v18, 4
	s_wait_alu 0xfffd
	v_add_co_ci_u32_e64 v19, null, 0, v19, vcc_lo
	s_add_co_i32 s16, s16, -1
	s_delay_alu instid0(SALU_CYCLE_1)
	s_cmp_lg_u32 s16, 0
	s_wait_loadcnt_dscnt 0x0
	v_mul_f32_e32 v21, s1, v21
	ds_store_b32 v20, v21
	v_add_nc_u32_e32 v20, 64, v20
	s_cbranch_scc1 .LBB18_11
.LBB18_12:                              ;   in Loop: Header=BB18_3 Depth=1
	s_wait_alu 0xfffe
	s_or_b32 exec_lo, exec_lo, s3
	s_delay_alu instid0(SALU_CYCLE_1)
	s_and_not1_b32 vcc_lo, exec_lo, s28
	s_mov_b32 s3, -1
	s_wait_dscnt 0x0
	; wave barrier
	global_inv scope:SCOPE_SE
                                        ; implicit-def: $vgpr18_vgpr19_vgpr20_vgpr21_vgpr22_vgpr23_vgpr24_vgpr25_vgpr26_vgpr27_vgpr28_vgpr29_vgpr30_vgpr31_vgpr32_vgpr33
	s_wait_alu 0xfffe
	s_cbranch_vccnz .LBB18_32
; %bb.13:                               ;   in Loop: Header=BB18_3 Depth=1
	v_dual_mov_b32 v33, v17 :: v_dual_mov_b32 v32, v16
	v_dual_mov_b32 v31, v15 :: v_dual_mov_b32 v30, v14
	;; [unrolled: 1-line block ×8, first 2 shown]
	s_mov_b32 s16, 0
	s_mov_b32 s3, s26
.LBB18_14:                              ;   Parent Loop BB18_3 Depth=1
                                        ; =>  This Loop Header: Depth=2
                                        ;       Child Loop BB18_17 Depth 3
                                        ;         Child Loop BB18_18 Depth 4
                                        ;         Child Loop BB18_20 Depth 4
                                        ;           Child Loop BB18_21 Depth 5
                                        ;         Child Loop BB18_26 Depth 4
                                        ;           Child Loop BB18_28 Depth 5
	s_getpc_b64 s[18:19]
	s_wait_alu 0xfffe
	s_sext_i32_i16 s19, s19
	s_add_co_u32 s18, s18, __const._ZL38rocblas_trsm_small_left_device_sharedBILi16ELi16ELb1EffPKPKfPKPfEv13rocblas_fill_18rocblas_operation_17rocblas_diagonal_iiT3_T4_lilT5_lili.step_sizes@rel32@lo+12
	s_wait_alu 0xfffe
	s_add_co_ci_u32 s19, s19, __const._ZL38rocblas_trsm_small_left_device_sharedBILi16ELi16ELb1EffPKPKfPKPfEv13rocblas_fill_18rocblas_operation_17rocblas_diagonal_iiT3_T4_lilT5_lili.step_sizes@rel32@hi+24
	s_lshl_b64 s[20:21], s[16:17], 2
	s_wait_alu 0xfffe
	s_add_nc_u64 s[18:19], s[18:19], s[20:21]
	s_load_b32 s31, s[18:19], 0x0
	s_wait_kmcnt 0x0
	s_add_co_i32 s33, s31, -1
	s_wait_alu 0xfffe
	s_cmp_lt_i32 s3, s33
	s_cbranch_scc1 .LBB18_29
; %bb.15:                               ;   in Loop: Header=BB18_14 Depth=2
	s_lshl_b32 s18, s3, 6
	s_lshl_b32 s19, s31, 6
	s_wait_alu 0xfffe
	v_add_nc_u32_e32 v41, s18, v37
	s_max_i32 s34, s31, 1
	s_sub_co_i32 s35, 0, s19
	s_add_co_i32 s36, s30, s18
	s_mul_i32 s37, s3, 0x44
	s_mul_i32 s38, s31, 0xffffffbc
	s_branch .LBB18_17
.LBB18_16:                              ;   in Loop: Header=BB18_17 Depth=3
	v_add_nc_u32_e32 v41, s35, v41
	s_sub_co_i32 s3, s3, s31
	s_add_co_i32 s36, s36, s35
	s_add_co_i32 s37, s37, s38
	s_wait_alu 0xfffe
	s_cmp_lt_i32 s3, s33
	s_cbranch_scc1 .LBB18_29
.LBB18_17:                              ;   Parent Loop BB18_3 Depth=1
                                        ;     Parent Loop BB18_14 Depth=2
                                        ; =>    This Loop Header: Depth=3
                                        ;         Child Loop BB18_18 Depth 4
                                        ;         Child Loop BB18_20 Depth 4
                                        ;           Child Loop BB18_21 Depth 5
                                        ;         Child Loop BB18_26 Depth 4
                                        ;           Child Loop BB18_28 Depth 5
	v_mov_b32_e32 v42, v41
	s_mov_b64 s[18:19], 0
.LBB18_18:                              ;   Parent Loop BB18_3 Depth=1
                                        ;     Parent Loop BB18_14 Depth=2
                                        ;       Parent Loop BB18_17 Depth=3
                                        ; =>      This Inner Loop Header: Depth=4
	ds_load_b32 v43, v42
	v_subrev_nc_u32_e32 v42, 64, v42
	s_wait_alu 0xfffe
	s_mov_b32 m0, s18
	s_add_nc_u64 s[18:19], s[18:19], 1
	s_wait_alu 0xfffe
	s_cmp_eq_u32 s34, s18
	s_wait_dscnt 0x0
	v_movreld_b32_e32 v18, v43
	s_cbranch_scc0 .LBB18_18
; %bb.19:                               ;   in Loop: Header=BB18_17 Depth=3
	s_cmp_le_i32 s26, s3
	s_mov_b32 s20, s36
	s_mov_b32 s21, s26
	s_cbranch_scc1 .LBB18_23
.LBB18_20:                              ;   Parent Loop BB18_3 Depth=1
                                        ;     Parent Loop BB18_14 Depth=2
                                        ;       Parent Loop BB18_17 Depth=3
                                        ; =>      This Loop Header: Depth=4
                                        ;           Child Loop BB18_21 Depth 5
	s_wait_alu 0xfffe
	v_lshl_add_u32 v42, s21, 6, v37
	s_mov_b64 s[18:19], 0
	s_mov_b32 s22, s20
	ds_load_b32 v42, v42
.LBB18_21:                              ;   Parent Loop BB18_3 Depth=1
                                        ;     Parent Loop BB18_14 Depth=2
                                        ;       Parent Loop BB18_17 Depth=3
                                        ;         Parent Loop BB18_20 Depth=4
                                        ; =>        This Inner Loop Header: Depth=5
	s_wait_alu 0xfffe
	v_mov_b32_e32 v43, s22
	s_mov_b32 m0, s18
	s_add_nc_u64 s[18:19], s[18:19], 1
	v_movrels_b32_e32 v44, v18
	s_sub_co_i32 s22, s22, 64
	ds_load_b32 v43, v43
	s_wait_alu 0xfffe
	s_cmp_eq_u32 s34, s18
	s_wait_dscnt 0x0
	v_fma_f32 v43, -v42, v43, v44
	s_delay_alu instid0(VALU_DEP_1)
	v_movreld_b32_e32 v18, v43
	s_cbranch_scc0 .LBB18_21
; %bb.22:                               ;   in Loop: Header=BB18_20 Depth=4
	s_add_co_i32 s21, s21, -1
	s_add_co_i32 s20, s20, -4
	s_wait_alu 0xfffe
	s_cmp_le_i32 s21, s3
	s_cbranch_scc0 .LBB18_20
.LBB18_23:                              ;   in Loop: Header=BB18_17 Depth=3
	s_lshl_b32 s39, s3, 6
	s_mov_b64 s[18:19], 0
	s_mov_b32 s40, s37
	s_branch .LBB18_26
.LBB18_24:                              ;   in Loop: Header=BB18_26 Depth=4
	s_mov_b32 s42, s3
	s_mov_b64 s[20:21], 0
	s_mov_b32 s41, s39
.LBB18_25:                              ;   in Loop: Header=BB18_26 Depth=4
	s_wait_alu 0xfffe
	s_mov_b32 m0, s20
	s_mul_i32 s20, s42, 0x44
	v_movrels_b32_e32 v43, v18
	s_wait_alu 0xfffe
	v_mov_b32_e32 v42, s20
	s_add_nc_u64 s[18:19], s[18:19], 1
	s_sub_co_i32 s40, s40, 64
	s_wait_alu 0xfffe
	s_cmp_eq_u32 s18, s34
	ds_load_b32 v42, v42
	s_wait_dscnt 0x0
	v_dual_mul_f32 v42, v43, v42 :: v_dual_add_nc_u32 v43, s41, v37
	s_delay_alu instid0(VALU_DEP_1)
	v_movreld_b32_e32 v18, v42
	ds_store_b32 v43, v42
	s_cbranch_scc1 .LBB18_16
.LBB18_26:                              ;   Parent Loop BB18_3 Depth=1
                                        ;     Parent Loop BB18_14 Depth=2
                                        ;       Parent Loop BB18_17 Depth=3
                                        ; =>      This Loop Header: Depth=4
                                        ;           Child Loop BB18_28 Depth 5
	s_wait_alu 0xfffe
	s_cmp_eq_u32 s18, 0
	s_cbranch_scc1 .LBB18_24
; %bb.27:                               ;   in Loop: Header=BB18_26 Depth=4
	s_sub_co_i32 s42, s3, s18
	s_mov_b64 s[20:21], s[18:19]
	s_mov_b64 s[22:23], 0
	s_lshl_b32 s41, s42, 6
	s_mov_b32 s21, s40
.LBB18_28:                              ;   Parent Loop BB18_3 Depth=1
                                        ;     Parent Loop BB18_14 Depth=2
                                        ;       Parent Loop BB18_17 Depth=3
                                        ;         Parent Loop BB18_26 Depth=4
                                        ; =>        This Inner Loop Header: Depth=5
	s_wait_alu 0xfffe
	v_mov_b32_e32 v42, s21
	s_mov_b32 m0, s22
	s_add_nc_u64 s[22:23], s[22:23], 1
	v_movrels_b32_e32 v43, v18
	s_mov_b32 m0, s18
	ds_load_b32 v42, v42
	v_movrels_b32_e32 v44, v18
	s_add_co_i32 s21, s21, -4
	s_wait_alu 0xfffe
	s_cmp_eq_u32 s18, s22
	s_wait_dscnt 0x0
	v_fma_f32 v42, -v43, v42, v44
	s_delay_alu instid0(VALU_DEP_1)
	v_movreld_b32_e32 v18, v42
	s_cbranch_scc0 .LBB18_28
	s_branch .LBB18_25
.LBB18_29:                              ;   in Loop: Header=BB18_14 Depth=2
	s_cmp_gt_i32 s3, -1
	s_cselect_b32 s19, -1, 0
	s_add_co_i32 s18, s16, 1
	s_cmp_lt_u32 s16, 2
	s_cselect_b32 s16, -1, 0
	s_wait_alu 0xfffe
	s_and_b32 s16, s19, s16
	s_delay_alu instid0(SALU_CYCLE_1)
	s_and_b32 vcc_lo, exec_lo, s16
	s_wait_alu 0xfffe
	s_cbranch_vccz .LBB18_31
; %bb.30:                               ;   in Loop: Header=BB18_14 Depth=2
	s_mov_b32 s16, s18
	s_branch .LBB18_14
.LBB18_31:                              ;   in Loop: Header=BB18_3 Depth=1
	s_mov_b32 s3, 0
.LBB18_32:                              ;   in Loop: Header=BB18_3 Depth=1
	s_wait_alu 0xfffe
	s_and_b32 vcc_lo, exec_lo, s3
	s_wait_alu 0xfffe
	s_cbranch_vccz .LBB18_53
; %bb.33:                               ;   in Loop: Header=BB18_3 Depth=1
	s_mov_b32 s3, 0
	s_wait_alu 0xfffe
	s_mov_b32 s16, s3
.LBB18_34:                              ;   Parent Loop BB18_3 Depth=1
                                        ; =>  This Loop Header: Depth=2
                                        ;       Child Loop BB18_37 Depth 3
                                        ;         Child Loop BB18_38 Depth 4
                                        ;         Child Loop BB18_41 Depth 4
                                        ;           Child Loop BB18_42 Depth 5
                                        ;         Child Loop BB18_47 Depth 4
                                        ;           Child Loop BB18_49 Depth 5
	s_getpc_b64 s[18:19]
	s_wait_alu 0xfffe
	s_sext_i32_i16 s19, s19
	s_add_co_u32 s18, s18, __const._ZL38rocblas_trsm_small_left_device_sharedBILi16ELi16ELb1EffPKPKfPKPfEv13rocblas_fill_18rocblas_operation_17rocblas_diagonal_iiT3_T4_lilT5_lili.step_sizes@rel32@lo+12
	s_wait_alu 0xfffe
	s_add_co_ci_u32 s19, s19, __const._ZL38rocblas_trsm_small_left_device_sharedBILi16ELi16ELb1EffPKPKfPKPfEv13rocblas_fill_18rocblas_operation_17rocblas_diagonal_iiT3_T4_lilT5_lili.step_sizes@rel32@hi+24
	s_lshl_b64 s[20:21], s[16:17], 2
	s_wait_alu 0xfffe
	s_add_nc_u64 s[18:19], s[18:19], s[20:21]
	s_load_b32 s22, s[18:19], 0x0
	s_wait_kmcnt 0x0
	s_add_co_i32 s23, s22, -1
	s_wait_alu 0xfffe
	s_add_co_i32 s18, s23, s3
	s_wait_alu 0xfffe
	s_cmp_ge_i32 s18, s25
	s_cbranch_scc1 .LBB18_50
; %bb.35:                               ;   in Loop: Header=BB18_34 Depth=2
	v_lshl_add_u32 v18, s3, 6, v37
	s_max_i32 s31, s22, 1
	s_lshl_b32 s33, s22, 6
	s_lshl_b32 s34, s3, 2
	;; [unrolled: 1-line block ×3, first 2 shown]
	s_mul_i32 s36, s3, 0x44
	s_mul_i32 s37, s22, 0x44
	s_branch .LBB18_37
.LBB18_36:                              ;   in Loop: Header=BB18_37 Depth=3
	s_add_co_i32 s3, s3, s22
	v_add_nc_u32_e32 v18, s33, v18
	s_wait_alu 0xfffe
	s_add_co_i32 s18, s23, s3
	s_add_co_i32 s34, s34, s35
	;; [unrolled: 1-line block ×3, first 2 shown]
	s_wait_alu 0xfffe
	s_cmp_ge_i32 s18, s25
	s_cbranch_scc1 .LBB18_50
.LBB18_37:                              ;   Parent Loop BB18_3 Depth=1
                                        ;     Parent Loop BB18_34 Depth=2
                                        ; =>    This Loop Header: Depth=3
                                        ;         Child Loop BB18_38 Depth 4
                                        ;         Child Loop BB18_41 Depth 4
                                        ;           Child Loop BB18_42 Depth 5
                                        ;         Child Loop BB18_47 Depth 4
                                        ;           Child Loop BB18_49 Depth 5
	v_mov_b32_e32 v19, v18
	s_mov_b64 s[18:19], 0
.LBB18_38:                              ;   Parent Loop BB18_3 Depth=1
                                        ;     Parent Loop BB18_34 Depth=2
                                        ;       Parent Loop BB18_37 Depth=3
                                        ; =>      This Inner Loop Header: Depth=4
	ds_load_b32 v20, v19
	v_add_nc_u32_e32 v19, 64, v19
	s_wait_alu 0xfffe
	s_mov_b32 m0, s18
	s_add_nc_u64 s[18:19], s[18:19], 1
	s_wait_alu 0xfffe
	s_cmp_eq_u32 s31, s18
	s_wait_dscnt 0x0
	v_movreld_b32_e32 v2, v20
	s_cbranch_scc0 .LBB18_38
; %bb.39:                               ;   in Loop: Header=BB18_37 Depth=3
	s_cmp_lt_i32 s3, 1
	s_cbranch_scc1 .LBB18_44
; %bb.40:                               ;   in Loop: Header=BB18_37 Depth=3
	s_mov_b32 s20, 0
	s_mov_b32 s21, s34
.LBB18_41:                              ;   Parent Loop BB18_3 Depth=1
                                        ;     Parent Loop BB18_34 Depth=2
                                        ;       Parent Loop BB18_37 Depth=3
                                        ; =>      This Loop Header: Depth=4
                                        ;           Child Loop BB18_42 Depth 5
	s_wait_alu 0xfffe
	v_lshl_add_u32 v19, s20, 6, v37
	s_mov_b64 s[18:19], 0
	s_mov_b32 s38, s21
	ds_load_b32 v19, v19
.LBB18_42:                              ;   Parent Loop BB18_3 Depth=1
                                        ;     Parent Loop BB18_34 Depth=2
                                        ;       Parent Loop BB18_37 Depth=3
                                        ;         Parent Loop BB18_41 Depth=4
                                        ; =>        This Inner Loop Header: Depth=5
	s_wait_alu 0xfffe
	v_mov_b32_e32 v20, s38
	s_mov_b32 m0, s18
	s_add_nc_u64 s[18:19], s[18:19], 1
	v_movrels_b32_e32 v21, v2
	s_add_co_i32 s38, s38, 4
	ds_load_b32 v20, v20
	s_wait_alu 0xfffe
	s_cmp_eq_u32 s31, s18
	s_wait_dscnt 0x0
	v_fma_f32 v20, -v19, v20, v21
	s_delay_alu instid0(VALU_DEP_1)
	v_movreld_b32_e32 v2, v20
	s_cbranch_scc0 .LBB18_42
; %bb.43:                               ;   in Loop: Header=BB18_41 Depth=4
	s_add_co_i32 s20, s20, 1
	s_add_co_i32 s21, s21, 64
	s_wait_alu 0xfffe
	s_cmp_eq_u32 s20, s3
	s_cbranch_scc0 .LBB18_41
.LBB18_44:                              ;   in Loop: Header=BB18_37 Depth=3
	s_mov_b64 s[18:19], 0
	s_mov_b32 s38, s36
	s_branch .LBB18_47
.LBB18_45:                              ;   in Loop: Header=BB18_47 Depth=4
	s_mov_b64 s[20:21], s[18:19]
.LBB18_46:                              ;   in Loop: Header=BB18_47 Depth=4
	s_wait_alu 0xfffe
	s_mov_b32 m0, s20
	s_add_co_i32 s20, s18, s3
	v_movrels_b32_e32 v20, v2
	s_wait_alu 0xfffe
	s_mul_i32 s21, s20, 0x44
	s_add_nc_u64 s[18:19], s[18:19], 1
	s_wait_alu 0xfffe
	v_mov_b32_e32 v19, s21
	s_add_co_i32 s38, s38, 4
	s_cmp_eq_u32 s18, s31
	ds_load_b32 v19, v19
	s_wait_dscnt 0x0
	v_mul_f32_e32 v19, v20, v19
	v_lshl_add_u32 v20, s20, 6, v37
	s_delay_alu instid0(VALU_DEP_2)
	v_movreld_b32_e32 v2, v19
	ds_store_b32 v20, v19
	s_cbranch_scc1 .LBB18_36
.LBB18_47:                              ;   Parent Loop BB18_3 Depth=1
                                        ;     Parent Loop BB18_34 Depth=2
                                        ;       Parent Loop BB18_37 Depth=3
                                        ; =>      This Loop Header: Depth=4
                                        ;           Child Loop BB18_49 Depth 5
	s_mov_b64 s[20:21], 0
	s_wait_alu 0xfffe
	s_cmp_eq_u32 s18, 0
	s_cbranch_scc1 .LBB18_46
; %bb.48:                               ;   in Loop: Header=BB18_47 Depth=4
	s_mov_b32 s39, s38
.LBB18_49:                              ;   Parent Loop BB18_3 Depth=1
                                        ;     Parent Loop BB18_34 Depth=2
                                        ;       Parent Loop BB18_37 Depth=3
                                        ;         Parent Loop BB18_47 Depth=4
                                        ; =>        This Inner Loop Header: Depth=5
	s_wait_alu 0xfffe
	v_mov_b32_e32 v19, s39
	s_mov_b32 m0, s20
	s_add_nc_u64 s[20:21], s[20:21], 1
	v_movrels_b32_e32 v20, v2
	s_mov_b32 m0, s18
	ds_load_b32 v19, v19
	v_movrels_b32_e32 v21, v2
	s_add_co_i32 s39, s39, 64
	s_wait_alu 0xfffe
	s_cmp_eq_u32 s18, s20
	s_wait_dscnt 0x0
	v_fma_f32 v19, -v20, v19, v21
	s_delay_alu instid0(VALU_DEP_1)
	v_movreld_b32_e32 v2, v19
	s_cbranch_scc0 .LBB18_49
	s_branch .LBB18_45
.LBB18_50:                              ;   in Loop: Header=BB18_34 Depth=2
	s_cmp_lt_i32 s3, s25
	s_cselect_b32 s19, -1, 0
	s_add_co_i32 s18, s16, 1
	s_cmp_lt_u32 s16, 2
	s_cselect_b32 s16, -1, 0
	s_wait_alu 0xfffe
	s_and_b32 s16, s19, s16
	s_delay_alu instid0(SALU_CYCLE_1)
	s_and_not1_b32 vcc_lo, exec_lo, s16
	s_wait_alu 0xfffe
	s_cbranch_vccnz .LBB18_52
; %bb.51:                               ;   in Loop: Header=BB18_34 Depth=2
	s_mov_b32 s16, s18
	s_branch .LBB18_34
.LBB18_52:                              ;   in Loop: Header=BB18_3 Depth=1
	v_dual_mov_b32 v33, v17 :: v_dual_mov_b32 v32, v16
	v_dual_mov_b32 v31, v15 :: v_dual_mov_b32 v30, v14
	;; [unrolled: 1-line block ×8, first 2 shown]
.LBB18_53:                              ;   in Loop: Header=BB18_3 Depth=1
	; wave barrier
	s_wait_loadcnt_dscnt 0x0
	global_inv scope:SCOPE_SE
	s_and_saveexec_b32 s3, s29
	s_cbranch_execz .LBB18_2
; %bb.54:                               ;   in Loop: Header=BB18_3 Depth=1
	v_add_co_u32 v2, vcc_lo, v39, v34
	s_wait_alu 0xfffd
	v_add_co_ci_u32_e64 v3, null, v40, v35, vcc_lo
	v_mov_b32_e32 v4, v37
	s_mov_b32 s16, s25
.LBB18_55:                              ;   Parent Loop BB18_3 Depth=1
                                        ; =>  This Inner Loop Header: Depth=2
	ds_load_b32 v5, v4
	v_add_nc_u32_e32 v4, 64, v4
	s_add_co_i32 s16, s16, -1
	s_delay_alu instid0(SALU_CYCLE_1)
	s_cmp_lg_u32 s16, 0
	s_wait_dscnt 0x0
	flat_store_b32 v[2:3], v5
	v_add_co_u32 v2, vcc_lo, v2, 4
	s_wait_alu 0xfffd
	v_add_co_ci_u32_e64 v3, null, 0, v3, vcc_lo
	s_cbranch_scc1 .LBB18_55
	s_branch .LBB18_2
.LBB18_56:
	s_endpgm
	.section	.rodata,"a",@progbits
	.p2align	6, 0x0
	.amdhsa_kernel _ZL38rocblas_trsm_small_left_device_sharedBILi16ELi16ELb1EffPKPKfPKPfEv13rocblas_fill_18rocblas_operation_17rocblas_diagonal_iiT3_T4_lilT5_lili
		.amdhsa_group_segment_fixed_size 2048
		.amdhsa_private_segment_fixed_size 0
		.amdhsa_kernarg_size 352
		.amdhsa_user_sgpr_count 2
		.amdhsa_user_sgpr_dispatch_ptr 0
		.amdhsa_user_sgpr_queue_ptr 0
		.amdhsa_user_sgpr_kernarg_segment_ptr 1
		.amdhsa_user_sgpr_dispatch_id 0
		.amdhsa_user_sgpr_private_segment_size 0
		.amdhsa_wavefront_size32 1
		.amdhsa_uses_dynamic_stack 0
		.amdhsa_enable_private_segment 0
		.amdhsa_system_sgpr_workgroup_id_x 1
		.amdhsa_system_sgpr_workgroup_id_y 0
		.amdhsa_system_sgpr_workgroup_id_z 1
		.amdhsa_system_sgpr_workgroup_info 0
		.amdhsa_system_vgpr_workitem_id 0
		.amdhsa_next_free_vgpr 45
		.amdhsa_next_free_sgpr 43
		.amdhsa_reserve_vcc 1
		.amdhsa_float_round_mode_32 0
		.amdhsa_float_round_mode_16_64 0
		.amdhsa_float_denorm_mode_32 3
		.amdhsa_float_denorm_mode_16_64 3
		.amdhsa_fp16_overflow 0
		.amdhsa_workgroup_processor_mode 1
		.amdhsa_memory_ordered 1
		.amdhsa_forward_progress 1
		.amdhsa_inst_pref_size 20
		.amdhsa_round_robin_scheduling 0
		.amdhsa_exception_fp_ieee_invalid_op 0
		.amdhsa_exception_fp_denorm_src 0
		.amdhsa_exception_fp_ieee_div_zero 0
		.amdhsa_exception_fp_ieee_overflow 0
		.amdhsa_exception_fp_ieee_underflow 0
		.amdhsa_exception_fp_ieee_inexact 0
		.amdhsa_exception_int_div_zero 0
	.end_amdhsa_kernel
	.section	.text._ZL38rocblas_trsm_small_left_device_sharedBILi16ELi16ELb1EffPKPKfPKPfEv13rocblas_fill_18rocblas_operation_17rocblas_diagonal_iiT3_T4_lilT5_lili,"axG",@progbits,_ZL38rocblas_trsm_small_left_device_sharedBILi16ELi16ELb1EffPKPKfPKPfEv13rocblas_fill_18rocblas_operation_17rocblas_diagonal_iiT3_T4_lilT5_lili,comdat
.Lfunc_end18:
	.size	_ZL38rocblas_trsm_small_left_device_sharedBILi16ELi16ELb1EffPKPKfPKPfEv13rocblas_fill_18rocblas_operation_17rocblas_diagonal_iiT3_T4_lilT5_lili, .Lfunc_end18-_ZL38rocblas_trsm_small_left_device_sharedBILi16ELi16ELb1EffPKPKfPKPfEv13rocblas_fill_18rocblas_operation_17rocblas_diagonal_iiT3_T4_lilT5_lili
                                        ; -- End function
	.set _ZL38rocblas_trsm_small_left_device_sharedBILi16ELi16ELb1EffPKPKfPKPfEv13rocblas_fill_18rocblas_operation_17rocblas_diagonal_iiT3_T4_lilT5_lili.num_vgpr, 45
	.set _ZL38rocblas_trsm_small_left_device_sharedBILi16ELi16ELb1EffPKPKfPKPfEv13rocblas_fill_18rocblas_operation_17rocblas_diagonal_iiT3_T4_lilT5_lili.num_agpr, 0
	.set _ZL38rocblas_trsm_small_left_device_sharedBILi16ELi16ELb1EffPKPKfPKPfEv13rocblas_fill_18rocblas_operation_17rocblas_diagonal_iiT3_T4_lilT5_lili.numbered_sgpr, 43
	.set _ZL38rocblas_trsm_small_left_device_sharedBILi16ELi16ELb1EffPKPKfPKPfEv13rocblas_fill_18rocblas_operation_17rocblas_diagonal_iiT3_T4_lilT5_lili.num_named_barrier, 0
	.set _ZL38rocblas_trsm_small_left_device_sharedBILi16ELi16ELb1EffPKPKfPKPfEv13rocblas_fill_18rocblas_operation_17rocblas_diagonal_iiT3_T4_lilT5_lili.private_seg_size, 0
	.set _ZL38rocblas_trsm_small_left_device_sharedBILi16ELi16ELb1EffPKPKfPKPfEv13rocblas_fill_18rocblas_operation_17rocblas_diagonal_iiT3_T4_lilT5_lili.uses_vcc, 1
	.set _ZL38rocblas_trsm_small_left_device_sharedBILi16ELi16ELb1EffPKPKfPKPfEv13rocblas_fill_18rocblas_operation_17rocblas_diagonal_iiT3_T4_lilT5_lili.uses_flat_scratch, 0
	.set _ZL38rocblas_trsm_small_left_device_sharedBILi16ELi16ELb1EffPKPKfPKPfEv13rocblas_fill_18rocblas_operation_17rocblas_diagonal_iiT3_T4_lilT5_lili.has_dyn_sized_stack, 0
	.set _ZL38rocblas_trsm_small_left_device_sharedBILi16ELi16ELb1EffPKPKfPKPfEv13rocblas_fill_18rocblas_operation_17rocblas_diagonal_iiT3_T4_lilT5_lili.has_recursion, 0
	.set _ZL38rocblas_trsm_small_left_device_sharedBILi16ELi16ELb1EffPKPKfPKPfEv13rocblas_fill_18rocblas_operation_17rocblas_diagonal_iiT3_T4_lilT5_lili.has_indirect_call, 0
	.section	.AMDGPU.csdata,"",@progbits
; Kernel info:
; codeLenInByte = 2476
; TotalNumSgprs: 45
; NumVgprs: 45
; ScratchSize: 0
; MemoryBound: 0
; FloatMode: 240
; IeeeMode: 1
; LDSByteSize: 2048 bytes/workgroup (compile time only)
; SGPRBlocks: 0
; VGPRBlocks: 5
; NumSGPRsForWavesPerEU: 45
; NumVGPRsForWavesPerEU: 45
; Occupancy: 16
; WaveLimiterHint : 0
; COMPUTE_PGM_RSRC2:SCRATCH_EN: 0
; COMPUTE_PGM_RSRC2:USER_SGPR: 2
; COMPUTE_PGM_RSRC2:TRAP_HANDLER: 0
; COMPUTE_PGM_RSRC2:TGID_X_EN: 1
; COMPUTE_PGM_RSRC2:TGID_Y_EN: 0
; COMPUTE_PGM_RSRC2:TGID_Z_EN: 1
; COMPUTE_PGM_RSRC2:TIDIG_COMP_CNT: 0
	.section	.text._ZL30rocblas_trsm_small_left_deviceILi16ELi16ELb1EffPKPKfPKPfEv13rocblas_fill_18rocblas_operation_17rocblas_diagonal_iiT3_T4_lilT5_lili,"axG",@progbits,_ZL30rocblas_trsm_small_left_deviceILi16ELi16ELb1EffPKPKfPKPfEv13rocblas_fill_18rocblas_operation_17rocblas_diagonal_iiT3_T4_lilT5_lili,comdat
	.globl	_ZL30rocblas_trsm_small_left_deviceILi16ELi16ELb1EffPKPKfPKPfEv13rocblas_fill_18rocblas_operation_17rocblas_diagonal_iiT3_T4_lilT5_lili ; -- Begin function _ZL30rocblas_trsm_small_left_deviceILi16ELi16ELb1EffPKPKfPKPfEv13rocblas_fill_18rocblas_operation_17rocblas_diagonal_iiT3_T4_lilT5_lili
	.p2align	8
	.type	_ZL30rocblas_trsm_small_left_deviceILi16ELi16ELb1EffPKPKfPKPfEv13rocblas_fill_18rocblas_operation_17rocblas_diagonal_iiT3_T4_lilT5_lili,@function
_ZL30rocblas_trsm_small_left_deviceILi16ELi16ELb1EffPKPKfPKPfEv13rocblas_fill_18rocblas_operation_17rocblas_diagonal_iiT3_T4_lilT5_lili: ; @_ZL30rocblas_trsm_small_left_deviceILi16ELi16ELb1EffPKPKfPKPfEv13rocblas_fill_18rocblas_operation_17rocblas_diagonal_iiT3_T4_lilT5_lili
; %bb.0:
	s_load_b32 s28, s[0:1], 0x58
	s_lshr_b32 s2, ttmp7, 16
	s_wait_kmcnt 0x0
	s_cmp_ge_u32 s2, s28
	s_cbranch_scc1 .LBB19_53
; %bb.1:
	s_clause 0x6
	s_load_b32 s16, s[0:1], 0x28
	s_load_b128 s[12:15], s[0:1], 0x4
	s_load_b32 s3, s[0:1], 0x60
	s_load_b32 s18, s[0:1], 0x48
	s_load_b128 s[4:7], s[0:1], 0x18
	s_load_b128 s[8:11], s[0:1], 0x38
	s_load_b32 s29, s[0:1], 0x14
	s_lshl_b32 s0, ttmp9, 4
	v_dual_mov_b32 v1, 0 :: v_dual_lshlrev_b32 v40, 2, v0
	v_or_b32_e32 v2, s0, v0
	v_lshlrev_b32_e32 v17, 6, v0
	s_mov_b32 s36, 0
	s_delay_alu instid0(VALU_DEP_3)
	v_dual_mov_b32 v15, v1 :: v_dual_mov_b32 v16, v1
	v_dual_mov_b32 v5, v1 :: v_dual_mov_b32 v6, v1
	;; [unrolled: 1-line block ×3, first 2 shown]
	s_wait_kmcnt 0x0
	s_ashr_i32 s17, s16, 31
	s_min_i32 s30, s14, 16
	s_add_co_i32 s3, s3, -1
	v_mad_co_i64_i32 v[2:3], null, s18, v2, 0
	s_sub_co_i32 s0, s15, s0
	s_add_co_i32 s31, s30, -1
	s_wait_alu 0xfffe
	s_cmp_ge_u32 ttmp9, s3
	v_dual_mov_b32 v9, v1 :: v_dual_mov_b32 v10, v1
	s_cselect_b32 s1, s0, 16
	s_cmp_lg_u32 s13, 0x84
	v_lshlrev_b64_e32 v[34:35], 2, v[2:3]
	s_cselect_b32 s33, -1, 0
	s_cmp_lg_u32 s12, 0x6f
	v_mov_b32_e32 v2, v1
	s_cselect_b32 s34, -1, 0
	s_lshl_b64 s[10:11], s[10:11], 2
	v_dual_mov_b32 v3, v1 :: v_dual_mov_b32 v4, v1
	v_dual_mov_b32 v11, v1 :: v_dual_mov_b32 v12, v1
	;; [unrolled: 1-line block ×3, first 2 shown]
	v_add_co_u32 v41, vcc_lo, v34, s10
	v_cmp_gt_i32_e64 s0, s30, v0
	s_wait_alu 0xfffe
	v_cmp_gt_i32_e64 s1, s1, v0
	v_lshlrev_b32_e32 v0, 2, v0
	v_add_nc_u32_e32 v43, v40, v17
	v_mov_b32_e32 v17, v16
	v_add_co_ci_u32_e64 v42, null, s11, v35, vcc_lo
	v_mov_b32_e32 v16, v15
	v_mov_b32_e32 v15, v14
	;; [unrolled: 1-line block ×15, first 2 shown]
	s_lshl_b32 s35, s30, 2
	s_lshl_b64 s[12:13], s[16:17], 2
	s_add_co_i32 s35, s35, -4
	s_mov_b32 s15, 0
	s_lshl_b64 s[6:7], s[6:7], 2
	s_branch .LBB19_5
.LBB19_2:                               ;   in Loop: Header=BB19_5 Depth=1
	v_dual_mov_b32 v33, v17 :: v_dual_mov_b32 v32, v16
	v_dual_mov_b32 v31, v15 :: v_dual_mov_b32 v30, v14
	;; [unrolled: 1-line block ×8, first 2 shown]
.LBB19_3:                               ;   in Loop: Header=BB19_5 Depth=1
	s_add_co_i32 s2, s2, 0x10000
	s_delay_alu instid0(SALU_CYCLE_1) | instskip(SKIP_1) | instid1(SALU_CYCLE_1)
	s_cmp_ge_u32 s2, s28
	s_cselect_b32 s14, -1, 0
	s_or_not1_b32 s14, s14, exec_lo
.LBB19_4:                               ;   in Loop: Header=BB19_5 Depth=1
	s_or_b32 exec_lo, exec_lo, s3
	v_dual_mov_b32 v2, v18 :: v_dual_mov_b32 v3, v19
	v_dual_mov_b32 v4, v20 :: v_dual_mov_b32 v5, v21
	;; [unrolled: 1-line block ×8, first 2 shown]
	s_and_b32 s3, exec_lo, s14
	s_delay_alu instid0(SALU_CYCLE_1) | instskip(NEXT) | instid1(SALU_CYCLE_1)
	s_or_b32 s36, s3, s36
	s_and_not1_b32 exec_lo, exec_lo, s36
	s_cbranch_execz .LBB19_53
.LBB19_5:                               ; =>This Loop Header: Depth=1
                                        ;     Child Loop BB19_7 Depth 2
                                        ;     Child Loop BB19_14 Depth 2
                                        ;       Child Loop BB19_17 Depth 3
                                        ;         Child Loop BB19_18 Depth 4
                                        ;         Child Loop BB19_20 Depth 4
                                        ;           Child Loop BB19_21 Depth 5
                                        ;         Child Loop BB19_26 Depth 4
                                        ;           Child Loop BB19_28 Depth 5
                                        ;     Child Loop BB19_35 Depth 2
                                        ;       Child Loop BB19_38 Depth 3
                                        ;         Child Loop BB19_39 Depth 4
                                        ;         Child Loop BB19_42 Depth 4
                                        ;           Child Loop BB19_43 Depth 5
                                        ;         Child Loop BB19_48 Depth 4
                                        ;           Child Loop BB19_50 Depth 5
	s_mov_b32 s3, s15
	s_delay_alu instid0(SALU_CYCLE_1) | instskip(NEXT) | instid1(SALU_CYCLE_1)
	s_lshl_b64 s[16:17], s[2:3], 3
	s_add_nc_u64 s[18:19], s[8:9], s[16:17]
	global_load_b64 v[36:37], v1, s[18:19]
	s_and_saveexec_b32 s3, s0
	s_cbranch_execz .LBB19_11
; %bb.6:                                ;   in Loop: Header=BB19_5 Depth=1
	s_add_nc_u64 s[16:17], s[4:5], s[16:17]
	v_mov_b32_e32 v20, v40
	global_load_b64 v[18:19], v1, s[16:17]
	s_mov_b32 s14, s30
	s_wait_loadcnt 0x0
	v_add_co_u32 v18, vcc_lo, v18, s6
	s_wait_alu 0xfffd
	v_add_co_ci_u32_e64 v19, null, s7, v19, vcc_lo
	s_delay_alu instid0(VALU_DEP_2) | instskip(SKIP_1) | instid1(VALU_DEP_2)
	v_add_co_u32 v18, vcc_lo, v18, v0
	s_wait_alu 0xfffd
	v_add_co_ci_u32_e64 v19, null, 0, v19, vcc_lo
.LBB19_7:                               ;   Parent Loop BB19_5 Depth=1
                                        ; =>  This Inner Loop Header: Depth=2
	flat_load_b32 v21, v[18:19]
	v_add_co_u32 v18, vcc_lo, v18, s12
	s_wait_alu 0xfffd
	v_add_co_ci_u32_e64 v19, null, s13, v19, vcc_lo
	s_add_co_i32 s14, s14, -1
	s_delay_alu instid0(SALU_CYCLE_1)
	s_cmp_eq_u32 s14, 0
	s_wait_loadcnt_dscnt 0x0
	ds_store_b32 v20, v21
	v_add_nc_u32_e32 v20, 64, v20
	s_cbranch_scc0 .LBB19_7
; %bb.8:                                ;   in Loop: Header=BB19_5 Depth=1
	v_mov_b32_e32 v18, 1.0
	s_and_b32 vcc_lo, exec_lo, s33
	s_wait_alu 0xfffe
	s_cbranch_vccz .LBB19_10
; %bb.9:                                ;   in Loop: Header=BB19_5 Depth=1
	ds_load_b32 v18, v43
	s_wait_dscnt 0x0
	v_div_scale_f32 v19, null, v18, v18, 1.0
	s_delay_alu instid0(VALU_DEP_1) | instskip(NEXT) | instid1(TRANS32_DEP_1)
	v_rcp_f32_e32 v20, v19
	v_fma_f32 v21, -v19, v20, 1.0
	s_delay_alu instid0(VALU_DEP_1) | instskip(SKIP_1) | instid1(VALU_DEP_1)
	v_fmac_f32_e32 v20, v21, v20
	v_div_scale_f32 v21, vcc_lo, 1.0, v18, 1.0
	v_mul_f32_e32 v22, v21, v20
	s_delay_alu instid0(VALU_DEP_1) | instskip(NEXT) | instid1(VALU_DEP_1)
	v_fma_f32 v23, -v19, v22, v21
	v_fmac_f32_e32 v22, v23, v20
	s_delay_alu instid0(VALU_DEP_1) | instskip(SKIP_1) | instid1(VALU_DEP_1)
	v_fma_f32 v19, -v19, v22, v21
	s_wait_alu 0xfffd
	v_div_fmas_f32 v19, v19, v20, v22
	s_delay_alu instid0(VALU_DEP_1)
	v_div_fixup_f32 v18, v19, v18, 1.0
.LBB19_10:                              ;   in Loop: Header=BB19_5 Depth=1
	ds_store_b32 v43, v18
.LBB19_11:                              ;   in Loop: Header=BB19_5 Depth=1
	s_or_b32 exec_lo, exec_lo, s3
	s_mov_b32 s14, -1
	; wave barrier
	s_wait_loadcnt_dscnt 0x0
	global_inv scope:SCOPE_SE
                                        ; implicit-def: $vgpr18_vgpr19_vgpr20_vgpr21_vgpr22_vgpr23_vgpr24_vgpr25_vgpr26_vgpr27_vgpr28_vgpr29_vgpr30_vgpr31_vgpr32_vgpr33
	s_and_saveexec_b32 s3, s1
	s_cbranch_execz .LBB19_4
; %bb.12:                               ;   in Loop: Header=BB19_5 Depth=1
	v_add_co_u32 v18, vcc_lo, v36, s10
	s_wait_alu 0xfffd
	v_add_co_ci_u32_e64 v19, null, s11, v37, vcc_lo
	s_delay_alu instid0(VALU_DEP_2) | instskip(SKIP_1) | instid1(VALU_DEP_2)
	v_add_co_u32 v44, vcc_lo, v18, v34
	s_wait_alu 0xfffd
	v_add_co_ci_u32_e64 v45, null, v19, v35, vcc_lo
	s_and_not1_b32 vcc_lo, exec_lo, s34
                                        ; implicit-def: $vgpr18_vgpr19_vgpr20_vgpr21_vgpr22_vgpr23_vgpr24_vgpr25_vgpr26_vgpr27_vgpr28_vgpr29_vgpr30_vgpr31_vgpr32_vgpr33
	s_wait_alu 0xfffe
	s_cbranch_vccnz .LBB19_33
; %bb.13:                               ;   in Loop: Header=BB19_5 Depth=1
	v_add_co_u32 v46, vcc_lo, v36, v41
	v_dual_mov_b32 v33, v17 :: v_dual_mov_b32 v32, v16
	v_dual_mov_b32 v31, v15 :: v_dual_mov_b32 v30, v14
	;; [unrolled: 1-line block ×8, first 2 shown]
	s_wait_alu 0xfffd
	v_add_co_ci_u32_e64 v47, null, v37, v42, vcc_lo
	s_mov_b32 s14, 0
	s_mov_b32 s16, s31
.LBB19_14:                              ;   Parent Loop BB19_5 Depth=1
                                        ; =>  This Loop Header: Depth=2
                                        ;       Child Loop BB19_17 Depth 3
                                        ;         Child Loop BB19_18 Depth 4
                                        ;         Child Loop BB19_20 Depth 4
                                        ;           Child Loop BB19_21 Depth 5
                                        ;         Child Loop BB19_26 Depth 4
                                        ;           Child Loop BB19_28 Depth 5
	s_getpc_b64 s[18:19]
	s_wait_alu 0xfffe
	s_sext_i32_i16 s19, s19
	s_add_co_u32 s18, s18, __const._ZL30rocblas_trsm_small_left_deviceILi16ELi16ELb1EffPKPKfPKPfEv13rocblas_fill_18rocblas_operation_17rocblas_diagonal_iiT3_T4_lilT5_lili.step_sizes@rel32@lo+12
	s_wait_alu 0xfffe
	s_add_co_ci_u32 s19, s19, __const._ZL30rocblas_trsm_small_left_deviceILi16ELi16ELb1EffPKPKfPKPfEv13rocblas_fill_18rocblas_operation_17rocblas_diagonal_iiT3_T4_lilT5_lili.step_sizes@rel32@hi+24
	s_lshl_b64 s[20:21], s[14:15], 2
	s_wait_alu 0xfffe
	s_add_nc_u64 s[18:19], s[18:19], s[20:21]
	s_load_b32 s26, s[18:19], 0x0
	s_wait_kmcnt 0x0
	s_add_co_i32 s27, s26, -1
	s_wait_alu 0xfffe
	s_cmp_lt_i32 s16, s27
	s_cbranch_scc1 .LBB19_30
; %bb.15:                               ;   in Loop: Header=BB19_14 Depth=2
	s_lshl_b32 s17, s16, 6
	s_lshl_b32 s18, s26, 6
	s_max_i32 s37, s26, 1
	s_add_co_i32 s38, s35, s17
	s_wait_alu 0xfffe
	s_sub_co_i32 s39, 0, s18
	s_mul_i32 s40, s16, 0x44
	s_mul_i32 s41, s26, 0xffffffbc
	s_branch .LBB19_17
.LBB19_16:                              ;   in Loop: Header=BB19_17 Depth=3
	s_sub_co_i32 s16, s16, s26
	s_add_co_i32 s38, s38, s39
	s_add_co_i32 s40, s40, s41
	s_cmp_lt_i32 s16, s27
	s_cbranch_scc1 .LBB19_30
.LBB19_17:                              ;   Parent Loop BB19_5 Depth=1
                                        ;     Parent Loop BB19_14 Depth=2
                                        ; =>    This Loop Header: Depth=3
                                        ;         Child Loop BB19_18 Depth 4
                                        ;         Child Loop BB19_20 Depth 4
                                        ;           Child Loop BB19_21 Depth 5
                                        ;         Child Loop BB19_26 Depth 4
                                        ;           Child Loop BB19_28 Depth 5
	s_ashr_i32 s17, s16, 31
	s_delay_alu instid0(SALU_CYCLE_1)
	s_lshl_b64 s[18:19], s[16:17], 2
	s_wait_alu 0xfffe
	v_add_co_u32 v38, vcc_lo, v46, s18
	s_wait_alu 0xfffd
	v_add_co_ci_u32_e64 v39, null, s19, v47, vcc_lo
	s_mov_b64 s[18:19], 0
.LBB19_18:                              ;   Parent Loop BB19_5 Depth=1
                                        ;     Parent Loop BB19_14 Depth=2
                                        ;       Parent Loop BB19_17 Depth=3
                                        ; =>      This Inner Loop Header: Depth=4
	flat_load_b32 v48, v[38:39]
	v_add_co_u32 v38, vcc_lo, v38, -4
	s_wait_alu 0xfffd
	v_add_co_ci_u32_e64 v39, null, -1, v39, vcc_lo
	s_wait_alu 0xfffe
	s_mov_b32 m0, s18
	s_add_nc_u64 s[18:19], s[18:19], 1
	s_wait_alu 0xfffe
	s_cmp_eq_u32 s37, s18
	s_wait_loadcnt_dscnt 0x0
	v_mul_f32_e32 v48, s29, v48
	s_delay_alu instid0(VALU_DEP_1)
	v_movreld_b32_e32 v18, v48
	s_cbranch_scc0 .LBB19_18
; %bb.19:                               ;   in Loop: Header=BB19_17 Depth=3
	s_cmp_le_i32 s31, s16
	s_mov_b32 s22, s38
	s_mov_b32 s18, s31
	s_cbranch_scc1 .LBB19_23
.LBB19_20:                              ;   Parent Loop BB19_5 Depth=1
                                        ;     Parent Loop BB19_14 Depth=2
                                        ;       Parent Loop BB19_17 Depth=3
                                        ; =>      This Loop Header: Depth=4
                                        ;           Child Loop BB19_21 Depth 5
	s_wait_alu 0xfffe
	s_ashr_i32 s19, s18, 31
	s_wait_alu 0xfffe
	s_lshl_b64 s[20:21], s[18:19], 2
	s_mov_b32 s19, s22
	s_wait_alu 0xfffe
	v_add_co_u32 v38, vcc_lo, v44, s20
	s_wait_alu 0xfffd
	v_add_co_ci_u32_e64 v39, null, s21, v45, vcc_lo
	s_mov_b64 s[20:21], 0
	flat_load_b32 v38, v[38:39]
.LBB19_21:                              ;   Parent Loop BB19_5 Depth=1
                                        ;     Parent Loop BB19_14 Depth=2
                                        ;       Parent Loop BB19_17 Depth=3
                                        ;         Parent Loop BB19_20 Depth=4
                                        ; =>        This Inner Loop Header: Depth=5
	s_wait_alu 0xfffe
	v_mov_b32_e32 v39, s19
	s_mov_b32 m0, s20
	s_add_nc_u64 s[20:21], s[20:21], 1
	v_movrels_b32_e32 v48, v18
	s_sub_co_i32 s19, s19, 64
	ds_load_b32 v39, v39
	s_wait_alu 0xfffe
	s_cmp_eq_u32 s37, s20
	s_wait_loadcnt_dscnt 0x0
	v_fma_f32 v39, -v38, v39, v48
	s_delay_alu instid0(VALU_DEP_1)
	v_movreld_b32_e32 v18, v39
	s_cbranch_scc0 .LBB19_21
; %bb.22:                               ;   in Loop: Header=BB19_20 Depth=4
	s_add_co_i32 s18, s18, -1
	s_add_co_i32 s22, s22, -4
	s_wait_alu 0xfffe
	s_cmp_le_i32 s18, s16
	s_cbranch_scc0 .LBB19_20
.LBB19_23:                              ;   in Loop: Header=BB19_17 Depth=3
	s_mov_b64 s[18:19], 0
	s_mov_b32 s42, s40
	s_branch .LBB19_26
.LBB19_24:                              ;   in Loop: Header=BB19_26 Depth=4
	s_mov_b32 s22, s16
	s_mov_b64 s[20:21], 0
	s_mov_b64 s[24:25], s[16:17]
.LBB19_25:                              ;   in Loop: Header=BB19_26 Depth=4
	s_wait_alu 0xfffe
	s_mov_b32 m0, s20
	s_mul_i32 s20, s22, 0x44
	v_movrels_b32_e32 v39, v18
	s_wait_alu 0xfffe
	v_mov_b32_e32 v38, s20
	s_lshl_b64 s[20:21], s[24:25], 2
	s_add_nc_u64 s[18:19], s[18:19], 1
	s_sub_co_i32 s42, s42, 64
	s_wait_alu 0xfffe
	s_cmp_eq_u32 s18, s37
	ds_load_b32 v38, v38
	s_wait_dscnt 0x0
	v_mul_f32_e32 v48, v39, v38
	v_add_co_u32 v38, vcc_lo, v44, s20
	s_wait_alu 0xfffd
	v_add_co_ci_u32_e64 v39, null, s21, v45, vcc_lo
	s_delay_alu instid0(VALU_DEP_3)
	v_movreld_b32_e32 v18, v48
	flat_store_b32 v[38:39], v48
	s_cbranch_scc1 .LBB19_16
.LBB19_26:                              ;   Parent Loop BB19_5 Depth=1
                                        ;     Parent Loop BB19_14 Depth=2
                                        ;       Parent Loop BB19_17 Depth=3
                                        ; =>      This Loop Header: Depth=4
                                        ;           Child Loop BB19_28 Depth 5
	s_wait_alu 0xfffe
	s_cmp_eq_u32 s18, 0
	s_cbranch_scc1 .LBB19_24
; %bb.27:                               ;   in Loop: Header=BB19_26 Depth=4
	s_mov_b64 s[20:21], s[18:19]
	s_mov_b64 s[22:23], 0
	s_mov_b32 s21, s42
.LBB19_28:                              ;   Parent Loop BB19_5 Depth=1
                                        ;     Parent Loop BB19_14 Depth=2
                                        ;       Parent Loop BB19_17 Depth=3
                                        ;         Parent Loop BB19_26 Depth=4
                                        ; =>        This Inner Loop Header: Depth=5
	s_wait_alu 0xfffe
	v_mov_b32_e32 v38, s21
	s_mov_b32 m0, s22
	s_add_nc_u64 s[22:23], s[22:23], 1
	v_movrels_b32_e32 v39, v18
	s_mov_b32 m0, s18
	ds_load_b32 v38, v38
	v_movrels_b32_e32 v48, v18
	s_add_co_i32 s21, s21, -4
	s_wait_alu 0xfffe
	s_cmp_eq_u32 s18, s22
	s_wait_dscnt 0x0
	v_fma_f32 v38, -v39, v38, v48
	s_delay_alu instid0(VALU_DEP_1)
	v_movreld_b32_e32 v18, v38
	s_cbranch_scc0 .LBB19_28
; %bb.29:                               ;   in Loop: Header=BB19_26 Depth=4
	s_sub_co_i32 s22, s16, s18
	s_wait_alu 0xfffe
	s_ashr_i32 s23, s22, 31
	s_wait_alu 0xfffe
	s_mov_b64 s[24:25], s[22:23]
	s_branch .LBB19_25
.LBB19_30:                              ;   in Loop: Header=BB19_14 Depth=2
	s_cmp_gt_i32 s16, -1
	s_cselect_b32 s18, -1, 0
	s_add_co_i32 s17, s14, 1
	s_cmp_lt_u32 s14, 2
	s_cselect_b32 s14, -1, 0
	s_wait_alu 0xfffe
	s_and_b32 s14, s18, s14
	s_delay_alu instid0(SALU_CYCLE_1)
	s_and_b32 vcc_lo, exec_lo, s14
	s_wait_alu 0xfffe
	s_cbranch_vccz .LBB19_32
; %bb.31:                               ;   in Loop: Header=BB19_14 Depth=2
	s_mov_b32 s14, s17
	s_branch .LBB19_14
.LBB19_32:                              ;   in Loop: Header=BB19_5 Depth=1
	s_mov_b32 s14, 0
.LBB19_33:                              ;   in Loop: Header=BB19_5 Depth=1
	s_delay_alu instid0(SALU_CYCLE_1)
	s_and_b32 vcc_lo, exec_lo, s14
	s_wait_alu 0xfffe
	s_cbranch_vccz .LBB19_3
; %bb.34:                               ;   in Loop: Header=BB19_5 Depth=1
	v_add_co_u32 v22, vcc_lo, v36, v41
	s_wait_alu 0xfffd
	v_add_co_ci_u32_e64 v23, null, v37, v42, vcc_lo
	s_mov_b32 s16, 0
	s_mov_b32 s18, 0
.LBB19_35:                              ;   Parent Loop BB19_5 Depth=1
                                        ; =>  This Loop Header: Depth=2
                                        ;       Child Loop BB19_38 Depth 3
                                        ;         Child Loop BB19_39 Depth 4
                                        ;         Child Loop BB19_42 Depth 4
                                        ;           Child Loop BB19_43 Depth 5
                                        ;         Child Loop BB19_48 Depth 4
                                        ;           Child Loop BB19_50 Depth 5
	s_mov_b32 s19, s15
	s_getpc_b64 s[20:21]
	s_wait_alu 0xfffe
	s_sext_i32_i16 s21, s21
	s_add_co_u32 s20, s20, __const._ZL30rocblas_trsm_small_left_deviceILi16ELi16ELb1EffPKPKfPKPfEv13rocblas_fill_18rocblas_operation_17rocblas_diagonal_iiT3_T4_lilT5_lili.step_sizes@rel32@lo+12
	s_wait_alu 0xfffe
	s_add_co_ci_u32 s21, s21, __const._ZL30rocblas_trsm_small_left_deviceILi16ELi16ELb1EffPKPKfPKPfEv13rocblas_fill_18rocblas_operation_17rocblas_diagonal_iiT3_T4_lilT5_lili.step_sizes@rel32@hi+24
	s_lshl_b64 s[22:23], s[18:19], 2
	s_wait_alu 0xfffe
	s_add_nc_u64 s[20:21], s[20:21], s[22:23]
	s_load_b32 s20, s[20:21], 0x0
	s_wait_kmcnt 0x0
	s_add_co_i32 s19, s20, -1
	s_wait_alu 0xfffe
	s_add_co_i32 s14, s19, s16
	s_delay_alu instid0(SALU_CYCLE_1)
	s_cmp_ge_i32 s14, s30
	s_cbranch_scc1 .LBB19_51
; %bb.36:                               ;   in Loop: Header=BB19_35 Depth=2
	s_ashr_i32 s17, s16, 31
	s_ashr_i32 s21, s20, 31
	s_lshl_b64 s[22:23], s[16:17], 2
	s_max_i32 s37, s20, 1
	s_wait_alu 0xfffe
	v_add_co_u32 v18, vcc_lo, v22, s22
	s_wait_alu 0xfffd
	v_add_co_ci_u32_e64 v19, null, s23, v23, vcc_lo
	s_lshl_b64 s[22:23], s[20:21], 2
	s_lshl_b32 s17, s16, 2
	s_lshl_b32 s21, s20, 2
	s_mul_i32 s38, s16, 0x44
	s_mul_i32 s39, s20, 0x44
	s_branch .LBB19_38
.LBB19_37:                              ;   in Loop: Header=BB19_38 Depth=3
	v_add_co_u32 v18, vcc_lo, v18, s22
	s_add_co_i32 s16, s16, s20
	s_wait_alu 0xfffd
	v_add_co_ci_u32_e64 v19, null, s23, v19, vcc_lo
	s_add_co_i32 s14, s19, s16
	s_add_co_i32 s17, s17, s21
	;; [unrolled: 1-line block ×3, first 2 shown]
	s_cmp_ge_i32 s14, s30
	s_cbranch_scc1 .LBB19_51
.LBB19_38:                              ;   Parent Loop BB19_5 Depth=1
                                        ;     Parent Loop BB19_35 Depth=2
                                        ; =>    This Loop Header: Depth=3
                                        ;         Child Loop BB19_39 Depth 4
                                        ;         Child Loop BB19_42 Depth 4
                                        ;           Child Loop BB19_43 Depth 5
                                        ;         Child Loop BB19_48 Depth 4
                                        ;           Child Loop BB19_50 Depth 5
	v_dual_mov_b32 v21, v19 :: v_dual_mov_b32 v20, v18
	s_mov_b64 s[24:25], 0
.LBB19_39:                              ;   Parent Loop BB19_5 Depth=1
                                        ;     Parent Loop BB19_35 Depth=2
                                        ;       Parent Loop BB19_38 Depth=3
                                        ; =>      This Inner Loop Header: Depth=4
	flat_load_b32 v24, v[20:21]
	v_add_co_u32 v20, vcc_lo, v20, 4
	s_wait_alu 0xfffd
	v_add_co_ci_u32_e64 v21, null, 0, v21, vcc_lo
	s_wait_alu 0xfffe
	s_mov_b32 m0, s24
	s_add_nc_u64 s[24:25], s[24:25], 1
	s_wait_alu 0xfffe
	s_cmp_eq_u32 s37, s24
	s_wait_loadcnt_dscnt 0x0
	v_mul_f32_e32 v24, s29, v24
	s_delay_alu instid0(VALU_DEP_1)
	v_movreld_b32_e32 v2, v24
	s_cbranch_scc0 .LBB19_39
; %bb.40:                               ;   in Loop: Header=BB19_38 Depth=3
	s_cmp_lt_i32 s16, 1
	s_cbranch_scc1 .LBB19_45
; %bb.41:                               ;   in Loop: Header=BB19_38 Depth=3
	s_mov_b32 s14, 0
	s_mov_b32 s26, s17
.LBB19_42:                              ;   Parent Loop BB19_5 Depth=1
                                        ;     Parent Loop BB19_35 Depth=2
                                        ;       Parent Loop BB19_38 Depth=3
                                        ; =>      This Loop Header: Depth=4
                                        ;           Child Loop BB19_43 Depth 5
	s_lshl_b64 s[24:25], s[14:15], 2
	s_wait_alu 0xfffe
	s_mov_b32 s27, s26
	v_add_co_u32 v20, vcc_lo, v44, s24
	s_wait_alu 0xfffd
	v_add_co_ci_u32_e64 v21, null, s25, v45, vcc_lo
	s_mov_b64 s[24:25], 0
	flat_load_b32 v20, v[20:21]
.LBB19_43:                              ;   Parent Loop BB19_5 Depth=1
                                        ;     Parent Loop BB19_35 Depth=2
                                        ;       Parent Loop BB19_38 Depth=3
                                        ;         Parent Loop BB19_42 Depth=4
                                        ; =>        This Inner Loop Header: Depth=5
	s_wait_alu 0xfffe
	v_mov_b32_e32 v21, s27
	s_mov_b32 m0, s24
	s_add_nc_u64 s[24:25], s[24:25], 1
	v_movrels_b32_e32 v24, v2
	s_add_co_i32 s27, s27, 4
	ds_load_b32 v21, v21
	s_wait_alu 0xfffe
	s_cmp_eq_u32 s37, s24
	s_wait_loadcnt_dscnt 0x0
	v_fma_f32 v21, -v20, v21, v24
	s_delay_alu instid0(VALU_DEP_1)
	v_movreld_b32_e32 v2, v21
	s_cbranch_scc0 .LBB19_43
; %bb.44:                               ;   in Loop: Header=BB19_42 Depth=4
	s_add_co_i32 s14, s14, 1
	s_add_co_i32 s26, s26, 64
	s_cmp_eq_u32 s14, s16
	s_cbranch_scc0 .LBB19_42
.LBB19_45:                              ;   in Loop: Header=BB19_38 Depth=3
	s_mov_b64 s[24:25], 0
	s_mov_b32 s14, s38
	s_branch .LBB19_48
.LBB19_46:                              ;   in Loop: Header=BB19_48 Depth=4
	s_mov_b64 s[26:27], s[24:25]
.LBB19_47:                              ;   in Loop: Header=BB19_48 Depth=4
	s_wait_alu 0xfffe
	s_mov_b32 m0, s26
	s_add_co_i32 s26, s24, s16
	v_movrels_b32_e32 v21, v2
	s_wait_alu 0xfffe
	s_mul_i32 s27, s26, 0x44
	s_add_nc_u64 s[24:25], s[24:25], 1
	s_wait_alu 0xfffe
	v_mov_b32_e32 v20, s27
	s_ashr_i32 s27, s26, 31
	s_add_co_i32 s14, s14, 4
	s_wait_alu 0xfffe
	s_lshl_b64 s[26:27], s[26:27], 2
	s_cmp_eq_u32 s24, s37
	ds_load_b32 v20, v20
	s_wait_dscnt 0x0
	v_mul_f32_e32 v24, v21, v20
	s_wait_alu 0xfffe
	v_add_co_u32 v20, vcc_lo, v44, s26
	s_wait_alu 0xfffd
	v_add_co_ci_u32_e64 v21, null, s27, v45, vcc_lo
	v_movreld_b32_e32 v2, v24
	flat_store_b32 v[20:21], v24
	s_cbranch_scc1 .LBB19_37
.LBB19_48:                              ;   Parent Loop BB19_5 Depth=1
                                        ;     Parent Loop BB19_35 Depth=2
                                        ;       Parent Loop BB19_38 Depth=3
                                        ; =>      This Loop Header: Depth=4
                                        ;           Child Loop BB19_50 Depth 5
	s_mov_b64 s[26:27], 0
	s_wait_alu 0xfffe
	s_cmp_eq_u32 s24, 0
	s_cbranch_scc1 .LBB19_47
; %bb.49:                               ;   in Loop: Header=BB19_48 Depth=4
	s_mov_b32 s40, s14
.LBB19_50:                              ;   Parent Loop BB19_5 Depth=1
                                        ;     Parent Loop BB19_35 Depth=2
                                        ;       Parent Loop BB19_38 Depth=3
                                        ;         Parent Loop BB19_48 Depth=4
                                        ; =>        This Inner Loop Header: Depth=5
	s_wait_alu 0xfffe
	v_mov_b32_e32 v20, s40
	s_mov_b32 m0, s26
	s_add_nc_u64 s[26:27], s[26:27], 1
	v_movrels_b32_e32 v21, v2
	s_mov_b32 m0, s24
	ds_load_b32 v20, v20
	v_movrels_b32_e32 v24, v2
	s_add_co_i32 s40, s40, 64
	s_wait_alu 0xfffe
	s_cmp_eq_u32 s24, s26
	s_wait_dscnt 0x0
	v_fma_f32 v20, -v21, v20, v24
	s_delay_alu instid0(VALU_DEP_1)
	v_movreld_b32_e32 v2, v20
	s_cbranch_scc0 .LBB19_50
	s_branch .LBB19_46
.LBB19_51:                              ;   in Loop: Header=BB19_35 Depth=2
	s_cmp_lt_i32 s16, s30
	s_cselect_b32 s17, -1, 0
	s_add_co_i32 s14, s18, 1
	s_cmp_lt_u32 s18, 2
	s_cselect_b32 s18, -1, 0
	s_wait_alu 0xfffe
	s_and_b32 s17, s17, s18
	s_delay_alu instid0(SALU_CYCLE_1)
	s_and_not1_b32 vcc_lo, exec_lo, s17
	s_wait_alu 0xfffe
	s_cbranch_vccnz .LBB19_2
; %bb.52:                               ;   in Loop: Header=BB19_35 Depth=2
	s_mov_b32 s18, s14
	s_branch .LBB19_35
.LBB19_53:
	s_endpgm
	.section	.rodata,"a",@progbits
	.p2align	6, 0x0
	.amdhsa_kernel _ZL30rocblas_trsm_small_left_deviceILi16ELi16ELb1EffPKPKfPKPfEv13rocblas_fill_18rocblas_operation_17rocblas_diagonal_iiT3_T4_lilT5_lili
		.amdhsa_group_segment_fixed_size 1024
		.amdhsa_private_segment_fixed_size 0
		.amdhsa_kernarg_size 352
		.amdhsa_user_sgpr_count 2
		.amdhsa_user_sgpr_dispatch_ptr 0
		.amdhsa_user_sgpr_queue_ptr 0
		.amdhsa_user_sgpr_kernarg_segment_ptr 1
		.amdhsa_user_sgpr_dispatch_id 0
		.amdhsa_user_sgpr_private_segment_size 0
		.amdhsa_wavefront_size32 1
		.amdhsa_uses_dynamic_stack 0
		.amdhsa_enable_private_segment 0
		.amdhsa_system_sgpr_workgroup_id_x 1
		.amdhsa_system_sgpr_workgroup_id_y 0
		.amdhsa_system_sgpr_workgroup_id_z 1
		.amdhsa_system_sgpr_workgroup_info 0
		.amdhsa_system_vgpr_workitem_id 0
		.amdhsa_next_free_vgpr 49
		.amdhsa_next_free_sgpr 43
		.amdhsa_reserve_vcc 1
		.amdhsa_float_round_mode_32 0
		.amdhsa_float_round_mode_16_64 0
		.amdhsa_float_denorm_mode_32 3
		.amdhsa_float_denorm_mode_16_64 3
		.amdhsa_fp16_overflow 0
		.amdhsa_workgroup_processor_mode 1
		.amdhsa_memory_ordered 1
		.amdhsa_forward_progress 1
		.amdhsa_inst_pref_size 20
		.amdhsa_round_robin_scheduling 0
		.amdhsa_exception_fp_ieee_invalid_op 0
		.amdhsa_exception_fp_denorm_src 0
		.amdhsa_exception_fp_ieee_div_zero 0
		.amdhsa_exception_fp_ieee_overflow 0
		.amdhsa_exception_fp_ieee_underflow 0
		.amdhsa_exception_fp_ieee_inexact 0
		.amdhsa_exception_int_div_zero 0
	.end_amdhsa_kernel
	.section	.text._ZL30rocblas_trsm_small_left_deviceILi16ELi16ELb1EffPKPKfPKPfEv13rocblas_fill_18rocblas_operation_17rocblas_diagonal_iiT3_T4_lilT5_lili,"axG",@progbits,_ZL30rocblas_trsm_small_left_deviceILi16ELi16ELb1EffPKPKfPKPfEv13rocblas_fill_18rocblas_operation_17rocblas_diagonal_iiT3_T4_lilT5_lili,comdat
.Lfunc_end19:
	.size	_ZL30rocblas_trsm_small_left_deviceILi16ELi16ELb1EffPKPKfPKPfEv13rocblas_fill_18rocblas_operation_17rocblas_diagonal_iiT3_T4_lilT5_lili, .Lfunc_end19-_ZL30rocblas_trsm_small_left_deviceILi16ELi16ELb1EffPKPKfPKPfEv13rocblas_fill_18rocblas_operation_17rocblas_diagonal_iiT3_T4_lilT5_lili
                                        ; -- End function
	.set _ZL30rocblas_trsm_small_left_deviceILi16ELi16ELb1EffPKPKfPKPfEv13rocblas_fill_18rocblas_operation_17rocblas_diagonal_iiT3_T4_lilT5_lili.num_vgpr, 49
	.set _ZL30rocblas_trsm_small_left_deviceILi16ELi16ELb1EffPKPKfPKPfEv13rocblas_fill_18rocblas_operation_17rocblas_diagonal_iiT3_T4_lilT5_lili.num_agpr, 0
	.set _ZL30rocblas_trsm_small_left_deviceILi16ELi16ELb1EffPKPKfPKPfEv13rocblas_fill_18rocblas_operation_17rocblas_diagonal_iiT3_T4_lilT5_lili.numbered_sgpr, 43
	.set _ZL30rocblas_trsm_small_left_deviceILi16ELi16ELb1EffPKPKfPKPfEv13rocblas_fill_18rocblas_operation_17rocblas_diagonal_iiT3_T4_lilT5_lili.num_named_barrier, 0
	.set _ZL30rocblas_trsm_small_left_deviceILi16ELi16ELb1EffPKPKfPKPfEv13rocblas_fill_18rocblas_operation_17rocblas_diagonal_iiT3_T4_lilT5_lili.private_seg_size, 0
	.set _ZL30rocblas_trsm_small_left_deviceILi16ELi16ELb1EffPKPKfPKPfEv13rocblas_fill_18rocblas_operation_17rocblas_diagonal_iiT3_T4_lilT5_lili.uses_vcc, 1
	.set _ZL30rocblas_trsm_small_left_deviceILi16ELi16ELb1EffPKPKfPKPfEv13rocblas_fill_18rocblas_operation_17rocblas_diagonal_iiT3_T4_lilT5_lili.uses_flat_scratch, 0
	.set _ZL30rocblas_trsm_small_left_deviceILi16ELi16ELb1EffPKPKfPKPfEv13rocblas_fill_18rocblas_operation_17rocblas_diagonal_iiT3_T4_lilT5_lili.has_dyn_sized_stack, 0
	.set _ZL30rocblas_trsm_small_left_deviceILi16ELi16ELb1EffPKPKfPKPfEv13rocblas_fill_18rocblas_operation_17rocblas_diagonal_iiT3_T4_lilT5_lili.has_recursion, 0
	.set _ZL30rocblas_trsm_small_left_deviceILi16ELi16ELb1EffPKPKfPKPfEv13rocblas_fill_18rocblas_operation_17rocblas_diagonal_iiT3_T4_lilT5_lili.has_indirect_call, 0
	.section	.AMDGPU.csdata,"",@progbits
; Kernel info:
; codeLenInByte = 2516
; TotalNumSgprs: 45
; NumVgprs: 49
; ScratchSize: 0
; MemoryBound: 0
; FloatMode: 240
; IeeeMode: 1
; LDSByteSize: 1024 bytes/workgroup (compile time only)
; SGPRBlocks: 0
; VGPRBlocks: 6
; NumSGPRsForWavesPerEU: 45
; NumVGPRsForWavesPerEU: 49
; Occupancy: 16
; WaveLimiterHint : 1
; COMPUTE_PGM_RSRC2:SCRATCH_EN: 0
; COMPUTE_PGM_RSRC2:USER_SGPR: 2
; COMPUTE_PGM_RSRC2:TRAP_HANDLER: 0
; COMPUTE_PGM_RSRC2:TGID_X_EN: 1
; COMPUTE_PGM_RSRC2:TGID_Y_EN: 0
; COMPUTE_PGM_RSRC2:TGID_Z_EN: 1
; COMPUTE_PGM_RSRC2:TIDIG_COMP_CNT: 0
	.section	.text._ZL31rocblas_trsm_small_right_deviceIffPKPKfPKPfLi16EEv13rocblas_fill_18rocblas_operation_17rocblas_diagonal_iiT0_T1_lilT2_lili,"axG",@progbits,_ZL31rocblas_trsm_small_right_deviceIffPKPKfPKPfLi16EEv13rocblas_fill_18rocblas_operation_17rocblas_diagonal_iiT0_T1_lilT2_lili,comdat
	.globl	_ZL31rocblas_trsm_small_right_deviceIffPKPKfPKPfLi16EEv13rocblas_fill_18rocblas_operation_17rocblas_diagonal_iiT0_T1_lilT2_lili ; -- Begin function _ZL31rocblas_trsm_small_right_deviceIffPKPKfPKPfLi16EEv13rocblas_fill_18rocblas_operation_17rocblas_diagonal_iiT0_T1_lilT2_lili
	.p2align	8
	.type	_ZL31rocblas_trsm_small_right_deviceIffPKPKfPKPfLi16EEv13rocblas_fill_18rocblas_operation_17rocblas_diagonal_iiT0_T1_lilT2_lili,@function
_ZL31rocblas_trsm_small_right_deviceIffPKPKfPKPfLi16EEv13rocblas_fill_18rocblas_operation_17rocblas_diagonal_iiT0_T1_lilT2_lili: ; @_ZL31rocblas_trsm_small_right_deviceIffPKPKfPKPfLi16EEv13rocblas_fill_18rocblas_operation_17rocblas_diagonal_iiT0_T1_lilT2_lili
; %bb.0:
	s_load_b32 s22, s[0:1], 0x58
	s_lshr_b32 s2, ttmp7, 16
	s_wait_kmcnt 0x0
	s_cmp_ge_u32 s2, s22
	s_cbranch_scc1 .LBB20_82
; %bb.1:
	s_clause 0x6
	s_load_b32 s20, s[0:1], 0x28
	s_load_b32 s30, s[0:1], 0x48
	s_load_b128 s[12:15], s[0:1], 0x0
	s_load_b64 s[16:17], s[0:1], 0x10
	s_load_b32 s3, s[0:1], 0x60
	s_load_b128 s[4:7], s[0:1], 0x18
	s_load_b128 s[8:11], s[0:1], 0x38
	s_mov_b32 s18, ttmp9
	v_dual_mov_b32 v5, 0 :: v_dual_lshlrev_b32 v4, 2, v0
	v_dual_mov_b32 v10, 1.0 :: v_dual_lshlrev_b32 v1, 6, v0
	v_lshlrev_b32_e32 v11, 2, v0
	s_delay_alu instid0(VALU_DEP_3) | instskip(NEXT) | instid1(VALU_DEP_3)
	v_or_b32_e32 v6, 0x400, v4
	v_add_nc_u32_e32 v9, v4, v1
	s_wait_kmcnt 0x0
	s_ashr_i32 s21, s20, 31
	s_ashr_i32 s31, s30, 31
	s_cmp_lg_u32 s12, 0x7a
	s_cselect_b32 s25, -1, 0
	s_min_i32 s1, s16, 16
	s_lshl_b32 s0, ttmp9, 4
	s_add_co_i32 s3, s3, -1
	s_add_co_i32 s23, s1, -1
	s_sub_co_i32 s0, s15, s0
	s_cmp_ge_u32 ttmp9, s3
	s_mul_i32 s33, s1, 0x44
	s_cselect_b32 s15, s0, 16
	s_ashr_i32 s19, ttmp9, 31
	v_cmp_gt_i32_e32 vcc_lo, s15, v0
	s_lshl_b64 s[18:19], s[18:19], 6
	s_cmp_eq_u32 s14, 0x84
	v_cmp_gt_i32_e64 s0, s1, v0
	s_cselect_b32 s24, -1, 0
	s_cmp_gt_i32 s16, 0
	s_mov_b32 s3, 0
	s_cselect_b32 s14, -1, 0
	s_cmp_lg_u32 s13, 0x6f
	s_cselect_b32 s13, -1, 0
	s_cmp_lg_u32 s12, 0x79
	s_cselect_b32 s12, -1, 0
	s_or_b32 s25, s25, s13
	s_or_b32 s26, s12, s13
	s_cmp_gt_i32 s16, 3
	v_cndmask_b32_e64 v7, 0, 1, s12
	s_cselect_b32 s27, -1, 0
	s_lshl_b64 s[12:13], s[20:21], 2
	s_lshl_b32 s20, s1, 6
	s_lshl_b32 s35, s1, 2
	v_or_b32_e32 v2, s20, v4
	s_wait_alu 0xfffe
	s_and_b32 s28, vcc_lo, s14
	s_lshl_b64 s[14:15], s[30:31], 2
	s_add_co_i32 s29, s33, 0xffffffb0
	s_sub_co_i32 s30, s20, 64
	v_add_nc_u32_e32 v8, 0x3c0, v2
	s_add_co_i32 s31, s20, 0xffffffbc
	s_addk_co_i32 s33, 0xfefc
	s_add_co_i32 s34, s35, -4
	s_addk_co_i32 s35, 0xffbc
	s_lshl_b64 s[6:7], s[6:7], 2
	s_lshl_b64 s[10:11], s[10:11], 2
	s_branch .LBB20_3
.LBB20_2:                               ;   in Loop: Header=BB20_3 Depth=1
	s_wait_alu 0xfffe
	s_or_b32 exec_lo, exec_lo, s20
	s_add_co_i32 s2, s2, 0x10000
	s_delay_alu instid0(SALU_CYCLE_1)
	s_cmp_lt_u32 s2, s22
	s_cbranch_scc0 .LBB20_82
.LBB20_3:                               ; =>This Loop Header: Depth=1
                                        ;     Child Loop BB20_5 Depth 2
                                        ;     Child Loop BB20_10 Depth 2
                                        ;     Child Loop BB20_16 Depth 2
                                        ;       Child Loop BB20_17 Depth 3
                                        ;     Child Loop BB20_23 Depth 2
                                        ;       Child Loop BB20_24 Depth 3
                                        ;     Child Loop BB20_28 Depth 2
	;; [unrolled: 2-line block ×3, first 2 shown]
                                        ;     Child Loop BB20_41 Depth 2
                                        ;       Child Loop BB20_42 Depth 3
                                        ;       Child Loop BB20_44 Depth 3
                                        ;     Child Loop BB20_48 Depth 2
                                        ;       Child Loop BB20_49 Depth 3
                                        ;     Child Loop BB20_57 Depth 2
                                        ;     Child Loop BB20_62 Depth 2
                                        ;       Child Loop BB20_63 Depth 3
                                        ;       Child Loop BB20_65 Depth 3
                                        ;     Child Loop BB20_70 Depth 2
                                        ;       Child Loop BB20_71 Depth 3
                                        ;     Child Loop BB20_77 Depth 2
	;; [unrolled: 2-line block ×3, first 2 shown]
	s_lshl_b64 s[20:21], s[2:3], 3
	s_wait_alu 0xfffe
	s_add_nc_u64 s[36:37], s[8:9], s[20:21]
	global_load_b64 v[0:1], v5, s[36:37]
	s_and_saveexec_b32 s36, s0
	s_cbranch_execz .LBB20_8
; %bb.4:                                ;   in Loop: Header=BB20_3 Depth=1
	s_add_nc_u64 s[20:21], s[4:5], s[20:21]
	v_mov_b32_e32 v12, v4
	global_load_b64 v[2:3], v5, s[20:21]
	s_mov_b32 s20, s1
	s_wait_loadcnt 0x0
	v_add_co_u32 v2, vcc_lo, v2, s6
	s_wait_alu 0xfffd
	v_add_co_ci_u32_e64 v3, null, s7, v3, vcc_lo
	s_delay_alu instid0(VALU_DEP_2) | instskip(SKIP_1) | instid1(VALU_DEP_2)
	v_add_co_u32 v2, vcc_lo, v2, v11
	s_wait_alu 0xfffd
	v_add_co_ci_u32_e64 v3, null, 0, v3, vcc_lo
.LBB20_5:                               ;   Parent Loop BB20_3 Depth=1
                                        ; =>  This Inner Loop Header: Depth=2
	flat_load_b32 v13, v[2:3]
	v_add_co_u32 v2, vcc_lo, v2, s12
	s_wait_alu 0xfffd
	v_add_co_ci_u32_e64 v3, null, s13, v3, vcc_lo
	s_wait_alu 0xfffe
	s_add_co_i32 s20, s20, -1
	s_wait_alu 0xfffe
	s_cmp_eq_u32 s20, 0
	s_wait_loadcnt_dscnt 0x0
	ds_store_b32 v12, v13
	v_add_nc_u32_e32 v12, 64, v12
	s_cbranch_scc0 .LBB20_5
; %bb.6:                                ;   in Loop: Header=BB20_3 Depth=1
	s_and_b32 vcc_lo, exec_lo, s24
	s_wait_alu 0xfffe
	s_cbranch_vccz .LBB20_8
; %bb.7:                                ;   in Loop: Header=BB20_3 Depth=1
	ds_store_b32 v9, v10
.LBB20_8:                               ;   in Loop: Header=BB20_3 Depth=1
	s_wait_alu 0xfffe
	s_or_b32 exec_lo, exec_lo, s36
	s_wait_loadcnt 0x0
	v_add_co_u32 v0, vcc_lo, v0, s10
	s_wait_alu 0xfffd
	v_add_co_ci_u32_e64 v1, null, s11, v1, vcc_lo
	s_delay_alu instid0(VALU_DEP_2) | instskip(SKIP_1) | instid1(VALU_DEP_2)
	v_add_co_u32 v2, vcc_lo, v0, s18
	s_wait_alu 0xfffd
	v_add_co_ci_u32_e64 v3, null, s19, v1, vcc_lo
	s_and_saveexec_b32 s20, s28
	s_cbranch_execz .LBB20_11
; %bb.9:                                ;   in Loop: Header=BB20_3 Depth=1
	v_add_co_u32 v0, vcc_lo, v2, v11
	s_wait_alu 0xfffd
	v_add_co_ci_u32_e64 v1, null, 0, v3, vcc_lo
	v_mov_b32_e32 v12, v6
	s_mov_b32 s21, s16
.LBB20_10:                              ;   Parent Loop BB20_3 Depth=1
                                        ; =>  This Inner Loop Header: Depth=2
	flat_load_b32 v13, v[0:1]
	v_add_co_u32 v0, vcc_lo, v0, s14
	s_wait_alu 0xfffd
	v_add_co_ci_u32_e64 v1, null, s15, v1, vcc_lo
	s_wait_alu 0xfffe
	s_add_co_i32 s21, s21, -1
	s_wait_alu 0xfffe
	s_cmp_lg_u32 s21, 0
	s_wait_loadcnt_dscnt 0x0
	v_mul_f32_e32 v13, s17, v13
	ds_store_b32 v12, v13
	v_add_nc_u32_e32 v12, 64, v12
	s_cbranch_scc1 .LBB20_10
.LBB20_11:                              ;   in Loop: Header=BB20_3 Depth=1
	s_wait_alu 0xfffe
	s_or_b32 exec_lo, exec_lo, s20
	s_delay_alu instid0(SALU_CYCLE_1)
	s_and_b32 vcc_lo, exec_lo, s26
	s_mov_b32 s20, -1
	s_wait_dscnt 0x0
	; wave barrier
	global_inv scope:SCOPE_SE
	s_wait_alu 0xfffe
	s_cbranch_vccz .LBB20_67
; %bb.12:                               ;   in Loop: Header=BB20_3 Depth=1
	s_and_b32 vcc_lo, exec_lo, s25
	s_wait_alu 0xfffe
	s_cbranch_vccz .LBB20_46
; %bb.13:                               ;   in Loop: Header=BB20_3 Depth=1
	v_cmp_ne_u32_e32 vcc_lo, 1, v7
	s_cbranch_vccnz .LBB20_26
; %bb.14:                               ;   in Loop: Header=BB20_3 Depth=1
	s_and_not1_b32 vcc_lo, exec_lo, s27
	s_mov_b32 s36, 0
	s_wait_alu 0xfffe
	s_cbranch_vccnz .LBB20_20
; %bb.15:                               ;   in Loop: Header=BB20_3 Depth=1
	s_mov_b32 s20, 0
	s_mov_b32 s21, 0
.LBB20_16:                              ;   Parent Loop BB20_3 Depth=1
                                        ; =>  This Loop Header: Depth=2
                                        ;       Child Loop BB20_17 Depth 3
	s_wait_alu 0xfffe
	s_lshl_b32 s37, s21, 6
	s_or_b32 s36, s21, 1
	s_wait_alu 0xfffe
	v_add_nc_u32_e32 v12, s37, v6
	s_or_b32 s38, s37, 0xc0
	v_lshl_add_u32 v14, s36, 6, v6
	s_wait_alu 0xfffe
	v_dual_mov_b32 v16, v6 :: v_dual_add_nc_u32 v13, s38, v6
	ds_load_2addr_b32 v[0:1], v12 offset1:32
	ds_load_b32 v17, v14
	ds_load_b32 v15, v13
	s_cmp_eq_u32 s21, 0
	s_mov_b32 s38, s20
	s_mov_b32 s39, s21
	s_cbranch_scc1 .LBB20_18
.LBB20_17:                              ;   Parent Loop BB20_3 Depth=1
                                        ;     Parent Loop BB20_16 Depth=2
                                        ; =>    This Inner Loop Header: Depth=3
	s_wait_alu 0xfffe
	v_mov_b32_e32 v18, s38
	s_add_co_i32 s39, s39, -1
	s_add_co_i32 s38, s38, 64
	s_wait_alu 0xfffe
	s_cmp_eq_u32 s39, 0
	ds_load_b32 v22, v16
	ds_load_b128 v[18:21], v18
	v_add_nc_u32_e32 v16, 64, v16
	s_wait_dscnt 0x0
	v_fma_f32 v0, -v22, v18, v0
	v_fma_f32 v17, -v22, v19, v17
	v_fma_f32 v1, -v22, v20, v1
	v_fma_f32 v15, -v22, v21, v15
	s_cbranch_scc0 .LBB20_17
.LBB20_18:                              ;   in Loop: Header=BB20_16 Depth=2
	s_lshl_b32 s38, s21, 2
	s_lshl_b32 s36, s36, 2
	s_wait_alu 0xfffe
	s_add_co_i32 s37, s38, s37
	s_add_co_i32 s20, s20, 16
	s_wait_alu 0xfffe
	v_mov_b32_e32 v24, s37
	s_addk_co_i32 s37, 0x44
	ds_load_b128 v[18:21], v24
	ds_load_2addr_b32 v[22:23], v24 offset0:17 offset1:18
	s_wait_alu 0xfffe
	s_sub_co_i32 s36, s37, s36
	s_wait_alu 0xfffe
	s_add_co_i32 s36, s36, s38
	s_wait_dscnt 0x1
	v_div_scale_f32 v25, null, v18, v18, v0
	v_div_scale_f32 v28, vcc_lo, v0, v18, v0
	s_delay_alu instid0(VALU_DEP_2) | instskip(NEXT) | instid1(TRANS32_DEP_1)
	v_rcp_f32_e32 v26, v25
	v_fma_f32 v27, -v25, v26, 1.0
	s_delay_alu instid0(VALU_DEP_1) | instskip(NEXT) | instid1(VALU_DEP_1)
	v_fmac_f32_e32 v26, v27, v26
	v_dual_mul_f32 v27, v28, v26 :: v_dual_add_nc_u32 v16, 0x80, v12
	s_delay_alu instid0(VALU_DEP_1) | instskip(NEXT) | instid1(VALU_DEP_1)
	v_fma_f32 v29, -v25, v27, v28
	v_fmac_f32_e32 v27, v29, v26
	s_delay_alu instid0(VALU_DEP_1) | instskip(SKIP_1) | instid1(VALU_DEP_1)
	v_fma_f32 v25, -v25, v27, v28
	s_wait_alu 0xfffd
	v_div_fmas_f32 v25, v25, v26, v27
	s_delay_alu instid0(VALU_DEP_1) | instskip(NEXT) | instid1(VALU_DEP_1)
	v_div_fixup_f32 v0, v25, v18, v0
	v_fma_f32 v19, -v0, v19, v17
	v_fma_f32 v1, -v0, v20, v1
	;; [unrolled: 1-line block ×3, first 2 shown]
	ds_load_b32 v20, v24 offset:204
	s_wait_dscnt 0x1
	v_div_scale_f32 v25, null, v22, v22, v19
	v_div_scale_f32 v27, vcc_lo, v19, v22, v19
	s_delay_alu instid0(VALU_DEP_2) | instskip(NEXT) | instid1(TRANS32_DEP_1)
	v_rcp_f32_e32 v26, v25
	v_fma_f32 v17, -v25, v26, 1.0
	s_delay_alu instid0(VALU_DEP_1) | instskip(NEXT) | instid1(VALU_DEP_1)
	v_fmac_f32_e32 v26, v17, v26
	v_mul_f32_e32 v28, v27, v26
	s_delay_alu instid0(VALU_DEP_1) | instskip(NEXT) | instid1(VALU_DEP_1)
	v_fma_f32 v17, -v25, v28, v27
	v_fmac_f32_e32 v28, v17, v26
	ds_load_b64 v[17:18], v24 offset:136
	v_fma_f32 v25, -v25, v28, v27
	s_wait_alu 0xfffd
	s_delay_alu instid0(VALU_DEP_1) | instskip(NEXT) | instid1(VALU_DEP_1)
	v_div_fmas_f32 v25, v25, v26, v28
	v_div_fixup_f32 v19, v25, v22, v19
	s_delay_alu instid0(VALU_DEP_1) | instskip(SKIP_1) | instid1(VALU_DEP_1)
	v_fma_f32 v1, -v19, v23, v1
	s_wait_dscnt 0x0
	v_div_scale_f32 v22, null, v17, v17, v1
	v_div_scale_f32 v25, vcc_lo, v1, v17, v1
	s_delay_alu instid0(VALU_DEP_2) | instskip(NEXT) | instid1(TRANS32_DEP_1)
	v_rcp_f32_e32 v23, v22
	v_fma_f32 v24, -v22, v23, 1.0
	s_wait_alu 0xfffe
	s_delay_alu instid0(VALU_DEP_1)
	v_dual_fmac_f32 v23, v24, v23 :: v_dual_mov_b32 v24, s36
	s_add_co_i32 s36, s21, 4
	s_add_co_i32 s21, s21, 7
	s_wait_alu 0xfffe
	s_cmp_ge_i32 s21, s1
	v_mul_f32_e32 v26, v25, v23
	ds_load_b32 v24, v24 offset:12
	v_fma_f32 v27, -v22, v26, v25
	s_delay_alu instid0(VALU_DEP_1) | instskip(NEXT) | instid1(VALU_DEP_1)
	v_fmac_f32_e32 v26, v27, v23
	v_fma_f32 v22, -v22, v26, v25
	s_wait_alu 0xfffd
	s_delay_alu instid0(VALU_DEP_1) | instskip(SKIP_2) | instid1(VALU_DEP_2)
	v_div_fmas_f32 v21, v22, v23, v26
	s_wait_dscnt 0x0
	v_fma_f32 v15, -v19, v24, v15
	v_div_fixup_f32 v1, v21, v17, v1
	s_delay_alu instid0(VALU_DEP_1) | instskip(NEXT) | instid1(VALU_DEP_1)
	v_fma_f32 v15, -v1, v18, v15
	v_div_scale_f32 v17, null, v20, v20, v15
	v_div_scale_f32 v22, vcc_lo, v15, v20, v15
	s_delay_alu instid0(VALU_DEP_2) | instskip(NEXT) | instid1(TRANS32_DEP_1)
	v_rcp_f32_e32 v18, v17
	v_fma_f32 v21, -v17, v18, 1.0
	s_delay_alu instid0(VALU_DEP_1) | instskip(NEXT) | instid1(VALU_DEP_1)
	v_fmac_f32_e32 v18, v21, v18
	v_mul_f32_e32 v21, v22, v18
	s_delay_alu instid0(VALU_DEP_1) | instskip(NEXT) | instid1(VALU_DEP_1)
	v_fma_f32 v23, -v17, v21, v22
	v_fmac_f32_e32 v21, v23, v18
	s_delay_alu instid0(VALU_DEP_1) | instskip(SKIP_1) | instid1(VALU_DEP_1)
	v_fma_f32 v17, -v17, v21, v22
	s_wait_alu 0xfffd
	v_div_fmas_f32 v17, v17, v18, v21
	s_delay_alu instid0(VALU_DEP_1)
	v_div_fixup_f32 v15, v17, v20, v15
	ds_store_b32 v12, v0
	ds_store_b32 v14, v19
	;; [unrolled: 1-line block ×4, first 2 shown]
	s_cbranch_scc1 .LBB20_20
; %bb.19:                               ;   in Loop: Header=BB20_16 Depth=2
	s_mov_b32 s21, s36
	s_branch .LBB20_16
.LBB20_20:                              ;   in Loop: Header=BB20_3 Depth=1
	s_cmp_ge_i32 s36, s1
	s_cbranch_scc1 .LBB20_25
; %bb.21:                               ;   in Loop: Header=BB20_3 Depth=1
	s_lshl_b32 s20, s36, 2
	s_branch .LBB20_23
.LBB20_22:                              ;   in Loop: Header=BB20_23 Depth=2
	s_lshl_b32 s37, s36, 2
	s_add_co_i32 s36, s36, 1
	s_wait_alu 0xfffe
	s_add_co_i32 s21, s37, s21
	s_add_co_i32 s20, s20, 4
	s_wait_alu 0xfffe
	v_mov_b32_e32 v12, s21
	s_cmp_ge_i32 s36, s1
	ds_load_b32 v12, v12
	s_wait_dscnt 0x0
	v_div_scale_f32 v13, null, v12, v12, v1
	s_delay_alu instid0(VALU_DEP_1) | instskip(NEXT) | instid1(TRANS32_DEP_1)
	v_rcp_f32_e32 v14, v13
	v_fma_f32 v15, -v13, v14, 1.0
	s_delay_alu instid0(VALU_DEP_1) | instskip(SKIP_1) | instid1(VALU_DEP_1)
	v_fmac_f32_e32 v14, v15, v14
	v_div_scale_f32 v15, vcc_lo, v1, v12, v1
	v_mul_f32_e32 v16, v15, v14
	s_delay_alu instid0(VALU_DEP_1) | instskip(NEXT) | instid1(VALU_DEP_1)
	v_fma_f32 v17, -v13, v16, v15
	v_fmac_f32_e32 v16, v17, v14
	s_delay_alu instid0(VALU_DEP_1) | instskip(SKIP_1) | instid1(VALU_DEP_1)
	v_fma_f32 v13, -v13, v16, v15
	s_wait_alu 0xfffd
	v_div_fmas_f32 v13, v13, v14, v16
	s_delay_alu instid0(VALU_DEP_1)
	v_div_fixup_f32 v1, v13, v12, v1
	ds_store_b32 v0, v1
	s_cbranch_scc1 .LBB20_25
.LBB20_23:                              ;   Parent Loop BB20_3 Depth=1
                                        ; =>  This Loop Header: Depth=2
                                        ;       Child Loop BB20_24 Depth 3
	s_lshl_b32 s21, s36, 6
	v_mov_b32_e32 v12, v6
	s_wait_alu 0xfffe
	v_add_nc_u32_e32 v0, s21, v6
	s_cmp_eq_u32 s36, 0
	s_mov_b32 s37, s20
	s_mov_b32 s38, s36
	ds_load_b32 v1, v0
	s_cbranch_scc1 .LBB20_22
.LBB20_24:                              ;   Parent Loop BB20_3 Depth=1
                                        ;     Parent Loop BB20_23 Depth=2
                                        ; =>    This Inner Loop Header: Depth=3
	s_wait_alu 0xfffe
	v_mov_b32_e32 v13, s37
	s_add_co_i32 s38, s38, -1
	s_add_co_i32 s37, s37, 64
	s_wait_alu 0xfffe
	s_cmp_eq_u32 s38, 0
	ds_load_b32 v14, v12
	ds_load_b32 v13, v13
	v_add_nc_u32_e32 v12, 64, v12
	s_wait_dscnt 0x0
	v_fma_f32 v1, -v14, v13, v1
	s_cbranch_scc0 .LBB20_24
	s_branch .LBB20_22
.LBB20_25:                              ;   in Loop: Header=BB20_3 Depth=1
	s_mov_b32 s20, 0
.LBB20_26:                              ;   in Loop: Header=BB20_3 Depth=1
	s_wait_alu 0xfffe
	s_and_b32 vcc_lo, exec_lo, s20
	s_wait_alu 0xfffe
	s_cbranch_vccz .LBB20_45
; %bb.27:                               ;   in Loop: Header=BB20_3 Depth=1
	s_mov_b32 s36, s23
	s_and_not1_b32 vcc_lo, exec_lo, s27
	s_mov_b32 s20, s29
	s_mov_b32 s21, s23
	s_wait_alu 0xfffe
	s_cbranch_vccnz .LBB20_32
.LBB20_28:                              ;   Parent Loop BB20_3 Depth=1
                                        ; =>  This Loop Header: Depth=2
                                        ;       Child Loop BB20_29 Depth 3
	s_wait_alu 0xfffe
	s_add_co_i32 s38, s21, -1
	s_add_co_i32 s39, s21, -3
	v_lshl_add_u32 v0, s21, 6, v6
	s_add_co_i32 s37, s21, -2
	s_wait_alu 0xfffe
	v_lshl_add_u32 v1, s38, 6, v6
	s_lshl_b32 s36, s39, 6
	v_lshl_add_u32 v12, s37, 6, v6
	s_wait_alu 0xfffe
	v_dual_mov_b32 v18, v8 :: v_dual_add_nc_u32 v13, s36, v6
	ds_load_b32 v17, v0
	ds_load_b32 v16, v1
	;; [unrolled: 1-line block ×4, first 2 shown]
	s_cmp_le_i32 s23, s21
	s_mov_b32 s40, s20
	s_mov_b32 s41, s23
	s_cbranch_scc1 .LBB20_30
.LBB20_29:                              ;   Parent Loop BB20_3 Depth=1
                                        ;     Parent Loop BB20_28 Depth=2
                                        ; =>    This Inner Loop Header: Depth=3
	s_wait_alu 0xfffe
	v_mov_b32_e32 v21, s40
	s_add_co_i32 s41, s41, -1
	s_sub_co_i32 s40, s40, 64
	s_wait_alu 0xfffe
	s_cmp_le_i32 s41, s21
	ds_load_b32 v23, v18
	ds_load_2addr_b32 v[19:20], v21 offset0:2 offset1:3
	ds_load_2addr_b32 v[21:22], v21 offset1:1
	v_subrev_nc_u32_e32 v18, 64, v18
	s_wait_dscnt 0x1
	v_fma_f32 v17, -v23, v20, v17
	v_fma_f32 v16, -v23, v19, v16
	s_wait_dscnt 0x0
	v_fma_f32 v15, -v23, v22, v15
	v_fma_f32 v14, -v23, v21, v14
	s_cbranch_scc0 .LBB20_29
.LBB20_30:                              ;   in Loop: Header=BB20_28 Depth=2
	s_lshl_b32 s40, s21, 2
	s_lshl_b32 s41, s21, 6
	;; [unrolled: 1-line block ×3, first 2 shown]
	s_wait_alu 0xfffe
	s_add_co_i32 s41, s40, s41
	s_add_co_i32 s36, s40, s36
	s_wait_alu 0xfffe
	s_add_co_i32 s42, s41, -4
	s_add_co_i32 s41, s41, -12
	s_wait_alu 0xfffe
	v_dual_mov_b32 v18, s42 :: v_dual_mov_b32 v21, s41
	s_lshl_b32 s42, s38, 6
	s_lshl_b32 s38, s38, 2
	s_wait_alu 0xfffe
	s_add_co_i32 s42, s40, s42
	ds_load_2addr_b32 v[18:19], v18 offset1:1
	s_wait_alu 0xfffe
	s_add_co_i32 s42, s42, -4
	s_add_co_i32 s36, s36, -12
	s_wait_alu 0xfffe
	s_sub_co_i32 s38, s42, s38
	s_add_co_i32 s20, s20, -16
	s_wait_alu 0xfffe
	s_add_co_i32 s38, s38, s39
	s_wait_dscnt 0x0
	v_div_scale_f32 v25, null, v19, v19, v17
	v_div_scale_f32 v28, vcc_lo, v17, v19, v17
	s_delay_alu instid0(VALU_DEP_2) | instskip(NEXT) | instid1(TRANS32_DEP_1)
	v_rcp_f32_e32 v26, v25
	v_fma_f32 v27, -v25, v26, 1.0
	s_delay_alu instid0(VALU_DEP_1) | instskip(NEXT) | instid1(VALU_DEP_1)
	v_fmac_f32_e32 v26, v27, v26
	v_dual_mov_b32 v20, s42 :: v_dual_mul_f32 v27, v28, v26
	s_delay_alu instid0(VALU_DEP_1)
	v_fma_f32 v29, -v25, v27, v28
	s_wait_alu 0xfffe
	v_mov_b32_e32 v22, s38
	s_lshl_b32 s38, s37, 6
	s_lshl_b32 s37, s37, 2
	s_wait_alu 0xfffe
	s_add_co_i32 s38, s40, s38
	v_fmac_f32_e32 v27, v29, v26
	ds_load_b32 v24, v20
	ds_load_2addr_b32 v[20:21], v21 offset1:1
	ds_load_2addr_b32 v[22:23], v22 offset1:1
	s_wait_alu 0xfffe
	s_sub_co_i32 s37, s38, s37
	s_wait_alu 0xfffe
	s_add_co_i32 s37, s37, s39
	v_fma_f32 v25, -v25, v27, v28
	s_wait_alu 0xfffe
	s_add_co_i32 s37, s37, -8
	s_wait_alu 0xfffd
	s_delay_alu instid0(VALU_DEP_1) | instskip(NEXT) | instid1(VALU_DEP_1)
	v_div_fmas_f32 v25, v25, v26, v27
	v_div_fixup_f32 v19, v25, v19, v17
	s_wait_alu 0xfffe
	v_mov_b32_e32 v17, s37
	s_delay_alu instid0(VALU_DEP_2)
	v_fma_f32 v18, -v19, v18, v16
	s_wait_dscnt 0x1
	v_fma_f32 v15, -v19, v21, v15
	v_fma_f32 v14, -v19, v20, v14
	v_mov_b32_e32 v21, s36
	s_add_co_i32 s36, s21, -4
	v_div_scale_f32 v25, null, v24, v24, v18
	v_div_scale_f32 v27, vcc_lo, v18, v24, v18
	s_cmp_lt_i32 s21, 7
	v_rcp_f32_e32 v26, v25
	ds_load_b32 v21, v21
	v_fma_f32 v16, -v25, v26, 1.0
	s_delay_alu instid0(VALU_DEP_1) | instskip(NEXT) | instid1(VALU_DEP_1)
	v_fmac_f32_e32 v26, v16, v26
	v_mul_f32_e32 v28, v27, v26
	s_delay_alu instid0(VALU_DEP_1) | instskip(NEXT) | instid1(VALU_DEP_1)
	v_fma_f32 v16, -v25, v28, v27
	v_fmac_f32_e32 v28, v16, v26
	ds_load_2addr_b32 v[16:17], v17 offset1:1
	v_fma_f32 v25, -v25, v28, v27
	s_wait_alu 0xfffd
	s_delay_alu instid0(VALU_DEP_1) | instskip(NEXT) | instid1(VALU_DEP_1)
	v_div_fmas_f32 v25, v25, v26, v28
	v_div_fixup_f32 v18, v25, v24, v18
	s_wait_dscnt 0x2
	s_delay_alu instid0(VALU_DEP_1) | instskip(SKIP_2) | instid1(VALU_DEP_2)
	v_fma_f32 v15, -v18, v23, v15
	v_fma_f32 v14, -v18, v22, v14
	s_wait_dscnt 0x0
	v_div_scale_f32 v23, null, v17, v17, v15
	v_div_scale_f32 v26, vcc_lo, v15, v17, v15
	s_delay_alu instid0(VALU_DEP_2) | instskip(NEXT) | instid1(TRANS32_DEP_1)
	v_rcp_f32_e32 v24, v23
	v_fma_f32 v25, -v23, v24, 1.0
	s_delay_alu instid0(VALU_DEP_1) | instskip(NEXT) | instid1(VALU_DEP_1)
	v_fmac_f32_e32 v24, v25, v24
	v_mul_f32_e32 v25, v26, v24
	s_delay_alu instid0(VALU_DEP_1) | instskip(NEXT) | instid1(VALU_DEP_1)
	v_fma_f32 v27, -v23, v25, v26
	v_fmac_f32_e32 v25, v27, v24
	s_delay_alu instid0(VALU_DEP_1) | instskip(SKIP_1) | instid1(VALU_DEP_1)
	v_fma_f32 v23, -v23, v25, v26
	s_wait_alu 0xfffd
	v_div_fmas_f32 v20, v23, v24, v25
	s_delay_alu instid0(VALU_DEP_1) | instskip(NEXT) | instid1(VALU_DEP_1)
	v_div_fixup_f32 v15, v20, v17, v15
	v_fma_f32 v14, -v15, v16, v14
	s_delay_alu instid0(VALU_DEP_1) | instskip(SKIP_1) | instid1(VALU_DEP_2)
	v_div_scale_f32 v16, null, v21, v21, v14
	v_div_scale_f32 v22, vcc_lo, v14, v21, v14
	v_rcp_f32_e32 v17, v16
	s_delay_alu instid0(TRANS32_DEP_1) | instskip(NEXT) | instid1(VALU_DEP_1)
	v_fma_f32 v20, -v16, v17, 1.0
	v_fmac_f32_e32 v17, v20, v17
	s_delay_alu instid0(VALU_DEP_1) | instskip(NEXT) | instid1(VALU_DEP_1)
	v_mul_f32_e32 v20, v22, v17
	v_fma_f32 v23, -v16, v20, v22
	s_delay_alu instid0(VALU_DEP_1) | instskip(NEXT) | instid1(VALU_DEP_1)
	v_fmac_f32_e32 v20, v23, v17
	v_fma_f32 v16, -v16, v20, v22
	s_wait_alu 0xfffd
	s_delay_alu instid0(VALU_DEP_1) | instskip(NEXT) | instid1(VALU_DEP_1)
	v_div_fmas_f32 v16, v16, v17, v20
	v_div_fixup_f32 v14, v16, v21, v14
	ds_store_b32 v0, v19
	ds_store_b32 v1, v18
	;; [unrolled: 1-line block ×4, first 2 shown]
	s_cbranch_scc1 .LBB20_32
; %bb.31:                               ;   in Loop: Header=BB20_28 Depth=2
	s_wait_alu 0xfffe
	s_mov_b32 s21, s36
	s_branch .LBB20_28
.LBB20_32:                              ;   in Loop: Header=BB20_3 Depth=1
	s_wait_alu 0xfffe
	s_cmp_lt_i32 s36, 0
	s_cbranch_scc1 .LBB20_45
; %bb.33:                               ;   in Loop: Header=BB20_3 Depth=1
	s_bitcmp1_b32 s36, 0
	s_cselect_b32 s20, -1, 0
	s_wait_alu 0xfffe
	s_and_b32 vcc_lo, exec_lo, s20
	s_mov_b32 s20, s36
	s_wait_alu 0xfffe
	s_cbranch_vccnz .LBB20_38
; %bb.34:                               ;   in Loop: Header=BB20_3 Depth=1
	s_lshl_b32 s20, s36, 6
	s_cmp_le_i32 s23, s36
	s_wait_alu 0xfffe
	v_add_nc_u32_e32 v0, s20, v6
	ds_load_b32 v1, v0
	s_cbranch_scc1 .LBB20_37
; %bb.35:                               ;   in Loop: Header=BB20_3 Depth=1
	v_mov_b32_e32 v12, v8
	s_lshl_b32 s21, s36, 2
	s_mov_b32 s37, s23
	s_wait_alu 0xfffe
	s_add_co_i32 s21, s30, s21
.LBB20_36:                              ;   Parent Loop BB20_3 Depth=1
                                        ; =>  This Inner Loop Header: Depth=2
	s_wait_alu 0xfffe
	v_mov_b32_e32 v13, s21
	s_add_co_i32 s37, s37, -1
	s_sub_co_i32 s21, s21, 64
	s_wait_alu 0xfffe
	s_cmp_gt_i32 s37, s36
	ds_load_b32 v14, v12
	ds_load_b32 v13, v13
	v_subrev_nc_u32_e32 v12, 64, v12
	s_wait_dscnt 0x0
	v_fma_f32 v1, -v14, v13, v1
	s_cbranch_scc1 .LBB20_36
.LBB20_37:                              ;   in Loop: Header=BB20_3 Depth=1
	s_lshl_b32 s21, s36, 2
	s_wait_alu 0xfffe
	s_add_co_i32 s20, s21, s20
	s_wait_alu 0xfffe
	v_mov_b32_e32 v12, s20
	s_add_co_i32 s20, s36, -1
	ds_load_b32 v12, v12
	s_wait_dscnt 0x0
	v_div_scale_f32 v13, null, v12, v12, v1
	s_delay_alu instid0(VALU_DEP_1) | instskip(NEXT) | instid1(TRANS32_DEP_1)
	v_rcp_f32_e32 v14, v13
	v_fma_f32 v15, -v13, v14, 1.0
	s_delay_alu instid0(VALU_DEP_1) | instskip(SKIP_1) | instid1(VALU_DEP_1)
	v_fmac_f32_e32 v14, v15, v14
	v_div_scale_f32 v15, vcc_lo, v1, v12, v1
	v_mul_f32_e32 v16, v15, v14
	s_delay_alu instid0(VALU_DEP_1) | instskip(NEXT) | instid1(VALU_DEP_1)
	v_fma_f32 v17, -v13, v16, v15
	v_fmac_f32_e32 v16, v17, v14
	s_delay_alu instid0(VALU_DEP_1) | instskip(SKIP_1) | instid1(VALU_DEP_1)
	v_fma_f32 v13, -v13, v16, v15
	s_wait_alu 0xfffd
	v_div_fmas_f32 v13, v13, v14, v16
	s_delay_alu instid0(VALU_DEP_1)
	v_div_fixup_f32 v1, v13, v12, v1
	ds_store_b32 v0, v1
.LBB20_38:                              ;   in Loop: Header=BB20_3 Depth=1
	s_cmp_eq_u32 s36, 0
	s_cbranch_scc1 .LBB20_45
; %bb.39:                               ;   in Loop: Header=BB20_3 Depth=1
	s_wait_alu 0xfffe
	s_lshl_b32 s36, s20, 2
	s_wait_alu 0xfffe
	s_add_co_i32 s21, s30, s36
	s_add_co_i32 s36, s31, s36
	s_branch .LBB20_41
.LBB20_40:                              ;   in Loop: Header=BB20_41 Depth=2
	s_add_co_i32 s37, s37, s38
	s_add_co_i32 s21, s21, -8
	s_wait_alu 0xfffe
	s_add_co_i32 s37, s37, -4
	s_add_co_i32 s36, s36, -8
	s_wait_alu 0xfffe
	v_mov_b32_e32 v0, s37
	s_add_co_i32 s37, s20, -2
	s_cmp_lt_i32 s20, 2
	s_wait_alu 0xfffe
	s_mov_b32 s20, s37
	ds_load_b32 v0, v0
	s_wait_dscnt 0x0
	v_div_scale_f32 v12, null, v0, v0, v13
	v_div_scale_f32 v16, vcc_lo, v13, v0, v13
	s_delay_alu instid0(VALU_DEP_2) | instskip(NEXT) | instid1(TRANS32_DEP_1)
	v_rcp_f32_e32 v14, v12
	v_fma_f32 v15, -v12, v14, 1.0
	s_delay_alu instid0(VALU_DEP_1) | instskip(NEXT) | instid1(VALU_DEP_1)
	v_fmac_f32_e32 v14, v15, v14
	v_mul_f32_e32 v15, v16, v14
	s_delay_alu instid0(VALU_DEP_1) | instskip(NEXT) | instid1(VALU_DEP_1)
	v_fma_f32 v17, -v12, v15, v16
	v_fmac_f32_e32 v15, v17, v14
	s_delay_alu instid0(VALU_DEP_1) | instskip(SKIP_1) | instid1(VALU_DEP_1)
	v_fma_f32 v12, -v12, v15, v16
	s_wait_alu 0xfffd
	v_div_fmas_f32 v12, v12, v14, v15
	s_delay_alu instid0(VALU_DEP_1)
	v_div_fixup_f32 v0, v12, v0, v13
	ds_store_b32 v1, v0
	s_cbranch_scc1 .LBB20_45
.LBB20_41:                              ;   Parent Loop BB20_3 Depth=1
                                        ; =>  This Loop Header: Depth=2
                                        ;       Child Loop BB20_42 Depth 3
                                        ;       Child Loop BB20_44 Depth 3
	s_wait_alu 0xfffe
	s_lshl_b32 s38, s20, 6
	s_cmp_le_i32 s23, s20
	s_wait_alu 0xfffe
	v_dual_mov_b32 v1, v8 :: v_dual_add_nc_u32 v0, s38, v6
	s_mov_b32 s37, s21
	s_mov_b32 s39, s23
	ds_load_b32 v12, v0
	s_cbranch_scc1 .LBB20_43
.LBB20_42:                              ;   Parent Loop BB20_3 Depth=1
                                        ;     Parent Loop BB20_41 Depth=2
                                        ; =>    This Inner Loop Header: Depth=3
	s_wait_alu 0xfffe
	v_mov_b32_e32 v13, s37
	s_add_co_i32 s39, s39, -1
	s_sub_co_i32 s37, s37, 64
	s_wait_alu 0xfffe
	s_cmp_le_i32 s39, s20
	ds_load_b32 v14, v1
	ds_load_b32 v13, v13
	v_subrev_nc_u32_e32 v1, 64, v1
	s_wait_dscnt 0x0
	v_fma_f32 v12, -v14, v13, v12
	s_cbranch_scc0 .LBB20_42
.LBB20_43:                              ;   in Loop: Header=BB20_41 Depth=2
	s_lshl_b32 s37, s20, 2
	s_mov_b32 s40, s1
	s_wait_alu 0xfffe
	s_add_co_i32 s39, s37, s38
	s_sub_co_i32 s38, s38, 64
	s_wait_alu 0xfffe
	v_mov_b32_e32 v1, s39
	s_cmp_le_i32 s1, s20
	s_mov_b32 s39, s36
	ds_load_b32 v14, v1
	s_wait_dscnt 0x0
	v_div_scale_f32 v15, null, v14, v14, v12
	s_delay_alu instid0(VALU_DEP_1) | instskip(NEXT) | instid1(TRANS32_DEP_1)
	v_rcp_f32_e32 v16, v15
	v_fma_f32 v17, -v15, v16, 1.0
	s_delay_alu instid0(VALU_DEP_1) | instskip(SKIP_1) | instid1(VALU_DEP_1)
	v_fmac_f32_e32 v16, v17, v16
	v_div_scale_f32 v17, vcc_lo, v12, v14, v12
	v_dual_mul_f32 v18, v17, v16 :: v_dual_add_nc_u32 v1, s38, v6
	ds_load_b32 v13, v1
	v_fma_f32 v19, -v15, v18, v17
	s_delay_alu instid0(VALU_DEP_1) | instskip(NEXT) | instid1(VALU_DEP_1)
	v_fmac_f32_e32 v18, v19, v16
	v_fma_f32 v15, -v15, v18, v17
	s_wait_alu 0xfffd
	s_delay_alu instid0(VALU_DEP_1) | instskip(NEXT) | instid1(VALU_DEP_1)
	v_div_fmas_f32 v15, v15, v16, v18
	v_div_fixup_f32 v14, v15, v14, v12
	v_mov_b32_e32 v12, v8
	ds_store_b32 v0, v14
	s_cbranch_scc1 .LBB20_40
.LBB20_44:                              ;   Parent Loop BB20_3 Depth=1
                                        ;     Parent Loop BB20_41 Depth=2
                                        ; =>    This Inner Loop Header: Depth=3
	s_wait_alu 0xfffe
	v_mov_b32_e32 v0, s39
	s_add_co_i32 s40, s40, -1
	s_sub_co_i32 s39, s39, 64
	s_wait_alu 0xfffe
	s_cmp_gt_i32 s40, s20
	ds_load_b32 v14, v12
	ds_load_b32 v0, v0
	v_subrev_nc_u32_e32 v12, 64, v12
	s_wait_dscnt 0x0
	v_fma_f32 v13, -v14, v0, v13
	s_cbranch_scc1 .LBB20_44
	s_branch .LBB20_40
.LBB20_45:                              ;   in Loop: Header=BB20_3 Depth=1
	s_mov_b32 s20, 0
.LBB20_46:                              ;   in Loop: Header=BB20_3 Depth=1
	s_wait_alu 0xfffe
	s_and_not1_b32 vcc_lo, exec_lo, s20
	s_wait_alu 0xfffe
	s_cbranch_vccnz .LBB20_66
; %bb.47:                               ;   in Loop: Header=BB20_3 Depth=1
	s_mov_b32 s36, s23
	s_and_not1_b32 vcc_lo, exec_lo, s27
	s_mov_b32 s20, s33
	s_mov_b32 s21, s23
	s_wait_alu 0xfffe
	s_cbranch_vccnz .LBB20_53
.LBB20_48:                              ;   Parent Loop BB20_3 Depth=1
                                        ; =>  This Loop Header: Depth=2
                                        ;       Child Loop BB20_49 Depth 3
	s_wait_alu 0xfffe
	s_add_co_i32 s39, s21, -1
	v_lshl_add_u32 v0, s21, 6, v6
	s_add_co_i32 s37, s21, -2
	s_wait_alu 0xfffe
	v_lshl_add_u32 v1, s39, 6, v6
	s_add_co_i32 s36, s21, -3
	v_lshl_add_u32 v12, s37, 6, v6
	s_wait_alu 0xfffe
	v_lshl_add_u32 v13, s36, 6, v6
	ds_load_b32 v17, v0
	ds_load_b32 v16, v1
	;; [unrolled: 1-line block ×4, first 2 shown]
	v_mov_b32_e32 v18, v8
	s_cmp_le_i32 s23, s21
	s_mov_b32 s38, s20
	s_mov_b32 s40, s23
	s_cbranch_scc1 .LBB20_50
.LBB20_49:                              ;   Parent Loop BB20_3 Depth=1
                                        ;     Parent Loop BB20_48 Depth=2
                                        ; =>    This Inner Loop Header: Depth=3
	s_wait_alu 0xfffe
	v_mov_b32_e32 v21, s38
	s_add_co_i32 s40, s40, -1
	s_add_co_i32 s38, s38, -4
	s_wait_alu 0xfffe
	s_cmp_le_i32 s40, s21
	ds_load_b32 v23, v18
	ds_load_2addr_b32 v[19:20], v21 offset0:32 offset1:48
	ds_load_2addr_b32 v[21:22], v21 offset1:16
	v_subrev_nc_u32_e32 v18, 64, v18
	s_wait_dscnt 0x1
	v_fma_f32 v17, -v23, v20, v17
	v_fma_f32 v16, -v23, v19, v16
	s_wait_dscnt 0x0
	v_fma_f32 v15, -v23, v22, v15
	v_fma_f32 v14, -v23, v21, v14
	s_cbranch_scc0 .LBB20_49
.LBB20_50:                              ;   in Loop: Header=BB20_48 Depth=2
	s_lshl_b32 s41, s39, 4
	s_lshl_b32 s40, s37, 4
	;; [unrolled: 1-line block ×3, first 2 shown]
; %bb.51:                               ;   in Loop: Header=BB20_48 Depth=2
	s_mul_i32 s42, s21, 0x44
	s_wait_alu 0xfffe
	s_lshl_b32 s40, s40, 2
	s_lshl_b32 s37, s37, 2
	;; [unrolled: 1-line block ×3, first 2 shown]
	s_wait_alu 0xfffe
	s_add_co_i32 s37, s40, s37
	s_wait_alu 0xfffe
	v_dual_mov_b32 v18, s42 :: v_dual_mov_b32 v21, s37
	s_lshl_b32 s39, s39, 2
	s_lshl_b32 s37, s38, 2
	s_wait_alu 0xfffe
	s_add_co_i32 s39, s41, s39
	ds_load_b32 v22, v18
	s_lshl_b32 s36, s36, 2
	s_lshl_b32 s42, s21, 2
	s_wait_alu 0xfffe
	s_add_co_i32 s36, s37, s36
	s_add_co_i32 s41, s40, s42
	s_add_co_i32 s38, s37, s42
	s_wait_alu 0xfffe
	v_mov_b32_e32 v20, s41
	s_add_co_i32 s38, s38, -4
	s_addk_co_i32 s20, 0xff00
	s_wait_dscnt 0x0
	v_div_scale_f32 v24, null, v22, v22, v17
	v_div_scale_f32 v27, vcc_lo, v17, v22, v17
	s_delay_alu instid0(VALU_DEP_2) | instskip(NEXT) | instid1(TRANS32_DEP_1)
	v_rcp_f32_e32 v25, v24
	v_fma_f32 v26, -v24, v25, 1.0
	s_delay_alu instid0(VALU_DEP_1) | instskip(SKIP_4) | instid1(VALU_DEP_1)
	v_dual_mov_b32 v18, s39 :: v_dual_fmac_f32 v25, v26, v25
	ds_load_2addr_b32 v[18:19], v18 offset1:1
	ds_load_b32 v23, v20
	ds_load_2addr_b32 v[20:21], v21 offset1:1
	v_mul_f32_e32 v26, v27, v25
	v_fma_f32 v28, -v24, v26, v27
	s_delay_alu instid0(VALU_DEP_1) | instskip(NEXT) | instid1(VALU_DEP_1)
	v_fmac_f32_e32 v26, v28, v25
	v_fma_f32 v24, -v24, v26, v27
	s_wait_alu 0xfffd
	s_delay_alu instid0(VALU_DEP_1) | instskip(NEXT) | instid1(VALU_DEP_1)
	v_div_fmas_f32 v24, v24, v25, v26
	v_div_fixup_f32 v22, v24, v22, v17
	s_wait_dscnt 0x2
	s_delay_alu instid0(VALU_DEP_1) | instskip(SKIP_2) | instid1(VALU_DEP_2)
	v_fma_f32 v16, -v22, v19, v16
	s_wait_dscnt 0x1
	v_fma_f32 v15, -v22, v23, v15
	v_div_scale_f32 v17, null, v18, v18, v16
	v_div_scale_f32 v25, vcc_lo, v16, v18, v16
	s_delay_alu instid0(VALU_DEP_2) | instskip(NEXT) | instid1(TRANS32_DEP_1)
	v_rcp_f32_e32 v19, v17
	v_fma_f32 v24, -v17, v19, 1.0
	s_delay_alu instid0(VALU_DEP_1) | instskip(NEXT) | instid1(VALU_DEP_1)
	v_fmac_f32_e32 v19, v24, v19
	v_mul_f32_e32 v24, v25, v19
	s_delay_alu instid0(VALU_DEP_1) | instskip(NEXT) | instid1(VALU_DEP_1)
	v_fma_f32 v26, -v17, v24, v25
	v_fmac_f32_e32 v24, v26, v19
	s_delay_alu instid0(VALU_DEP_1) | instskip(SKIP_1) | instid1(VALU_DEP_1)
	v_fma_f32 v17, -v17, v24, v25
	s_wait_alu 0xfffd
	v_div_fmas_f32 v17, v17, v19, v24
	s_delay_alu instid0(VALU_DEP_1)
	v_div_fixup_f32 v19, v17, v18, v16
	s_wait_alu 0xfffe
	v_dual_mov_b32 v16, s38 :: v_dual_mov_b32 v17, s36
	s_add_co_i32 s36, s21, -4
	s_cmp_lt_i32 s21, 7
	s_wait_dscnt 0x0
	v_fma_f32 v21, -v19, v21, v15
	ds_load_2addr_b32 v[17:18], v17 offset1:1
	v_div_scale_f32 v23, null, v20, v20, v21
	v_div_scale_f32 v25, vcc_lo, v21, v20, v21
	s_delay_alu instid0(VALU_DEP_2) | instskip(NEXT) | instid1(TRANS32_DEP_1)
	v_rcp_f32_e32 v24, v23
	v_fma_f32 v15, -v23, v24, 1.0
	s_delay_alu instid0(VALU_DEP_1) | instskip(SKIP_2) | instid1(VALU_DEP_1)
	v_fmac_f32_e32 v24, v15, v24
	ds_load_2addr_b32 v[15:16], v16 offset1:1
	v_mul_f32_e32 v26, v25, v24
	v_fma_f32 v27, -v23, v26, v25
	s_delay_alu instid0(VALU_DEP_1) | instskip(NEXT) | instid1(VALU_DEP_1)
	v_fmac_f32_e32 v26, v27, v24
	v_fma_f32 v23, -v23, v26, v25
	s_wait_dscnt 0x0
	v_fma_f32 v14, -v22, v16, v14
	s_wait_alu 0xfffd
	s_delay_alu instid0(VALU_DEP_2) | instskip(NEXT) | instid1(VALU_DEP_2)
	v_div_fmas_f32 v16, v23, v24, v26
	v_fma_f32 v14, -v19, v15, v14
	s_delay_alu instid0(VALU_DEP_2) | instskip(NEXT) | instid1(VALU_DEP_1)
	v_div_fixup_f32 v15, v16, v20, v21
	v_fma_f32 v14, -v15, v18, v14
	s_delay_alu instid0(VALU_DEP_1) | instskip(SKIP_1) | instid1(VALU_DEP_2)
	v_div_scale_f32 v16, null, v17, v17, v14
	v_div_scale_f32 v21, vcc_lo, v14, v17, v14
	v_rcp_f32_e32 v18, v16
	s_delay_alu instid0(TRANS32_DEP_1) | instskip(NEXT) | instid1(VALU_DEP_1)
	v_fma_f32 v20, -v16, v18, 1.0
	v_fmac_f32_e32 v18, v20, v18
	s_delay_alu instid0(VALU_DEP_1) | instskip(NEXT) | instid1(VALU_DEP_1)
	v_mul_f32_e32 v20, v21, v18
	v_fma_f32 v23, -v16, v20, v21
	s_delay_alu instid0(VALU_DEP_1) | instskip(NEXT) | instid1(VALU_DEP_1)
	v_fmac_f32_e32 v20, v23, v18
	v_fma_f32 v16, -v16, v20, v21
	s_wait_alu 0xfffd
	s_delay_alu instid0(VALU_DEP_1) | instskip(NEXT) | instid1(VALU_DEP_1)
	v_div_fmas_f32 v16, v16, v18, v20
	v_div_fixup_f32 v14, v16, v17, v14
	ds_store_b32 v0, v22
	ds_store_b32 v1, v19
	;; [unrolled: 1-line block ×4, first 2 shown]
	s_cbranch_scc1 .LBB20_53
; %bb.52:                               ;   in Loop: Header=BB20_48 Depth=2
	s_wait_alu 0xfffe
	s_mov_b32 s21, s36
	s_branch .LBB20_48
.LBB20_53:                              ;   in Loop: Header=BB20_3 Depth=1
	s_wait_alu 0xfffe
	s_cmp_lt_i32 s36, 0
	s_cbranch_scc1 .LBB20_66
; %bb.54:                               ;   in Loop: Header=BB20_3 Depth=1
	s_bitcmp1_b32 s36, 0
	s_cselect_b32 s20, -1, 0
	s_wait_alu 0xfffe
	s_and_b32 vcc_lo, exec_lo, s20
	s_mov_b32 s20, s36
	s_wait_alu 0xfffe
	s_cbranch_vccnz .LBB20_59
; %bb.55:                               ;   in Loop: Header=BB20_3 Depth=1
	v_lshl_add_u32 v0, s36, 6, v6
	s_cmp_le_i32 s23, s36
	ds_load_b32 v1, v0
	s_cbranch_scc1 .LBB20_58
; %bb.56:                               ;   in Loop: Header=BB20_3 Depth=1
	v_mov_b32_e32 v12, v8
	s_lshl_b32 s20, s36, 6
	s_mov_b32 s21, s23
	s_wait_alu 0xfffe
	s_add_co_i32 s20, s34, s20
.LBB20_57:                              ;   Parent Loop BB20_3 Depth=1
                                        ; =>  This Inner Loop Header: Depth=2
	s_wait_alu 0xfffe
	v_mov_b32_e32 v13, s20
	s_add_co_i32 s21, s21, -1
	s_add_co_i32 s20, s20, -4
	s_wait_alu 0xfffe
	s_cmp_gt_u32 s21, s36
	ds_load_b32 v14, v12
	ds_load_b32 v13, v13
	v_subrev_nc_u32_e32 v12, 64, v12
	s_wait_dscnt 0x0
	v_fma_f32 v1, -v14, v13, v1
	s_cbranch_scc1 .LBB20_57
.LBB20_58:                              ;   in Loop: Header=BB20_3 Depth=1
	s_mul_i32 s20, s36, 0x44
	s_wait_alu 0xfffe
	v_mov_b32_e32 v12, s20
	s_add_co_i32 s20, s36, -1
	ds_load_b32 v12, v12
	s_wait_dscnt 0x0
	v_div_scale_f32 v13, null, v12, v12, v1
	s_delay_alu instid0(VALU_DEP_1) | instskip(NEXT) | instid1(TRANS32_DEP_1)
	v_rcp_f32_e32 v14, v13
	v_fma_f32 v15, -v13, v14, 1.0
	s_delay_alu instid0(VALU_DEP_1) | instskip(SKIP_1) | instid1(VALU_DEP_1)
	v_fmac_f32_e32 v14, v15, v14
	v_div_scale_f32 v15, vcc_lo, v1, v12, v1
	v_mul_f32_e32 v16, v15, v14
	s_delay_alu instid0(VALU_DEP_1) | instskip(NEXT) | instid1(VALU_DEP_1)
	v_fma_f32 v17, -v13, v16, v15
	v_fmac_f32_e32 v16, v17, v14
	s_delay_alu instid0(VALU_DEP_1) | instskip(SKIP_1) | instid1(VALU_DEP_1)
	v_fma_f32 v13, -v13, v16, v15
	s_wait_alu 0xfffd
	v_div_fmas_f32 v13, v13, v14, v16
	s_delay_alu instid0(VALU_DEP_1)
	v_div_fixup_f32 v1, v13, v12, v1
	ds_store_b32 v0, v1
.LBB20_59:                              ;   in Loop: Header=BB20_3 Depth=1
	s_cmp_eq_u32 s36, 0
	s_cbranch_scc1 .LBB20_66
; %bb.60:                               ;   in Loop: Header=BB20_3 Depth=1
	s_wait_alu 0xfffe
	s_lshl_b32 s36, s20, 6
	s_wait_alu 0xfffe
	s_add_co_i32 s21, s34, s36
	s_add_co_i32 s36, s35, s36
	s_branch .LBB20_62
.LBB20_61:                              ;   in Loop: Header=BB20_62 Depth=2
	s_addk_co_i32 s38, 0xffbc
	s_add_co_i32 s20, s20, -2
	s_wait_alu 0xfffe
	v_mov_b32_e32 v0, s38
	s_addk_co_i32 s21, 0xff80
	s_addk_co_i32 s36, 0xff80
	s_cmp_eq_u32 s37, 0
	ds_load_b32 v0, v0
	s_wait_dscnt 0x0
	v_div_scale_f32 v12, null, v0, v0, v13
	v_div_scale_f32 v16, vcc_lo, v13, v0, v13
	s_delay_alu instid0(VALU_DEP_2) | instskip(NEXT) | instid1(TRANS32_DEP_1)
	v_rcp_f32_e32 v14, v12
	v_fma_f32 v15, -v12, v14, 1.0
	s_delay_alu instid0(VALU_DEP_1) | instskip(NEXT) | instid1(VALU_DEP_1)
	v_fmac_f32_e32 v14, v15, v14
	v_mul_f32_e32 v15, v16, v14
	s_delay_alu instid0(VALU_DEP_1) | instskip(NEXT) | instid1(VALU_DEP_1)
	v_fma_f32 v17, -v12, v15, v16
	v_fmac_f32_e32 v15, v17, v14
	s_delay_alu instid0(VALU_DEP_1) | instskip(SKIP_1) | instid1(VALU_DEP_1)
	v_fma_f32 v12, -v12, v15, v16
	s_wait_alu 0xfffd
	v_div_fmas_f32 v12, v12, v14, v15
	s_delay_alu instid0(VALU_DEP_1)
	v_div_fixup_f32 v0, v12, v0, v13
	ds_store_b32 v1, v0
	s_cbranch_scc1 .LBB20_66
.LBB20_62:                              ;   Parent Loop BB20_3 Depth=1
                                        ; =>  This Loop Header: Depth=2
                                        ;       Child Loop BB20_63 Depth 3
                                        ;       Child Loop BB20_65 Depth 3
	v_lshl_add_u32 v0, s20, 6, v6
	v_mov_b32_e32 v1, v8
	s_cmp_le_i32 s23, s20
	s_wait_alu 0xfffe
	s_mov_b32 s37, s21
	s_mov_b32 s38, s23
	ds_load_b32 v12, v0
	s_cbranch_scc1 .LBB20_64
.LBB20_63:                              ;   Parent Loop BB20_3 Depth=1
                                        ;     Parent Loop BB20_62 Depth=2
                                        ; =>    This Inner Loop Header: Depth=3
	s_wait_alu 0xfffe
	v_mov_b32_e32 v13, s37
	s_add_co_i32 s38, s38, -1
	s_add_co_i32 s37, s37, -4
	s_wait_alu 0xfffe
	s_cmp_le_u32 s38, s20
	ds_load_b32 v14, v1
	ds_load_b32 v13, v13
	v_subrev_nc_u32_e32 v1, 64, v1
	s_wait_dscnt 0x0
	v_fma_f32 v12, -v14, v13, v12
	s_cbranch_scc0 .LBB20_63
.LBB20_64:                              ;   in Loop: Header=BB20_62 Depth=2
	s_mul_i32 s38, s20, 0x44
	s_add_co_i32 s37, s20, -1
	s_wait_alu 0xfffe
	v_mov_b32_e32 v1, s38
	s_cmp_le_i32 s1, s20
	s_mov_b32 s39, s36
	s_mov_b32 s40, s23
	ds_load_b32 v14, v1
	v_lshl_add_u32 v1, s37, 6, v6
	ds_load_b32 v13, v1
	s_wait_dscnt 0x1
	v_div_scale_f32 v15, null, v14, v14, v12
	s_delay_alu instid0(VALU_DEP_1) | instskip(NEXT) | instid1(TRANS32_DEP_1)
	v_rcp_f32_e32 v16, v15
	v_fma_f32 v17, -v15, v16, 1.0
	s_delay_alu instid0(VALU_DEP_1) | instskip(SKIP_1) | instid1(VALU_DEP_1)
	v_fmac_f32_e32 v16, v17, v16
	v_div_scale_f32 v17, vcc_lo, v12, v14, v12
	v_mul_f32_e32 v18, v17, v16
	s_delay_alu instid0(VALU_DEP_1) | instskip(NEXT) | instid1(VALU_DEP_1)
	v_fma_f32 v19, -v15, v18, v17
	v_fmac_f32_e32 v18, v19, v16
	s_delay_alu instid0(VALU_DEP_1) | instskip(SKIP_1) | instid1(VALU_DEP_1)
	v_fma_f32 v15, -v15, v18, v17
	s_wait_alu 0xfffd
	v_div_fmas_f32 v15, v15, v16, v18
	s_delay_alu instid0(VALU_DEP_1)
	v_div_fixup_f32 v14, v15, v14, v12
	v_mov_b32_e32 v12, v8
	ds_store_b32 v0, v14
	s_cbranch_scc1 .LBB20_61
.LBB20_65:                              ;   Parent Loop BB20_3 Depth=1
                                        ;     Parent Loop BB20_62 Depth=2
                                        ; =>    This Inner Loop Header: Depth=3
	s_wait_alu 0xfffe
	v_mov_b32_e32 v0, s39
	s_add_co_i32 s40, s40, -1
	s_add_co_i32 s39, s39, -4
	s_wait_alu 0xfffe
	s_cmp_gt_u32 s40, s37
	ds_load_b32 v14, v12
	ds_load_b32 v0, v0
	v_subrev_nc_u32_e32 v12, 64, v12
	s_wait_dscnt 0x0
	v_fma_f32 v13, -v14, v0, v13
	s_cbranch_scc1 .LBB20_65
	s_branch .LBB20_61
.LBB20_66:                              ;   in Loop: Header=BB20_3 Depth=1
	s_mov_b32 s20, 0
.LBB20_67:                              ;   in Loop: Header=BB20_3 Depth=1
	s_wait_alu 0xfffe
	s_and_not1_b32 vcc_lo, exec_lo, s20
	s_wait_alu 0xfffe
	s_cbranch_vccnz .LBB20_79
; %bb.68:                               ;   in Loop: Header=BB20_3 Depth=1
	s_and_not1_b32 vcc_lo, exec_lo, s27
	s_mov_b32 s36, 0
	s_wait_alu 0xfffe
	s_cbranch_vccnz .LBB20_74
; %bb.69:                               ;   in Loop: Header=BB20_3 Depth=1
	s_mov_b32 s20, 0
	s_mov_b32 s21, 0
.LBB20_70:                              ;   Parent Loop BB20_3 Depth=1
                                        ; =>  This Loop Header: Depth=2
                                        ;       Child Loop BB20_71 Depth 3
	s_wait_alu 0xfffe
	s_or_b32 s37, s21, 1
	v_lshl_add_u32 v0, s21, 6, v6
	s_or_b32 s38, s21, 2
	s_or_b32 s36, s21, 3
	s_wait_alu 0xfffe
	v_lshl_add_u32 v1, s37, 6, v6
	v_lshl_add_u32 v12, s38, 6, v6
	;; [unrolled: 1-line block ×3, first 2 shown]
	ds_load_b32 v17, v0
	ds_load_b32 v16, v1
	;; [unrolled: 1-line block ×4, first 2 shown]
	v_mov_b32_e32 v18, v6
	s_cmp_eq_u32 s21, 0
	s_mov_b32 s39, s20
	s_mov_b32 s40, s21
	s_cbranch_scc1 .LBB20_72
.LBB20_71:                              ;   Parent Loop BB20_3 Depth=1
                                        ;     Parent Loop BB20_70 Depth=2
                                        ; =>    This Inner Loop Header: Depth=3
	s_wait_alu 0xfffe
	v_mov_b32_e32 v21, s39
	s_add_co_i32 s40, s40, -1
	s_add_co_i32 s39, s39, 4
	s_wait_alu 0xfffe
	s_cmp_eq_u32 s40, 0
	ds_load_b32 v23, v18
	ds_load_2addr_b32 v[19:20], v21 offset1:16
	ds_load_2addr_b32 v[21:22], v21 offset0:32 offset1:48
	v_add_nc_u32_e32 v18, 64, v18
	s_wait_dscnt 0x1
	v_fma_f32 v17, -v23, v19, v17
	v_fma_f32 v16, -v23, v20, v16
	s_wait_dscnt 0x0
	v_fma_f32 v15, -v23, v21, v15
	v_fma_f32 v14, -v23, v22, v14
	s_cbranch_scc0 .LBB20_71
.LBB20_72:                              ;   in Loop: Header=BB20_70 Depth=2
	s_lshl_b32 s39, s37, 4
	s_lshl_b32 s37, s38, 4
	s_mul_i32 s38, s21, 0x44
	s_wait_alu 0xfffe
	s_lshl_b32 s37, s37, 2
	v_mov_b32_e32 v18, s38
	s_lshl_b32 s38, s39, 2
	s_lshl_b32 s39, s21, 2
	;; [unrolled: 1-line block ×3, first 2 shown]
	s_wait_alu 0xfffe
	s_add_co_i32 s37, s37, s39
	s_add_co_i32 s38, s38, s39
	s_wait_alu 0xfffe
	v_mov_b32_e32 v19, s37
	ds_load_b32 v23, v18
	s_lshl_b32 s36, s36, 2
	s_addk_co_i32 s20, 0x100
	s_wait_alu 0xfffe
	s_add_co_i32 s36, s36, s39
	s_wait_dscnt 0x0
	v_div_scale_f32 v24, null, v23, v23, v17
	v_div_scale_f32 v27, vcc_lo, v17, v23, v17
	s_delay_alu instid0(VALU_DEP_2) | instskip(NEXT) | instid1(TRANS32_DEP_1)
	v_rcp_f32_e32 v25, v24
	v_fma_f32 v26, -v24, v25, 1.0
	s_delay_alu instid0(VALU_DEP_1) | instskip(SKIP_3) | instid1(VALU_DEP_1)
	v_dual_mov_b32 v18, s38 :: v_dual_fmac_f32 v25, v26, v25
	ds_load_b64 v[21:22], v18
	ds_load_b96 v[18:20], v19
	v_mul_f32_e32 v26, v27, v25
	v_fma_f32 v28, -v24, v26, v27
	s_delay_alu instid0(VALU_DEP_1) | instskip(NEXT) | instid1(VALU_DEP_1)
	v_fmac_f32_e32 v26, v28, v25
	v_fma_f32 v24, -v24, v26, v27
	s_wait_alu 0xfffd
	s_delay_alu instid0(VALU_DEP_1) | instskip(NEXT) | instid1(VALU_DEP_1)
	v_div_fmas_f32 v24, v24, v25, v26
	v_div_fixup_f32 v23, v24, v23, v17
	s_wait_dscnt 0x1
	s_delay_alu instid0(VALU_DEP_1) | instskip(SKIP_2) | instid1(VALU_DEP_2)
	v_fma_f32 v16, -v23, v21, v16
	s_wait_dscnt 0x0
	v_fma_f32 v15, -v23, v18, v15
	v_div_scale_f32 v17, null, v22, v22, v16
	v_div_scale_f32 v25, vcc_lo, v16, v22, v16
	s_delay_alu instid0(VALU_DEP_2) | instskip(NEXT) | instid1(TRANS32_DEP_1)
	v_rcp_f32_e32 v21, v17
	v_fma_f32 v24, -v17, v21, 1.0
	s_delay_alu instid0(VALU_DEP_1) | instskip(NEXT) | instid1(VALU_DEP_1)
	v_fmac_f32_e32 v21, v24, v21
	v_mul_f32_e32 v24, v25, v21
	s_delay_alu instid0(VALU_DEP_1) | instskip(NEXT) | instid1(VALU_DEP_1)
	v_fma_f32 v26, -v17, v24, v25
	v_fmac_f32_e32 v24, v26, v21
	s_delay_alu instid0(VALU_DEP_1) | instskip(SKIP_1) | instid1(VALU_DEP_1)
	v_fma_f32 v17, -v17, v24, v25
	s_wait_alu 0xfffd
	v_div_fmas_f32 v17, v17, v21, v24
	s_delay_alu instid0(VALU_DEP_1)
	v_div_fixup_f32 v21, v17, v22, v16
	s_wait_alu 0xfffe
	v_mov_b32_e32 v16, s36
	s_add_co_i32 s36, s21, 4
	s_add_co_i32 s21, s21, 7
	v_fma_f32 v19, -v21, v19, v15
	s_wait_alu 0xfffe
	s_cmp_ge_i32 s21, s1
	s_delay_alu instid0(VALU_DEP_1) | instskip(SKIP_1) | instid1(VALU_DEP_2)
	v_div_scale_f32 v22, null, v20, v20, v19
	v_div_scale_f32 v25, vcc_lo, v19, v20, v19
	v_rcp_f32_e32 v24, v22
	s_delay_alu instid0(TRANS32_DEP_1) | instskip(NEXT) | instid1(VALU_DEP_1)
	v_fma_f32 v15, -v22, v24, 1.0
	v_fmac_f32_e32 v24, v15, v24
	ds_load_b128 v[15:18], v16
	v_mul_f32_e32 v26, v25, v24
	s_delay_alu instid0(VALU_DEP_1) | instskip(NEXT) | instid1(VALU_DEP_1)
	v_fma_f32 v27, -v22, v26, v25
	v_fmac_f32_e32 v26, v27, v24
	s_delay_alu instid0(VALU_DEP_1) | instskip(SKIP_3) | instid1(VALU_DEP_2)
	v_fma_f32 v22, -v22, v26, v25
	s_wait_dscnt 0x0
	v_fma_f32 v14, -v23, v15, v14
	s_wait_alu 0xfffd
	v_div_fmas_f32 v15, v22, v24, v26
	s_delay_alu instid0(VALU_DEP_2) | instskip(NEXT) | instid1(VALU_DEP_2)
	v_fma_f32 v14, -v21, v16, v14
	v_div_fixup_f32 v15, v15, v20, v19
	s_delay_alu instid0(VALU_DEP_1) | instskip(NEXT) | instid1(VALU_DEP_1)
	v_fma_f32 v14, -v15, v17, v14
	v_div_scale_f32 v16, null, v18, v18, v14
	v_div_scale_f32 v20, vcc_lo, v14, v18, v14
	s_delay_alu instid0(VALU_DEP_2) | instskip(NEXT) | instid1(TRANS32_DEP_1)
	v_rcp_f32_e32 v17, v16
	v_fma_f32 v19, -v16, v17, 1.0
	s_delay_alu instid0(VALU_DEP_1) | instskip(NEXT) | instid1(VALU_DEP_1)
	v_fmac_f32_e32 v17, v19, v17
	v_mul_f32_e32 v19, v20, v17
	s_delay_alu instid0(VALU_DEP_1) | instskip(NEXT) | instid1(VALU_DEP_1)
	v_fma_f32 v22, -v16, v19, v20
	v_fmac_f32_e32 v19, v22, v17
	s_delay_alu instid0(VALU_DEP_1) | instskip(SKIP_1) | instid1(VALU_DEP_1)
	v_fma_f32 v16, -v16, v19, v20
	s_wait_alu 0xfffd
	v_div_fmas_f32 v16, v16, v17, v19
	s_delay_alu instid0(VALU_DEP_1)
	v_div_fixup_f32 v14, v16, v18, v14
	ds_store_b32 v0, v23
	ds_store_b32 v1, v21
	;; [unrolled: 1-line block ×4, first 2 shown]
	s_cbranch_scc1 .LBB20_74
; %bb.73:                               ;   in Loop: Header=BB20_70 Depth=2
	s_mov_b32 s21, s36
	s_branch .LBB20_70
.LBB20_74:                              ;   in Loop: Header=BB20_3 Depth=1
	s_cmp_ge_i32 s36, s1
	s_cbranch_scc1 .LBB20_79
; %bb.75:                               ;   in Loop: Header=BB20_3 Depth=1
	s_lshl_b32 s20, s36, 6
	s_branch .LBB20_77
.LBB20_76:                              ;   in Loop: Header=BB20_77 Depth=2
	s_mul_i32 s21, s36, 0x44
	s_add_co_i32 s36, s36, 1
	s_wait_alu 0xfffe
	v_mov_b32_e32 v12, s21
	s_add_co_i32 s20, s20, 64
	s_cmp_ge_i32 s36, s1
	ds_load_b32 v12, v12
	s_wait_dscnt 0x0
	v_div_scale_f32 v13, null, v12, v12, v1
	s_delay_alu instid0(VALU_DEP_1) | instskip(NEXT) | instid1(TRANS32_DEP_1)
	v_rcp_f32_e32 v14, v13
	v_fma_f32 v15, -v13, v14, 1.0
	s_delay_alu instid0(VALU_DEP_1) | instskip(SKIP_1) | instid1(VALU_DEP_1)
	v_fmac_f32_e32 v14, v15, v14
	v_div_scale_f32 v15, vcc_lo, v1, v12, v1
	v_mul_f32_e32 v16, v15, v14
	s_delay_alu instid0(VALU_DEP_1) | instskip(NEXT) | instid1(VALU_DEP_1)
	v_fma_f32 v17, -v13, v16, v15
	v_fmac_f32_e32 v16, v17, v14
	s_delay_alu instid0(VALU_DEP_1) | instskip(SKIP_1) | instid1(VALU_DEP_1)
	v_fma_f32 v13, -v13, v16, v15
	s_wait_alu 0xfffd
	v_div_fmas_f32 v13, v13, v14, v16
	s_delay_alu instid0(VALU_DEP_1)
	v_div_fixup_f32 v1, v13, v12, v1
	ds_store_b32 v0, v1
	s_cbranch_scc1 .LBB20_79
.LBB20_77:                              ;   Parent Loop BB20_3 Depth=1
                                        ; =>  This Loop Header: Depth=2
                                        ;       Child Loop BB20_78 Depth 3
	v_lshl_add_u32 v0, s36, 6, v6
	v_mov_b32_e32 v12, v6
	s_cmp_eq_u32 s36, 0
	s_wait_alu 0xfffe
	s_mov_b32 s21, s20
	s_mov_b32 s37, s36
	ds_load_b32 v1, v0
	s_cbranch_scc1 .LBB20_76
.LBB20_78:                              ;   Parent Loop BB20_3 Depth=1
                                        ;     Parent Loop BB20_77 Depth=2
                                        ; =>    This Inner Loop Header: Depth=3
	s_wait_alu 0xfffe
	v_mov_b32_e32 v13, s21
	s_add_co_i32 s37, s37, -1
	s_add_co_i32 s21, s21, 4
	s_wait_alu 0xfffe
	s_cmp_eq_u32 s37, 0
	ds_load_b32 v14, v12
	ds_load_b32 v13, v13
	v_add_nc_u32_e32 v12, 64, v12
	s_wait_dscnt 0x0
	v_fma_f32 v1, -v14, v13, v1
	s_cbranch_scc0 .LBB20_78
	s_branch .LBB20_76
.LBB20_79:                              ;   in Loop: Header=BB20_3 Depth=1
	s_and_saveexec_b32 s20, s28
	s_cbranch_execz .LBB20_2
; %bb.80:                               ;   in Loop: Header=BB20_3 Depth=1
	v_add_co_u32 v0, vcc_lo, v2, v11
	s_wait_alu 0xfffd
	v_add_co_ci_u32_e64 v1, null, 0, v3, vcc_lo
	v_mov_b32_e32 v2, v6
	s_mov_b32 s21, s16
.LBB20_81:                              ;   Parent Loop BB20_3 Depth=1
                                        ; =>  This Inner Loop Header: Depth=2
	ds_load_b32 v3, v2
	v_add_nc_u32_e32 v2, 64, v2
	s_wait_alu 0xfffe
	s_add_co_i32 s21, s21, -1
	s_wait_alu 0xfffe
	s_cmp_lg_u32 s21, 0
	s_wait_dscnt 0x0
	flat_store_b32 v[0:1], v3
	v_add_co_u32 v0, vcc_lo, v0, s14
	s_wait_alu 0xfffd
	v_add_co_ci_u32_e64 v1, null, s15, v1, vcc_lo
	s_cbranch_scc1 .LBB20_81
	s_branch .LBB20_2
.LBB20_82:
	s_endpgm
	.section	.rodata,"a",@progbits
	.p2align	6, 0x0
	.amdhsa_kernel _ZL31rocblas_trsm_small_right_deviceIffPKPKfPKPfLi16EEv13rocblas_fill_18rocblas_operation_17rocblas_diagonal_iiT0_T1_lilT2_lili
		.amdhsa_group_segment_fixed_size 2048
		.amdhsa_private_segment_fixed_size 0
		.amdhsa_kernarg_size 352
		.amdhsa_user_sgpr_count 2
		.amdhsa_user_sgpr_dispatch_ptr 0
		.amdhsa_user_sgpr_queue_ptr 0
		.amdhsa_user_sgpr_kernarg_segment_ptr 1
		.amdhsa_user_sgpr_dispatch_id 0
		.amdhsa_user_sgpr_private_segment_size 0
		.amdhsa_wavefront_size32 1
		.amdhsa_uses_dynamic_stack 0
		.amdhsa_enable_private_segment 0
		.amdhsa_system_sgpr_workgroup_id_x 1
		.amdhsa_system_sgpr_workgroup_id_y 0
		.amdhsa_system_sgpr_workgroup_id_z 1
		.amdhsa_system_sgpr_workgroup_info 0
		.amdhsa_system_vgpr_workitem_id 0
		.amdhsa_next_free_vgpr 30
		.amdhsa_next_free_sgpr 43
		.amdhsa_reserve_vcc 1
		.amdhsa_float_round_mode_32 0
		.amdhsa_float_round_mode_16_64 0
		.amdhsa_float_denorm_mode_32 3
		.amdhsa_float_denorm_mode_16_64 3
		.amdhsa_fp16_overflow 0
		.amdhsa_workgroup_processor_mode 1
		.amdhsa_memory_ordered 1
		.amdhsa_forward_progress 1
		.amdhsa_inst_pref_size 52
		.amdhsa_round_robin_scheduling 0
		.amdhsa_exception_fp_ieee_invalid_op 0
		.amdhsa_exception_fp_denorm_src 0
		.amdhsa_exception_fp_ieee_div_zero 0
		.amdhsa_exception_fp_ieee_overflow 0
		.amdhsa_exception_fp_ieee_underflow 0
		.amdhsa_exception_fp_ieee_inexact 0
		.amdhsa_exception_int_div_zero 0
	.end_amdhsa_kernel
	.section	.text._ZL31rocblas_trsm_small_right_deviceIffPKPKfPKPfLi16EEv13rocblas_fill_18rocblas_operation_17rocblas_diagonal_iiT0_T1_lilT2_lili,"axG",@progbits,_ZL31rocblas_trsm_small_right_deviceIffPKPKfPKPfLi16EEv13rocblas_fill_18rocblas_operation_17rocblas_diagonal_iiT0_T1_lilT2_lili,comdat
.Lfunc_end20:
	.size	_ZL31rocblas_trsm_small_right_deviceIffPKPKfPKPfLi16EEv13rocblas_fill_18rocblas_operation_17rocblas_diagonal_iiT0_T1_lilT2_lili, .Lfunc_end20-_ZL31rocblas_trsm_small_right_deviceIffPKPKfPKPfLi16EEv13rocblas_fill_18rocblas_operation_17rocblas_diagonal_iiT0_T1_lilT2_lili
                                        ; -- End function
	.set _ZL31rocblas_trsm_small_right_deviceIffPKPKfPKPfLi16EEv13rocblas_fill_18rocblas_operation_17rocblas_diagonal_iiT0_T1_lilT2_lili.num_vgpr, 30
	.set _ZL31rocblas_trsm_small_right_deviceIffPKPKfPKPfLi16EEv13rocblas_fill_18rocblas_operation_17rocblas_diagonal_iiT0_T1_lilT2_lili.num_agpr, 0
	.set _ZL31rocblas_trsm_small_right_deviceIffPKPKfPKPfLi16EEv13rocblas_fill_18rocblas_operation_17rocblas_diagonal_iiT0_T1_lilT2_lili.numbered_sgpr, 43
	.set _ZL31rocblas_trsm_small_right_deviceIffPKPKfPKPfLi16EEv13rocblas_fill_18rocblas_operation_17rocblas_diagonal_iiT0_T1_lilT2_lili.num_named_barrier, 0
	.set _ZL31rocblas_trsm_small_right_deviceIffPKPKfPKPfLi16EEv13rocblas_fill_18rocblas_operation_17rocblas_diagonal_iiT0_T1_lilT2_lili.private_seg_size, 0
	.set _ZL31rocblas_trsm_small_right_deviceIffPKPKfPKPfLi16EEv13rocblas_fill_18rocblas_operation_17rocblas_diagonal_iiT0_T1_lilT2_lili.uses_vcc, 1
	.set _ZL31rocblas_trsm_small_right_deviceIffPKPKfPKPfLi16EEv13rocblas_fill_18rocblas_operation_17rocblas_diagonal_iiT0_T1_lilT2_lili.uses_flat_scratch, 0
	.set _ZL31rocblas_trsm_small_right_deviceIffPKPKfPKPfLi16EEv13rocblas_fill_18rocblas_operation_17rocblas_diagonal_iiT0_T1_lilT2_lili.has_dyn_sized_stack, 0
	.set _ZL31rocblas_trsm_small_right_deviceIffPKPKfPKPfLi16EEv13rocblas_fill_18rocblas_operation_17rocblas_diagonal_iiT0_T1_lilT2_lili.has_recursion, 0
	.set _ZL31rocblas_trsm_small_right_deviceIffPKPKfPKPfLi16EEv13rocblas_fill_18rocblas_operation_17rocblas_diagonal_iiT0_T1_lilT2_lili.has_indirect_call, 0
	.section	.AMDGPU.csdata,"",@progbits
; Kernel info:
; codeLenInByte = 6644
; TotalNumSgprs: 45
; NumVgprs: 30
; ScratchSize: 0
; MemoryBound: 0
; FloatMode: 240
; IeeeMode: 1
; LDSByteSize: 2048 bytes/workgroup (compile time only)
; SGPRBlocks: 0
; VGPRBlocks: 3
; NumSGPRsForWavesPerEU: 45
; NumVGPRsForWavesPerEU: 30
; Occupancy: 16
; WaveLimiterHint : 0
; COMPUTE_PGM_RSRC2:SCRATCH_EN: 0
; COMPUTE_PGM_RSRC2:USER_SGPR: 2
; COMPUTE_PGM_RSRC2:TRAP_HANDLER: 0
; COMPUTE_PGM_RSRC2:TGID_X_EN: 1
; COMPUTE_PGM_RSRC2:TGID_Y_EN: 0
; COMPUTE_PGM_RSRC2:TGID_Z_EN: 1
; COMPUTE_PGM_RSRC2:TIDIG_COMP_CNT: 0
	.section	.text._ZL38rocblas_trsm_small_left_device_sharedBILi20ELi20ELb0EffPKPKfPKPfEv13rocblas_fill_18rocblas_operation_17rocblas_diagonal_iiT3_T4_lilT5_lili,"axG",@progbits,_ZL38rocblas_trsm_small_left_device_sharedBILi20ELi20ELb0EffPKPKfPKPfEv13rocblas_fill_18rocblas_operation_17rocblas_diagonal_iiT3_T4_lilT5_lili,comdat
	.globl	_ZL38rocblas_trsm_small_left_device_sharedBILi20ELi20ELb0EffPKPKfPKPfEv13rocblas_fill_18rocblas_operation_17rocblas_diagonal_iiT3_T4_lilT5_lili ; -- Begin function _ZL38rocblas_trsm_small_left_device_sharedBILi20ELi20ELb0EffPKPKfPKPfEv13rocblas_fill_18rocblas_operation_17rocblas_diagonal_iiT3_T4_lilT5_lili
	.p2align	8
	.type	_ZL38rocblas_trsm_small_left_device_sharedBILi20ELi20ELb0EffPKPKfPKPfEv13rocblas_fill_18rocblas_operation_17rocblas_diagonal_iiT3_T4_lilT5_lili,@function
_ZL38rocblas_trsm_small_left_device_sharedBILi20ELi20ELb0EffPKPKfPKPfEv13rocblas_fill_18rocblas_operation_17rocblas_diagonal_iiT3_T4_lilT5_lili: ; @_ZL38rocblas_trsm_small_left_device_sharedBILi20ELi20ELb0EffPKPKfPKPfEv13rocblas_fill_18rocblas_operation_17rocblas_diagonal_iiT3_T4_lilT5_lili
; %bb.0:
	s_load_b32 s24, s[0:1], 0x58
	s_lshr_b32 s2, ttmp7, 16
	s_wait_kmcnt 0x0
	s_cmp_ge_u32 s2, s24
	s_cbranch_scc1 .LBB21_57
; %bb.1:
	s_clause 0x6
	s_load_b32 s18, s[0:1], 0x28
	s_load_b32 s20, s[0:1], 0x48
	s_load_b128 s[12:15], s[0:1], 0x4
	s_load_b32 s3, s[0:1], 0x60
	s_load_b128 s[4:7], s[0:1], 0x18
	s_load_b128 s[8:11], s[0:1], 0x38
	s_load_b32 s1, s[0:1], 0x14
	s_mul_i32 s0, ttmp9, 0xffffffec
	v_mov_b32_e32 v1, 0
	v_lshlrev_b32_e32 v69, 2, v0
	s_mul_i32 s22, ttmp9, 20
	v_mul_u32_u24_e32 v23, 0x50, v0
	s_mov_b32 s17, 0
	v_mov_b32_e32 v2, v1
	v_dual_mov_b32 v3, v1 :: v_dual_add_nc_u32 v66, 0x640, v69
	v_dual_mov_b32 v4, v1 :: v_dual_mov_b32 v5, v1
	v_dual_mov_b32 v6, v1 :: v_dual_mov_b32 v7, v1
	v_mov_b32_e32 v8, v1
	s_wait_kmcnt 0x0
	v_mad_co_i64_i32 v[21:22], null, s20, v0, 0
	s_min_i32 s25, s14, 20
	s_add_co_i32 s3, s3, -1
	s_ashr_i32 s19, s18, 31
	s_ashr_i32 s21, s20, 31
	s_add_co_i32 s15, s15, s0
	s_add_co_i32 s26, s25, -1
	s_cmp_ge_u32 ttmp9, s3
	v_dual_mov_b32 v9, v1 :: v_dual_mov_b32 v10, v1
	s_cselect_b32 s3, s15, 20
	s_ashr_i32 s23, s22, 31
	s_cmp_lg_u32 s13, 0x84
	v_cmp_gt_i32_e32 vcc_lo, s3, v0
	v_dual_mov_b32 v11, v1 :: v_dual_mov_b32 v12, v1
	v_dual_mov_b32 v13, v1 :: v_dual_mov_b32 v14, v1
	;; [unrolled: 1-line block ×5, first 2 shown]
	v_cmp_gt_i32_e64 s0, s25, v0
	s_cselect_b32 s27, -1, 0
	s_cmp_gt_i32 s14, 0
	v_lshlrev_b32_e32 v0, 2, v0
	v_add_nc_u32_e32 v70, v69, v23
	v_lshlrev_b64_e32 v[67:68], 2, v[21:22]
	v_mov_b32_e32 v33, v32
	v_mov_b32_e32 v32, v31
	;; [unrolled: 1-line block ×32, first 2 shown]
	s_wait_alu 0xfffe
	s_mul_u64 s[20:21], s[20:21], s[22:23]
	s_cselect_b32 s3, -1, 0
	s_cmp_lg_u32 s12, 0x6f
	s_mul_i32 s30, s25, 0x50
	s_cselect_b32 s28, -1, 0
	s_wait_alu 0xfffe
	s_and_b32 s29, vcc_lo, s3
	s_lshl_b64 s[12:13], s[18:19], 2
	s_addk_co_i32 s30, 0xffb0
	s_lshl_b64 s[6:7], s[6:7], 2
	s_lshl_b64 s[10:11], s[10:11], 2
	;; [unrolled: 1-line block ×3, first 2 shown]
	s_branch .LBB21_3
.LBB21_2:                               ;   in Loop: Header=BB21_3 Depth=1
	s_wait_alu 0xfffe
	s_or_b32 exec_lo, exec_lo, s3
	v_dual_mov_b32 v2, v34 :: v_dual_mov_b32 v3, v35
	v_dual_mov_b32 v4, v36 :: v_dual_mov_b32 v5, v37
	v_dual_mov_b32 v6, v38 :: v_dual_mov_b32 v7, v39
	v_dual_mov_b32 v8, v40 :: v_dual_mov_b32 v9, v41
	v_dual_mov_b32 v10, v42 :: v_dual_mov_b32 v11, v43
	v_dual_mov_b32 v12, v44 :: v_dual_mov_b32 v13, v45
	v_dual_mov_b32 v14, v46 :: v_dual_mov_b32 v15, v47
	v_dual_mov_b32 v16, v48 :: v_dual_mov_b32 v17, v49
	v_dual_mov_b32 v18, v50 :: v_dual_mov_b32 v19, v51
	v_dual_mov_b32 v20, v52 :: v_dual_mov_b32 v21, v53
	v_dual_mov_b32 v22, v54 :: v_dual_mov_b32 v23, v55
	v_dual_mov_b32 v24, v56 :: v_dual_mov_b32 v25, v57
	v_dual_mov_b32 v26, v58 :: v_dual_mov_b32 v27, v59
	v_dual_mov_b32 v28, v60 :: v_dual_mov_b32 v29, v61
	v_dual_mov_b32 v30, v62 :: v_dual_mov_b32 v31, v63
	v_dual_mov_b32 v32, v64 :: v_dual_mov_b32 v33, v65
	s_add_co_i32 s2, s2, 0x10000
	s_wait_alu 0xfffe
	s_cmp_lt_u32 s2, s24
	s_cbranch_scc0 .LBB21_57
.LBB21_3:                               ; =>This Loop Header: Depth=1
                                        ;     Child Loop BB21_5 Depth 2
                                        ;     Child Loop BB21_11 Depth 2
	;; [unrolled: 1-line block ×3, first 2 shown]
                                        ;       Child Loop BB21_17 Depth 3
                                        ;         Child Loop BB21_18 Depth 4
                                        ;         Child Loop BB21_21 Depth 4
                                        ;           Child Loop BB21_22 Depth 5
                                        ;         Child Loop BB21_27 Depth 4
                                        ;           Child Loop BB21_29 Depth 5
                                        ;     Child Loop BB21_35 Depth 2
                                        ;       Child Loop BB21_38 Depth 3
                                        ;         Child Loop BB21_39 Depth 4
                                        ;         Child Loop BB21_41 Depth 4
                                        ;           Child Loop BB21_42 Depth 5
                                        ;         Child Loop BB21_47 Depth 4
                                        ;           Child Loop BB21_49 Depth 5
                                        ;     Child Loop BB21_56 Depth 2
	s_mov_b32 s3, s17
	s_wait_alu 0xfffe
	s_lshl_b64 s[18:19], s[2:3], 3
	s_delay_alu instid0(SALU_CYCLE_1)
	s_add_nc_u64 s[20:21], s[8:9], s[18:19]
	global_load_b64 v[34:35], v1, s[20:21]
	s_and_saveexec_b32 s3, s0
	s_cbranch_execz .LBB21_9
; %bb.4:                                ;   in Loop: Header=BB21_3 Depth=1
	s_add_nc_u64 s[18:19], s[4:5], s[18:19]
	v_mov_b32_e32 v38, v69
	global_load_b64 v[36:37], v1, s[18:19]
	s_mov_b32 s16, s25
	s_wait_loadcnt 0x0
	v_add_co_u32 v36, vcc_lo, v36, s6
	s_wait_alu 0xfffd
	v_add_co_ci_u32_e64 v37, null, s7, v37, vcc_lo
	s_delay_alu instid0(VALU_DEP_2) | instskip(SKIP_1) | instid1(VALU_DEP_2)
	v_add_co_u32 v36, vcc_lo, v36, v0
	s_wait_alu 0xfffd
	v_add_co_ci_u32_e64 v37, null, 0, v37, vcc_lo
.LBB21_5:                               ;   Parent Loop BB21_3 Depth=1
                                        ; =>  This Inner Loop Header: Depth=2
	flat_load_b32 v39, v[36:37]
	v_add_co_u32 v36, vcc_lo, v36, s12
	s_wait_alu 0xfffd
	v_add_co_ci_u32_e64 v37, null, s13, v37, vcc_lo
	s_add_co_i32 s16, s16, -1
	s_delay_alu instid0(SALU_CYCLE_1)
	s_cmp_eq_u32 s16, 0
	s_wait_loadcnt_dscnt 0x0
	ds_store_b32 v38, v39
	v_add_nc_u32_e32 v38, 0x50, v38
	s_cbranch_scc0 .LBB21_5
; %bb.6:                                ;   in Loop: Header=BB21_3 Depth=1
	v_mov_b32_e32 v36, 1.0
	s_and_b32 vcc_lo, exec_lo, s27
	s_wait_alu 0xfffe
	s_cbranch_vccz .LBB21_8
; %bb.7:                                ;   in Loop: Header=BB21_3 Depth=1
	ds_load_b32 v36, v70
	s_wait_dscnt 0x0
	v_div_scale_f32 v37, null, v36, v36, 1.0
	s_delay_alu instid0(VALU_DEP_1) | instskip(NEXT) | instid1(TRANS32_DEP_1)
	v_rcp_f32_e32 v38, v37
	v_fma_f32 v39, -v37, v38, 1.0
	s_delay_alu instid0(VALU_DEP_1) | instskip(SKIP_1) | instid1(VALU_DEP_1)
	v_fmac_f32_e32 v38, v39, v38
	v_div_scale_f32 v39, vcc_lo, 1.0, v36, 1.0
	v_mul_f32_e32 v40, v39, v38
	s_delay_alu instid0(VALU_DEP_1) | instskip(NEXT) | instid1(VALU_DEP_1)
	v_fma_f32 v41, -v37, v40, v39
	v_fmac_f32_e32 v40, v41, v38
	s_delay_alu instid0(VALU_DEP_1) | instskip(SKIP_1) | instid1(VALU_DEP_1)
	v_fma_f32 v37, -v37, v40, v39
	s_wait_alu 0xfffd
	v_div_fmas_f32 v37, v37, v38, v40
	s_delay_alu instid0(VALU_DEP_1)
	v_div_fixup_f32 v36, v37, v36, 1.0
.LBB21_8:                               ;   in Loop: Header=BB21_3 Depth=1
	ds_store_b32 v70, v36
.LBB21_9:                               ;   in Loop: Header=BB21_3 Depth=1
	s_wait_alu 0xfffe
	s_or_b32 exec_lo, exec_lo, s3
	s_wait_loadcnt 0x0
	v_add_co_u32 v34, vcc_lo, v34, s10
	s_wait_alu 0xfffd
	v_add_co_ci_u32_e64 v35, null, s11, v35, vcc_lo
	s_delay_alu instid0(VALU_DEP_2) | instskip(SKIP_1) | instid1(VALU_DEP_2)
	v_add_co_u32 v71, vcc_lo, v34, s14
	s_wait_alu 0xfffd
	v_add_co_ci_u32_e64 v72, null, s15, v35, vcc_lo
	s_and_saveexec_b32 s3, s29
	s_cbranch_execz .LBB21_12
; %bb.10:                               ;   in Loop: Header=BB21_3 Depth=1
	v_add_co_u32 v34, vcc_lo, v71, v67
	s_wait_alu 0xfffd
	v_add_co_ci_u32_e64 v35, null, v72, v68, vcc_lo
	v_mov_b32_e32 v36, v66
	s_mov_b32 s16, s25
.LBB21_11:                              ;   Parent Loop BB21_3 Depth=1
                                        ; =>  This Inner Loop Header: Depth=2
	flat_load_b32 v37, v[34:35]
	v_add_co_u32 v34, vcc_lo, v34, 4
	s_wait_alu 0xfffd
	v_add_co_ci_u32_e64 v35, null, 0, v35, vcc_lo
	s_add_co_i32 s16, s16, -1
	s_delay_alu instid0(SALU_CYCLE_1)
	s_cmp_lg_u32 s16, 0
	s_wait_loadcnt_dscnt 0x0
	v_mul_f32_e32 v37, s1, v37
	ds_store_b32 v36, v37
	v_add_nc_u32_e32 v36, 0x50, v36
	s_cbranch_scc1 .LBB21_11
.LBB21_12:                              ;   in Loop: Header=BB21_3 Depth=1
	s_wait_alu 0xfffe
	s_or_b32 exec_lo, exec_lo, s3
	s_delay_alu instid0(SALU_CYCLE_1)
	s_and_not1_b32 vcc_lo, exec_lo, s28
	s_mov_b32 s3, -1
	s_wait_dscnt 0x0
	; wave barrier
	global_inv scope:SCOPE_SE
                                        ; implicit-def: $vgpr34_vgpr35_vgpr36_vgpr37_vgpr38_vgpr39_vgpr40_vgpr41_vgpr42_vgpr43_vgpr44_vgpr45_vgpr46_vgpr47_vgpr48_vgpr49_vgpr50_vgpr51_vgpr52_vgpr53_vgpr54_vgpr55_vgpr56_vgpr57_vgpr58_vgpr59_vgpr60_vgpr61_vgpr62_vgpr63_vgpr64_vgpr65
	s_wait_alu 0xfffe
	s_cbranch_vccnz .LBB21_33
; %bb.13:                               ;   in Loop: Header=BB21_3 Depth=1
	v_dual_mov_b32 v65, v33 :: v_dual_mov_b32 v64, v32
	v_dual_mov_b32 v63, v31 :: v_dual_mov_b32 v62, v30
	;; [unrolled: 1-line block ×16, first 2 shown]
	s_mov_b32 s16, 0
	s_delay_alu instid0(SALU_CYCLE_1)
	s_mov_b32 s3, s16
.LBB21_14:                              ;   Parent Loop BB21_3 Depth=1
                                        ; =>  This Loop Header: Depth=2
                                        ;       Child Loop BB21_17 Depth 3
                                        ;         Child Loop BB21_18 Depth 4
                                        ;         Child Loop BB21_21 Depth 4
                                        ;           Child Loop BB21_22 Depth 5
                                        ;         Child Loop BB21_27 Depth 4
                                        ;           Child Loop BB21_29 Depth 5
	s_getpc_b64 s[18:19]
	s_sext_i32_i16 s19, s19
	s_add_co_u32 s18, s18, __const._ZL38rocblas_trsm_small_left_device_sharedBILi20ELi20ELb0EffPKPKfPKPfEv13rocblas_fill_18rocblas_operation_17rocblas_diagonal_iiT3_T4_lilT5_lili.step_sizes@rel32@lo+8
	s_add_co_ci_u32 s19, s19, __const._ZL38rocblas_trsm_small_left_device_sharedBILi20ELi20ELb0EffPKPKfPKPfEv13rocblas_fill_18rocblas_operation_17rocblas_diagonal_iiT3_T4_lilT5_lili.step_sizes@rel32@hi+16
	s_lshl_b64 s[20:21], s[16:17], 2
	s_wait_alu 0xfffe
	s_add_nc_u64 s[18:19], s[18:19], s[20:21]
	s_load_b32 s31, s[18:19], 0x0
	s_wait_kmcnt 0x0
	s_add_co_i32 s33, s31, -1
	s_wait_alu 0xfffe
	s_add_co_i32 s18, s33, s3
	s_delay_alu instid0(SALU_CYCLE_1)
	s_cmp_ge_i32 s18, s25
	s_cbranch_scc1 .LBB21_30
; %bb.15:                               ;   in Loop: Header=BB21_14 Depth=2
	s_mul_i32 s34, s3, 0x50
	s_max_i32 s35, s31, 1
	s_wait_alu 0xfffe
	v_add_nc_u32_e32 v73, s34, v66
	s_mul_i32 s36, s31, 0x50
	s_mul_i32 s37, s3, 0x54
	;; [unrolled: 1-line block ×3, first 2 shown]
	s_branch .LBB21_17
.LBB21_16:                              ;   in Loop: Header=BB21_17 Depth=3
	s_add_co_i32 s3, s3, s31
	v_add_nc_u32_e32 v73, s36, v73
	s_wait_alu 0xfffe
	s_add_co_i32 s18, s33, s3
	s_add_co_i32 s34, s34, s36
	;; [unrolled: 1-line block ×3, first 2 shown]
	s_cmp_ge_i32 s18, s25
	s_cbranch_scc1 .LBB21_30
.LBB21_17:                              ;   Parent Loop BB21_3 Depth=1
                                        ;     Parent Loop BB21_14 Depth=2
                                        ; =>    This Loop Header: Depth=3
                                        ;         Child Loop BB21_18 Depth 4
                                        ;         Child Loop BB21_21 Depth 4
                                        ;           Child Loop BB21_22 Depth 5
                                        ;         Child Loop BB21_27 Depth 4
                                        ;           Child Loop BB21_29 Depth 5
	v_mov_b32_e32 v74, v73
	s_mov_b64 s[18:19], 0
.LBB21_18:                              ;   Parent Loop BB21_3 Depth=1
                                        ;     Parent Loop BB21_14 Depth=2
                                        ;       Parent Loop BB21_17 Depth=3
                                        ; =>      This Inner Loop Header: Depth=4
	ds_load_b32 v75, v74
	v_add_nc_u32_e32 v74, 0x50, v74
	s_mov_b32 m0, s18
	s_add_nc_u64 s[18:19], s[18:19], 1
	s_delay_alu instid0(SALU_CYCLE_1)
	s_cmp_eq_u32 s35, s18
	s_wait_dscnt 0x0
	v_movreld_b32_e32 v34, v75
	s_cbranch_scc0 .LBB21_18
; %bb.19:                               ;   in Loop: Header=BB21_17 Depth=3
	s_cmp_lt_i32 s3, 1
	s_cbranch_scc1 .LBB21_24
; %bb.20:                               ;   in Loop: Header=BB21_17 Depth=3
	s_mov_b32 s20, 0
	s_wait_alu 0xfffe
	s_mov_b32 s21, s34
.LBB21_21:                              ;   Parent Loop BB21_3 Depth=1
                                        ;     Parent Loop BB21_14 Depth=2
                                        ;       Parent Loop BB21_17 Depth=3
                                        ; =>      This Loop Header: Depth=4
                                        ;           Child Loop BB21_22 Depth 5
	s_wait_alu 0xfffe
	v_mad_co_u64_u32 v[74:75], null, 0x50, s20, v[66:67]
	s_mov_b64 s[18:19], 0
	s_mov_b32 s22, s21
	ds_load_b32 v74, v74
.LBB21_22:                              ;   Parent Loop BB21_3 Depth=1
                                        ;     Parent Loop BB21_14 Depth=2
                                        ;       Parent Loop BB21_17 Depth=3
                                        ;         Parent Loop BB21_21 Depth=4
                                        ; =>        This Inner Loop Header: Depth=5
	s_wait_alu 0xfffe
	v_mov_b32_e32 v75, s22
	s_mov_b32 m0, s18
	s_add_nc_u64 s[18:19], s[18:19], 1
	v_movrels_b32_e32 v76, v34
	s_addk_co_i32 s22, 0x50
	ds_load_b32 v75, v75
	s_cmp_eq_u32 s35, s18
	s_wait_dscnt 0x0
	v_fma_f32 v75, -v74, v75, v76
	s_delay_alu instid0(VALU_DEP_1)
	v_movreld_b32_e32 v34, v75
	s_cbranch_scc0 .LBB21_22
; %bb.23:                               ;   in Loop: Header=BB21_21 Depth=4
	s_add_co_i32 s20, s20, 1
	s_add_co_i32 s21, s21, 4
	s_wait_alu 0xfffe
	s_cmp_eq_u32 s20, s3
	s_cbranch_scc0 .LBB21_21
.LBB21_24:                              ;   in Loop: Header=BB21_17 Depth=3
	s_mul_i32 s39, s3, 0x50
	s_mov_b64 s[18:19], 0
	s_wait_alu 0xfffe
	s_mov_b32 s40, s37
	s_branch .LBB21_27
.LBB21_25:                              ;   in Loop: Header=BB21_27 Depth=4
	s_mov_b32 s42, s3
	s_mov_b64 s[20:21], 0
	s_mov_b32 s41, s39
.LBB21_26:                              ;   in Loop: Header=BB21_27 Depth=4
	s_wait_alu 0xfffe
	s_mov_b32 m0, s20
	s_mul_i32 s20, s42, 0x54
	v_movrels_b32_e32 v75, v34
	s_wait_alu 0xfffe
	v_mov_b32_e32 v74, s20
	s_add_nc_u64 s[18:19], s[18:19], 1
	s_addk_co_i32 s40, 0x50
	s_cmp_eq_u32 s18, s35
	ds_load_b32 v74, v74
	s_wait_dscnt 0x0
	v_mul_f32_e32 v74, v75, v74
	v_add_nc_u32_e32 v75, s41, v66
	s_delay_alu instid0(VALU_DEP_2)
	v_movreld_b32_e32 v34, v74
	ds_store_b32 v75, v74
	s_cbranch_scc1 .LBB21_16
.LBB21_27:                              ;   Parent Loop BB21_3 Depth=1
                                        ;     Parent Loop BB21_14 Depth=2
                                        ;       Parent Loop BB21_17 Depth=3
                                        ; =>      This Loop Header: Depth=4
                                        ;           Child Loop BB21_29 Depth 5
	s_cmp_eq_u32 s18, 0
	s_cbranch_scc1 .LBB21_25
; %bb.28:                               ;   in Loop: Header=BB21_27 Depth=4
	s_add_co_i32 s42, s18, s3
	s_mov_b64 s[20:21], s[18:19]
	s_mov_b64 s[22:23], 0
	s_mul_i32 s41, s42, 0x50
	s_wait_alu 0xfffe
	s_mov_b32 s21, s40
.LBB21_29:                              ;   Parent Loop BB21_3 Depth=1
                                        ;     Parent Loop BB21_14 Depth=2
                                        ;       Parent Loop BB21_17 Depth=3
                                        ;         Parent Loop BB21_27 Depth=4
                                        ; =>        This Inner Loop Header: Depth=5
	s_wait_alu 0xfffe
	v_mov_b32_e32 v74, s21
	s_mov_b32 m0, s22
	s_add_nc_u64 s[22:23], s[22:23], 1
	v_movrels_b32_e32 v75, v34
	s_mov_b32 m0, s18
	ds_load_b32 v74, v74
	v_movrels_b32_e32 v76, v34
	s_add_co_i32 s21, s21, 4
	s_wait_alu 0xfffe
	s_cmp_eq_u32 s18, s22
	s_wait_dscnt 0x0
	v_fma_f32 v74, -v75, v74, v76
	s_delay_alu instid0(VALU_DEP_1)
	v_movreld_b32_e32 v34, v74
	s_cbranch_scc0 .LBB21_29
	s_branch .LBB21_26
.LBB21_30:                              ;   in Loop: Header=BB21_14 Depth=2
	s_cmp_lt_i32 s3, s25
	s_cselect_b32 s19, -1, 0
	s_add_co_i32 s18, s16, 1
	s_cmp_lt_u32 s16, 2
	s_cselect_b32 s16, -1, 0
	s_delay_alu instid0(SALU_CYCLE_1) | instskip(NEXT) | instid1(SALU_CYCLE_1)
	s_and_b32 s16, s19, s16
	s_and_b32 vcc_lo, exec_lo, s16
	s_wait_alu 0xfffe
	s_cbranch_vccz .LBB21_32
; %bb.31:                               ;   in Loop: Header=BB21_14 Depth=2
	s_mov_b32 s16, s18
	s_branch .LBB21_14
.LBB21_32:                              ;   in Loop: Header=BB21_3 Depth=1
	s_mov_b32 s3, 0
.LBB21_33:                              ;   in Loop: Header=BB21_3 Depth=1
	s_wait_alu 0xfffe
	s_and_b32 vcc_lo, exec_lo, s3
	s_wait_alu 0xfffe
	s_cbranch_vccz .LBB21_54
; %bb.34:                               ;   in Loop: Header=BB21_3 Depth=1
	s_mov_b32 s16, 0
	s_mov_b32 s3, s26
.LBB21_35:                              ;   Parent Loop BB21_3 Depth=1
                                        ; =>  This Loop Header: Depth=2
                                        ;       Child Loop BB21_38 Depth 3
                                        ;         Child Loop BB21_39 Depth 4
                                        ;         Child Loop BB21_41 Depth 4
                                        ;           Child Loop BB21_42 Depth 5
                                        ;         Child Loop BB21_47 Depth 4
                                        ;           Child Loop BB21_49 Depth 5
	s_getpc_b64 s[18:19]
	s_sext_i32_i16 s19, s19
	s_add_co_u32 s18, s18, __const._ZL38rocblas_trsm_small_left_device_sharedBILi20ELi20ELb0EffPKPKfPKPfEv13rocblas_fill_18rocblas_operation_17rocblas_diagonal_iiT3_T4_lilT5_lili.step_sizes@rel32@lo+8
	s_add_co_ci_u32 s19, s19, __const._ZL38rocblas_trsm_small_left_device_sharedBILi20ELi20ELb0EffPKPKfPKPfEv13rocblas_fill_18rocblas_operation_17rocblas_diagonal_iiT3_T4_lilT5_lili.step_sizes@rel32@hi+16
	s_lshl_b64 s[20:21], s[16:17], 2
	s_wait_alu 0xfffe
	s_add_nc_u64 s[18:19], s[18:19], s[20:21]
	s_load_b32 s22, s[18:19], 0x0
	s_wait_kmcnt 0x0
	s_add_co_i32 s23, s22, -1
	s_wait_alu 0xfffe
	s_cmp_lt_i32 s3, s23
	s_cbranch_scc1 .LBB21_51
; %bb.36:                               ;   in Loop: Header=BB21_35 Depth=2
	v_mad_co_u64_u32 v[34:35], null, 0x50, s3, v[66:67]
	s_lshl_b32 s18, s3, 2
	s_lshl_b32 s19, s22, 2
	s_max_i32 s31, s22, 1
	s_mul_i32 s33, s22, 0xffffffb0
	s_add_co_i32 s34, s30, s18
	s_sub_co_i32 s35, 0, s19
	s_mul_i32 s36, s3, 0x54
	s_mul_i32 s37, s22, 0xffffffac
	s_branch .LBB21_38
.LBB21_37:                              ;   in Loop: Header=BB21_38 Depth=3
	v_add_nc_u32_e32 v34, s33, v34
	s_sub_co_i32 s3, s3, s22
	s_add_co_i32 s34, s34, s35
	s_add_co_i32 s36, s36, s37
	s_wait_alu 0xfffe
	s_cmp_lt_i32 s3, s23
	s_cbranch_scc1 .LBB21_51
.LBB21_38:                              ;   Parent Loop BB21_3 Depth=1
                                        ;     Parent Loop BB21_35 Depth=2
                                        ; =>    This Loop Header: Depth=3
                                        ;         Child Loop BB21_39 Depth 4
                                        ;         Child Loop BB21_41 Depth 4
                                        ;           Child Loop BB21_42 Depth 5
                                        ;         Child Loop BB21_47 Depth 4
                                        ;           Child Loop BB21_49 Depth 5
	v_mov_b32_e32 v35, v34
	s_mov_b64 s[18:19], 0
.LBB21_39:                              ;   Parent Loop BB21_3 Depth=1
                                        ;     Parent Loop BB21_35 Depth=2
                                        ;       Parent Loop BB21_38 Depth=3
                                        ; =>      This Inner Loop Header: Depth=4
	ds_load_b32 v36, v35
	v_add_nc_u32_e32 v35, 0xffffffb0, v35
	s_mov_b32 m0, s18
	s_add_nc_u64 s[18:19], s[18:19], 1
	s_delay_alu instid0(SALU_CYCLE_1)
	s_cmp_eq_u32 s31, s18
	s_wait_dscnt 0x0
	v_movreld_b32_e32 v2, v36
	s_cbranch_scc0 .LBB21_39
; %bb.40:                               ;   in Loop: Header=BB21_38 Depth=3
	s_cmp_le_i32 s26, s3
	s_wait_alu 0xfffe
	s_mov_b32 s20, s34
	s_mov_b32 s21, s26
	s_cbranch_scc1 .LBB21_44
.LBB21_41:                              ;   Parent Loop BB21_3 Depth=1
                                        ;     Parent Loop BB21_35 Depth=2
                                        ;       Parent Loop BB21_38 Depth=3
                                        ; =>      This Loop Header: Depth=4
                                        ;           Child Loop BB21_42 Depth 5
	s_wait_alu 0xfffe
	v_mad_co_u64_u32 v[35:36], null, 0x50, s21, v[66:67]
	s_mov_b64 s[18:19], 0
	s_mov_b32 s38, s20
	ds_load_b32 v35, v35
.LBB21_42:                              ;   Parent Loop BB21_3 Depth=1
                                        ;     Parent Loop BB21_35 Depth=2
                                        ;       Parent Loop BB21_38 Depth=3
                                        ;         Parent Loop BB21_41 Depth=4
                                        ; =>        This Inner Loop Header: Depth=5
	s_wait_alu 0xfffe
	v_mov_b32_e32 v36, s38
	s_mov_b32 m0, s18
	s_add_nc_u64 s[18:19], s[18:19], 1
	v_movrels_b32_e32 v37, v2
	s_add_co_i32 s38, s38, -4
	ds_load_b32 v36, v36
	s_cmp_eq_u32 s31, s18
	s_wait_dscnt 0x0
	v_fma_f32 v36, -v35, v36, v37
	s_delay_alu instid0(VALU_DEP_1)
	v_movreld_b32_e32 v2, v36
	s_cbranch_scc0 .LBB21_42
; %bb.43:                               ;   in Loop: Header=BB21_41 Depth=4
	s_add_co_i32 s21, s21, -1
	s_addk_co_i32 s20, 0xffb0
	s_wait_alu 0xfffe
	s_cmp_le_i32 s21, s3
	s_cbranch_scc0 .LBB21_41
.LBB21_44:                              ;   in Loop: Header=BB21_38 Depth=3
	s_mov_b64 s[18:19], 0
	s_mov_b32 s38, s36
	s_branch .LBB21_47
.LBB21_45:                              ;   in Loop: Header=BB21_47 Depth=4
	s_mov_b32 s39, s3
	s_mov_b64 s[20:21], 0
.LBB21_46:                              ;   in Loop: Header=BB21_47 Depth=4
	s_wait_alu 0xfffe
	s_mov_b32 m0, s20
	s_mul_i32 s20, s39, 0x54
	v_movrels_b32_e32 v36, v2
	s_wait_alu 0xfffe
	v_mov_b32_e32 v35, s20
	s_add_nc_u64 s[18:19], s[18:19], 1
	s_add_co_i32 s38, s38, -4
	s_cmp_eq_u32 s18, s31
	ds_load_b32 v35, v35
	s_wait_dscnt 0x0
	v_mul_f32_e32 v37, v36, v35
	v_mad_co_u64_u32 v[35:36], null, 0x50, s39, v[66:67]
	s_delay_alu instid0(VALU_DEP_2)
	v_movreld_b32_e32 v2, v37
	ds_store_b32 v35, v37
	s_cbranch_scc1 .LBB21_37
.LBB21_47:                              ;   Parent Loop BB21_3 Depth=1
                                        ;     Parent Loop BB21_35 Depth=2
                                        ;       Parent Loop BB21_38 Depth=3
                                        ; =>      This Loop Header: Depth=4
                                        ;           Child Loop BB21_49 Depth 5
	s_cmp_eq_u32 s18, 0
	s_cbranch_scc1 .LBB21_45
; %bb.48:                               ;   in Loop: Header=BB21_47 Depth=4
	s_sub_co_i32 s39, s3, s18
	s_mov_b64 s[20:21], 0
	s_wait_alu 0xfffe
	s_mov_b32 s40, s38
.LBB21_49:                              ;   Parent Loop BB21_3 Depth=1
                                        ;     Parent Loop BB21_35 Depth=2
                                        ;       Parent Loop BB21_38 Depth=3
                                        ;         Parent Loop BB21_47 Depth=4
                                        ; =>        This Inner Loop Header: Depth=5
	s_wait_alu 0xfffe
	v_mov_b32_e32 v35, s40
	s_mov_b32 m0, s20
	s_add_nc_u64 s[20:21], s[20:21], 1
	v_movrels_b32_e32 v36, v2
	s_mov_b32 m0, s18
	ds_load_b32 v35, v35
	v_movrels_b32_e32 v37, v2
	s_addk_co_i32 s40, 0xffb0
	s_wait_alu 0xfffe
	s_cmp_eq_u32 s18, s20
	s_wait_dscnt 0x0
	v_fma_f32 v35, -v36, v35, v37
	s_delay_alu instid0(VALU_DEP_1)
	v_movreld_b32_e32 v2, v35
	s_cbranch_scc0 .LBB21_49
; %bb.50:                               ;   in Loop: Header=BB21_47 Depth=4
	s_mov_b64 s[20:21], s[18:19]
	s_branch .LBB21_46
.LBB21_51:                              ;   in Loop: Header=BB21_35 Depth=2
	s_cmp_gt_i32 s3, -1
	s_cselect_b32 s19, -1, 0
	s_add_co_i32 s18, s16, 1
	s_cmp_lt_u32 s16, 2
	s_cselect_b32 s16, -1, 0
	s_delay_alu instid0(SALU_CYCLE_1) | instskip(NEXT) | instid1(SALU_CYCLE_1)
	s_and_b32 s16, s19, s16
	s_and_not1_b32 vcc_lo, exec_lo, s16
	s_wait_alu 0xfffe
	s_cbranch_vccnz .LBB21_53
; %bb.52:                               ;   in Loop: Header=BB21_35 Depth=2
	s_mov_b32 s16, s18
	s_branch .LBB21_35
.LBB21_53:                              ;   in Loop: Header=BB21_3 Depth=1
	v_dual_mov_b32 v65, v33 :: v_dual_mov_b32 v64, v32
	v_dual_mov_b32 v63, v31 :: v_dual_mov_b32 v62, v30
	v_dual_mov_b32 v61, v29 :: v_dual_mov_b32 v60, v28
	v_dual_mov_b32 v59, v27 :: v_dual_mov_b32 v58, v26
	v_dual_mov_b32 v57, v25 :: v_dual_mov_b32 v56, v24
	v_dual_mov_b32 v55, v23 :: v_dual_mov_b32 v54, v22
	v_dual_mov_b32 v53, v21 :: v_dual_mov_b32 v52, v20
	v_dual_mov_b32 v51, v19 :: v_dual_mov_b32 v50, v18
	v_dual_mov_b32 v49, v17 :: v_dual_mov_b32 v48, v16
	v_dual_mov_b32 v47, v15 :: v_dual_mov_b32 v46, v14
	v_dual_mov_b32 v45, v13 :: v_dual_mov_b32 v44, v12
	v_dual_mov_b32 v43, v11 :: v_dual_mov_b32 v42, v10
	v_dual_mov_b32 v41, v9 :: v_dual_mov_b32 v40, v8
	v_dual_mov_b32 v39, v7 :: v_dual_mov_b32 v38, v6
	v_dual_mov_b32 v37, v5 :: v_dual_mov_b32 v36, v4
	v_dual_mov_b32 v35, v3 :: v_dual_mov_b32 v34, v2
.LBB21_54:                              ;   in Loop: Header=BB21_3 Depth=1
	; wave barrier
	s_wait_loadcnt_dscnt 0x0
	global_inv scope:SCOPE_SE
	s_and_saveexec_b32 s3, s29
	s_cbranch_execz .LBB21_2
; %bb.55:                               ;   in Loop: Header=BB21_3 Depth=1
	v_add_co_u32 v2, vcc_lo, v71, v67
	s_wait_alu 0xfffd
	v_add_co_ci_u32_e64 v3, null, v72, v68, vcc_lo
	v_mov_b32_e32 v4, v66
	s_mov_b32 s16, s25
.LBB21_56:                              ;   Parent Loop BB21_3 Depth=1
                                        ; =>  This Inner Loop Header: Depth=2
	ds_load_b32 v5, v4
	v_add_nc_u32_e32 v4, 0x50, v4
	s_add_co_i32 s16, s16, -1
	s_delay_alu instid0(SALU_CYCLE_1)
	s_cmp_lg_u32 s16, 0
	s_wait_dscnt 0x0
	flat_store_b32 v[2:3], v5
	v_add_co_u32 v2, vcc_lo, v2, 4
	s_wait_alu 0xfffd
	v_add_co_ci_u32_e64 v3, null, 0, v3, vcc_lo
	s_cbranch_scc1 .LBB21_56
	s_branch .LBB21_2
.LBB21_57:
	s_endpgm
	.section	.rodata,"a",@progbits
	.p2align	6, 0x0
	.amdhsa_kernel _ZL38rocblas_trsm_small_left_device_sharedBILi20ELi20ELb0EffPKPKfPKPfEv13rocblas_fill_18rocblas_operation_17rocblas_diagonal_iiT3_T4_lilT5_lili
		.amdhsa_group_segment_fixed_size 3200
		.amdhsa_private_segment_fixed_size 0
		.amdhsa_kernarg_size 352
		.amdhsa_user_sgpr_count 2
		.amdhsa_user_sgpr_dispatch_ptr 0
		.amdhsa_user_sgpr_queue_ptr 0
		.amdhsa_user_sgpr_kernarg_segment_ptr 1
		.amdhsa_user_sgpr_dispatch_id 0
		.amdhsa_user_sgpr_private_segment_size 0
		.amdhsa_wavefront_size32 1
		.amdhsa_uses_dynamic_stack 0
		.amdhsa_enable_private_segment 0
		.amdhsa_system_sgpr_workgroup_id_x 1
		.amdhsa_system_sgpr_workgroup_id_y 0
		.amdhsa_system_sgpr_workgroup_id_z 1
		.amdhsa_system_sgpr_workgroup_info 0
		.amdhsa_system_vgpr_workitem_id 0
		.amdhsa_next_free_vgpr 121
		.amdhsa_next_free_sgpr 43
		.amdhsa_reserve_vcc 1
		.amdhsa_float_round_mode_32 0
		.amdhsa_float_round_mode_16_64 0
		.amdhsa_float_denorm_mode_32 3
		.amdhsa_float_denorm_mode_16_64 3
		.amdhsa_fp16_overflow 0
		.amdhsa_workgroup_processor_mode 1
		.amdhsa_memory_ordered 1
		.amdhsa_forward_progress 1
		.amdhsa_inst_pref_size 22
		.amdhsa_round_robin_scheduling 0
		.amdhsa_exception_fp_ieee_invalid_op 0
		.amdhsa_exception_fp_denorm_src 0
		.amdhsa_exception_fp_ieee_div_zero 0
		.amdhsa_exception_fp_ieee_overflow 0
		.amdhsa_exception_fp_ieee_underflow 0
		.amdhsa_exception_fp_ieee_inexact 0
		.amdhsa_exception_int_div_zero 0
	.end_amdhsa_kernel
	.section	.text._ZL38rocblas_trsm_small_left_device_sharedBILi20ELi20ELb0EffPKPKfPKPfEv13rocblas_fill_18rocblas_operation_17rocblas_diagonal_iiT3_T4_lilT5_lili,"axG",@progbits,_ZL38rocblas_trsm_small_left_device_sharedBILi20ELi20ELb0EffPKPKfPKPfEv13rocblas_fill_18rocblas_operation_17rocblas_diagonal_iiT3_T4_lilT5_lili,comdat
.Lfunc_end21:
	.size	_ZL38rocblas_trsm_small_left_device_sharedBILi20ELi20ELb0EffPKPKfPKPfEv13rocblas_fill_18rocblas_operation_17rocblas_diagonal_iiT3_T4_lilT5_lili, .Lfunc_end21-_ZL38rocblas_trsm_small_left_device_sharedBILi20ELi20ELb0EffPKPKfPKPfEv13rocblas_fill_18rocblas_operation_17rocblas_diagonal_iiT3_T4_lilT5_lili
                                        ; -- End function
	.set _ZL38rocblas_trsm_small_left_device_sharedBILi20ELi20ELb0EffPKPKfPKPfEv13rocblas_fill_18rocblas_operation_17rocblas_diagonal_iiT3_T4_lilT5_lili.num_vgpr, 77
	.set _ZL38rocblas_trsm_small_left_device_sharedBILi20ELi20ELb0EffPKPKfPKPfEv13rocblas_fill_18rocblas_operation_17rocblas_diagonal_iiT3_T4_lilT5_lili.num_agpr, 0
	.set _ZL38rocblas_trsm_small_left_device_sharedBILi20ELi20ELb0EffPKPKfPKPfEv13rocblas_fill_18rocblas_operation_17rocblas_diagonal_iiT3_T4_lilT5_lili.numbered_sgpr, 43
	.set _ZL38rocblas_trsm_small_left_device_sharedBILi20ELi20ELb0EffPKPKfPKPfEv13rocblas_fill_18rocblas_operation_17rocblas_diagonal_iiT3_T4_lilT5_lili.num_named_barrier, 0
	.set _ZL38rocblas_trsm_small_left_device_sharedBILi20ELi20ELb0EffPKPKfPKPfEv13rocblas_fill_18rocblas_operation_17rocblas_diagonal_iiT3_T4_lilT5_lili.private_seg_size, 0
	.set _ZL38rocblas_trsm_small_left_device_sharedBILi20ELi20ELb0EffPKPKfPKPfEv13rocblas_fill_18rocblas_operation_17rocblas_diagonal_iiT3_T4_lilT5_lili.uses_vcc, 1
	.set _ZL38rocblas_trsm_small_left_device_sharedBILi20ELi20ELb0EffPKPKfPKPfEv13rocblas_fill_18rocblas_operation_17rocblas_diagonal_iiT3_T4_lilT5_lili.uses_flat_scratch, 0
	.set _ZL38rocblas_trsm_small_left_device_sharedBILi20ELi20ELb0EffPKPKfPKPfEv13rocblas_fill_18rocblas_operation_17rocblas_diagonal_iiT3_T4_lilT5_lili.has_dyn_sized_stack, 0
	.set _ZL38rocblas_trsm_small_left_device_sharedBILi20ELi20ELb0EffPKPKfPKPfEv13rocblas_fill_18rocblas_operation_17rocblas_diagonal_iiT3_T4_lilT5_lili.has_recursion, 0
	.set _ZL38rocblas_trsm_small_left_device_sharedBILi20ELi20ELb0EffPKPKfPKPfEv13rocblas_fill_18rocblas_operation_17rocblas_diagonal_iiT3_T4_lilT5_lili.has_indirect_call, 0
	.section	.AMDGPU.csdata,"",@progbits
; Kernel info:
; codeLenInByte = 2788
; TotalNumSgprs: 45
; NumVgprs: 77
; ScratchSize: 0
; MemoryBound: 0
; FloatMode: 240
; IeeeMode: 1
; LDSByteSize: 3200 bytes/workgroup (compile time only)
; SGPRBlocks: 0
; VGPRBlocks: 15
; NumSGPRsForWavesPerEU: 45
; NumVGPRsForWavesPerEU: 121
; Occupancy: 10
; WaveLimiterHint : 0
; COMPUTE_PGM_RSRC2:SCRATCH_EN: 0
; COMPUTE_PGM_RSRC2:USER_SGPR: 2
; COMPUTE_PGM_RSRC2:TRAP_HANDLER: 0
; COMPUTE_PGM_RSRC2:TGID_X_EN: 1
; COMPUTE_PGM_RSRC2:TGID_Y_EN: 0
; COMPUTE_PGM_RSRC2:TGID_Z_EN: 1
; COMPUTE_PGM_RSRC2:TIDIG_COMP_CNT: 0
	.section	.text._ZL30rocblas_trsm_small_left_deviceILi20ELi20ELb0EffPKPKfPKPfEv13rocblas_fill_18rocblas_operation_17rocblas_diagonal_iiT3_T4_lilT5_lili,"axG",@progbits,_ZL30rocblas_trsm_small_left_deviceILi20ELi20ELb0EffPKPKfPKPfEv13rocblas_fill_18rocblas_operation_17rocblas_diagonal_iiT3_T4_lilT5_lili,comdat
	.globl	_ZL30rocblas_trsm_small_left_deviceILi20ELi20ELb0EffPKPKfPKPfEv13rocblas_fill_18rocblas_operation_17rocblas_diagonal_iiT3_T4_lilT5_lili ; -- Begin function _ZL30rocblas_trsm_small_left_deviceILi20ELi20ELb0EffPKPKfPKPfEv13rocblas_fill_18rocblas_operation_17rocblas_diagonal_iiT3_T4_lilT5_lili
	.p2align	8
	.type	_ZL30rocblas_trsm_small_left_deviceILi20ELi20ELb0EffPKPKfPKPfEv13rocblas_fill_18rocblas_operation_17rocblas_diagonal_iiT3_T4_lilT5_lili,@function
_ZL30rocblas_trsm_small_left_deviceILi20ELi20ELb0EffPKPKfPKPfEv13rocblas_fill_18rocblas_operation_17rocblas_diagonal_iiT3_T4_lilT5_lili: ; @_ZL30rocblas_trsm_small_left_deviceILi20ELi20ELb0EffPKPKfPKPfEv13rocblas_fill_18rocblas_operation_17rocblas_diagonal_iiT3_T4_lilT5_lili
; %bb.0:
	s_load_b32 s33, s[0:1], 0x58
	s_lshr_b32 s2, ttmp7, 16
	s_wait_kmcnt 0x0
	s_cmp_ge_u32 s2, s33
	s_cbranch_scc1 .LBB22_53
; %bb.1:
	s_clause 0x6
	s_load_b32 s16, s[0:1], 0x28
	s_load_b128 s[12:15], s[0:1], 0x4
	s_load_b32 s3, s[0:1], 0x60
	s_load_b32 s18, s[0:1], 0x48
	s_load_b128 s[4:7], s[0:1], 0x18
	s_load_b128 s[8:11], s[0:1], 0x38
	s_load_b32 s34, s[0:1], 0x14
	v_mad_co_u64_u32 v[2:3], null, ttmp9, 20, v[0:1]
	s_mul_i32 s0, ttmp9, 0xffffffec
	v_dual_mov_b32 v1, 0 :: v_dual_lshlrev_b32 v74, 2, v0
	v_mul_u32_u24_e32 v34, 0x50, v0
	s_mov_b32 s40, 0
	s_delay_alu instid0(VALU_DEP_2)
	v_dual_mov_b32 v4, v1 :: v_dual_mov_b32 v5, v1
	v_dual_mov_b32 v6, v1 :: v_dual_mov_b32 v7, v1
	s_wait_kmcnt 0x0
	s_ashr_i32 s17, s16, 31
	s_min_i32 s35, s14, 20
	s_add_co_i32 s3, s3, -1
	v_mad_co_i64_i32 v[2:3], null, s18, v2, 0
	s_wait_alu 0xfffe
	s_add_co_i32 s0, s15, s0
	s_add_co_i32 s36, s35, -1
	s_wait_alu 0xfffe
	s_cmp_ge_u32 ttmp9, s3
	v_dual_mov_b32 v8, v1 :: v_dual_mov_b32 v9, v1
	s_cselect_b32 s1, s0, 20
	s_cmp_lg_u32 s13, 0x84
	v_lshlrev_b64_e32 v[66:67], 2, v[2:3]
	s_cselect_b32 s37, -1, 0
	s_cmp_lg_u32 s12, 0x6f
	v_dual_mov_b32 v2, v1 :: v_dual_mov_b32 v3, v1
	s_cselect_b32 s38, -1, 0
	s_lshl_b64 s[10:11], s[10:11], 2
	v_dual_mov_b32 v10, v1 :: v_dual_mov_b32 v11, v1
	v_dual_mov_b32 v12, v1 :: v_dual_mov_b32 v13, v1
	;; [unrolled: 1-line block ×5, first 2 shown]
	v_dual_mov_b32 v20, v1 :: v_dual_add_nc_u32 v77, v74, v34
	v_add_co_u32 v75, vcc_lo, v66, s10
	v_cmp_gt_i32_e64 s0, s35, v0
	s_wait_alu 0xfffe
	v_cmp_gt_i32_e64 s1, s1, v0
	v_dual_mov_b32 v33, v32 :: v_dual_lshlrev_b32 v0, 2, v0
	v_add_co_ci_u32_e64 v76, null, s11, v67, vcc_lo
	v_mov_b32_e32 v32, v31
	v_mov_b32_e32 v31, v30
	;; [unrolled: 1-line block ×31, first 2 shown]
	s_mul_i32 s39, s35, 0x50
	s_lshl_b64 s[12:13], s[16:17], 2
	s_mov_b32 s15, 0
	s_addk_co_i32 s39, 0xffb0
	s_lshl_b64 s[6:7], s[6:7], 2
	s_branch .LBB22_5
.LBB22_2:                               ;   in Loop: Header=BB22_5 Depth=1
	v_dual_mov_b32 v65, v33 :: v_dual_mov_b32 v64, v32
	v_dual_mov_b32 v63, v31 :: v_dual_mov_b32 v62, v30
	;; [unrolled: 1-line block ×16, first 2 shown]
.LBB22_3:                               ;   in Loop: Header=BB22_5 Depth=1
	s_add_co_i32 s2, s2, 0x10000
	s_delay_alu instid0(SALU_CYCLE_1) | instskip(SKIP_1) | instid1(SALU_CYCLE_1)
	s_cmp_ge_u32 s2, s33
	s_cselect_b32 s14, -1, 0
	s_or_not1_b32 s14, s14, exec_lo
.LBB22_4:                               ;   in Loop: Header=BB22_5 Depth=1
	s_or_b32 exec_lo, exec_lo, s3
	v_dual_mov_b32 v2, v34 :: v_dual_mov_b32 v3, v35
	v_dual_mov_b32 v4, v36 :: v_dual_mov_b32 v5, v37
	v_dual_mov_b32 v6, v38 :: v_dual_mov_b32 v7, v39
	v_dual_mov_b32 v8, v40 :: v_dual_mov_b32 v9, v41
	v_dual_mov_b32 v10, v42 :: v_dual_mov_b32 v11, v43
	v_dual_mov_b32 v12, v44 :: v_dual_mov_b32 v13, v45
	v_dual_mov_b32 v14, v46 :: v_dual_mov_b32 v15, v47
	v_dual_mov_b32 v16, v48 :: v_dual_mov_b32 v17, v49
	v_dual_mov_b32 v18, v50 :: v_dual_mov_b32 v19, v51
	v_dual_mov_b32 v20, v52 :: v_dual_mov_b32 v21, v53
	v_dual_mov_b32 v22, v54 :: v_dual_mov_b32 v23, v55
	v_dual_mov_b32 v24, v56 :: v_dual_mov_b32 v25, v57
	v_dual_mov_b32 v26, v58 :: v_dual_mov_b32 v27, v59
	v_dual_mov_b32 v28, v60 :: v_dual_mov_b32 v29, v61
	v_dual_mov_b32 v30, v62 :: v_dual_mov_b32 v31, v63
	v_dual_mov_b32 v32, v64 :: v_dual_mov_b32 v33, v65
	s_and_b32 s3, exec_lo, s14
	s_delay_alu instid0(SALU_CYCLE_1) | instskip(NEXT) | instid1(SALU_CYCLE_1)
	s_or_b32 s40, s3, s40
	s_and_not1_b32 exec_lo, exec_lo, s40
	s_cbranch_execz .LBB22_53
.LBB22_5:                               ; =>This Loop Header: Depth=1
                                        ;     Child Loop BB22_7 Depth 2
                                        ;     Child Loop BB22_14 Depth 2
                                        ;       Child Loop BB22_17 Depth 3
                                        ;         Child Loop BB22_18 Depth 4
                                        ;         Child Loop BB22_21 Depth 4
                                        ;           Child Loop BB22_22 Depth 5
                                        ;         Child Loop BB22_27 Depth 4
                                        ;           Child Loop BB22_29 Depth 5
                                        ;     Child Loop BB22_35 Depth 2
                                        ;       Child Loop BB22_38 Depth 3
                                        ;         Child Loop BB22_39 Depth 4
                                        ;         Child Loop BB22_41 Depth 4
                                        ;           Child Loop BB22_42 Depth 5
                                        ;         Child Loop BB22_47 Depth 4
                                        ;           Child Loop BB22_49 Depth 5
	s_mov_b32 s3, s15
	s_delay_alu instid0(SALU_CYCLE_1) | instskip(NEXT) | instid1(SALU_CYCLE_1)
	s_lshl_b64 s[16:17], s[2:3], 3
	s_add_nc_u64 s[18:19], s[8:9], s[16:17]
	global_load_b64 v[68:69], v1, s[18:19]
	s_and_saveexec_b32 s3, s0
	s_cbranch_execz .LBB22_11
; %bb.6:                                ;   in Loop: Header=BB22_5 Depth=1
	s_add_nc_u64 s[16:17], s[4:5], s[16:17]
	v_mov_b32_e32 v36, v74
	global_load_b64 v[34:35], v1, s[16:17]
	s_mov_b32 s14, s35
	s_wait_loadcnt 0x0
	v_add_co_u32 v34, vcc_lo, v34, s6
	s_wait_alu 0xfffd
	v_add_co_ci_u32_e64 v35, null, s7, v35, vcc_lo
	s_delay_alu instid0(VALU_DEP_2) | instskip(SKIP_1) | instid1(VALU_DEP_2)
	v_add_co_u32 v34, vcc_lo, v34, v0
	s_wait_alu 0xfffd
	v_add_co_ci_u32_e64 v35, null, 0, v35, vcc_lo
.LBB22_7:                               ;   Parent Loop BB22_5 Depth=1
                                        ; =>  This Inner Loop Header: Depth=2
	flat_load_b32 v37, v[34:35]
	v_add_co_u32 v34, vcc_lo, v34, s12
	s_wait_alu 0xfffd
	v_add_co_ci_u32_e64 v35, null, s13, v35, vcc_lo
	s_add_co_i32 s14, s14, -1
	s_delay_alu instid0(SALU_CYCLE_1)
	s_cmp_eq_u32 s14, 0
	s_wait_loadcnt_dscnt 0x0
	ds_store_b32 v36, v37
	v_add_nc_u32_e32 v36, 0x50, v36
	s_cbranch_scc0 .LBB22_7
; %bb.8:                                ;   in Loop: Header=BB22_5 Depth=1
	v_mov_b32_e32 v34, 1.0
	s_and_b32 vcc_lo, exec_lo, s37
	s_wait_alu 0xfffe
	s_cbranch_vccz .LBB22_10
; %bb.9:                                ;   in Loop: Header=BB22_5 Depth=1
	ds_load_b32 v34, v77
	s_wait_dscnt 0x0
	v_div_scale_f32 v35, null, v34, v34, 1.0
	s_delay_alu instid0(VALU_DEP_1) | instskip(NEXT) | instid1(TRANS32_DEP_1)
	v_rcp_f32_e32 v36, v35
	v_fma_f32 v37, -v35, v36, 1.0
	s_delay_alu instid0(VALU_DEP_1) | instskip(SKIP_1) | instid1(VALU_DEP_1)
	v_fmac_f32_e32 v36, v37, v36
	v_div_scale_f32 v37, vcc_lo, 1.0, v34, 1.0
	v_mul_f32_e32 v38, v37, v36
	s_delay_alu instid0(VALU_DEP_1) | instskip(NEXT) | instid1(VALU_DEP_1)
	v_fma_f32 v39, -v35, v38, v37
	v_fmac_f32_e32 v38, v39, v36
	s_delay_alu instid0(VALU_DEP_1) | instskip(SKIP_1) | instid1(VALU_DEP_1)
	v_fma_f32 v35, -v35, v38, v37
	s_wait_alu 0xfffd
	v_div_fmas_f32 v35, v35, v36, v38
	s_delay_alu instid0(VALU_DEP_1)
	v_div_fixup_f32 v34, v35, v34, 1.0
.LBB22_10:                              ;   in Loop: Header=BB22_5 Depth=1
	ds_store_b32 v77, v34
.LBB22_11:                              ;   in Loop: Header=BB22_5 Depth=1
	s_or_b32 exec_lo, exec_lo, s3
	s_mov_b32 s14, -1
	; wave barrier
	s_wait_loadcnt_dscnt 0x0
	global_inv scope:SCOPE_SE
                                        ; implicit-def: $vgpr34_vgpr35_vgpr36_vgpr37_vgpr38_vgpr39_vgpr40_vgpr41_vgpr42_vgpr43_vgpr44_vgpr45_vgpr46_vgpr47_vgpr48_vgpr49_vgpr50_vgpr51_vgpr52_vgpr53_vgpr54_vgpr55_vgpr56_vgpr57_vgpr58_vgpr59_vgpr60_vgpr61_vgpr62_vgpr63_vgpr64_vgpr65
	s_and_saveexec_b32 s3, s1
	s_cbranch_execz .LBB22_4
; %bb.12:                               ;   in Loop: Header=BB22_5 Depth=1
	v_add_co_u32 v34, vcc_lo, v68, s10
	s_wait_alu 0xfffd
	v_add_co_ci_u32_e64 v35, null, s11, v69, vcc_lo
	s_delay_alu instid0(VALU_DEP_2) | instskip(SKIP_1) | instid1(VALU_DEP_2)
	v_add_co_u32 v78, vcc_lo, v34, v66
	s_wait_alu 0xfffd
	v_add_co_ci_u32_e64 v79, null, v35, v67, vcc_lo
	s_and_not1_b32 vcc_lo, exec_lo, s38
                                        ; implicit-def: $vgpr34_vgpr35_vgpr36_vgpr37_vgpr38_vgpr39_vgpr40_vgpr41_vgpr42_vgpr43_vgpr44_vgpr45_vgpr46_vgpr47_vgpr48_vgpr49_vgpr50_vgpr51_vgpr52_vgpr53_vgpr54_vgpr55_vgpr56_vgpr57_vgpr58_vgpr59_vgpr60_vgpr61_vgpr62_vgpr63_vgpr64_vgpr65
	s_wait_alu 0xfffe
	s_cbranch_vccnz .LBB22_33
; %bb.13:                               ;   in Loop: Header=BB22_5 Depth=1
	v_add_co_u32 v80, vcc_lo, v68, v75
	v_dual_mov_b32 v65, v33 :: v_dual_mov_b32 v64, v32
	v_dual_mov_b32 v63, v31 :: v_dual_mov_b32 v62, v30
	v_dual_mov_b32 v61, v29 :: v_dual_mov_b32 v60, v28
	v_dual_mov_b32 v59, v27 :: v_dual_mov_b32 v58, v26
	v_dual_mov_b32 v57, v25 :: v_dual_mov_b32 v56, v24
	v_dual_mov_b32 v55, v23 :: v_dual_mov_b32 v54, v22
	v_dual_mov_b32 v53, v21 :: v_dual_mov_b32 v52, v20
	v_dual_mov_b32 v51, v19 :: v_dual_mov_b32 v50, v18
	v_dual_mov_b32 v49, v17 :: v_dual_mov_b32 v48, v16
	v_dual_mov_b32 v47, v15 :: v_dual_mov_b32 v46, v14
	v_dual_mov_b32 v45, v13 :: v_dual_mov_b32 v44, v12
	v_dual_mov_b32 v43, v11 :: v_dual_mov_b32 v42, v10
	v_dual_mov_b32 v41, v9 :: v_dual_mov_b32 v40, v8
	v_dual_mov_b32 v39, v7 :: v_dual_mov_b32 v38, v6
	v_dual_mov_b32 v37, v5 :: v_dual_mov_b32 v36, v4
	v_dual_mov_b32 v35, v3 :: v_dual_mov_b32 v34, v2
	s_wait_alu 0xfffd
	v_add_co_ci_u32_e64 v81, null, v69, v76, vcc_lo
	s_mov_b32 s18, 0
	s_mov_b32 s16, 0
.LBB22_14:                              ;   Parent Loop BB22_5 Depth=1
                                        ; =>  This Loop Header: Depth=2
                                        ;       Child Loop BB22_17 Depth 3
                                        ;         Child Loop BB22_18 Depth 4
                                        ;         Child Loop BB22_21 Depth 4
                                        ;           Child Loop BB22_22 Depth 5
                                        ;         Child Loop BB22_27 Depth 4
                                        ;           Child Loop BB22_29 Depth 5
	s_mov_b32 s19, s15
	s_getpc_b64 s[20:21]
	s_wait_alu 0xfffe
	s_sext_i32_i16 s21, s21
	s_add_co_u32 s20, s20, __const._ZL30rocblas_trsm_small_left_deviceILi20ELi20ELb0EffPKPKfPKPfEv13rocblas_fill_18rocblas_operation_17rocblas_diagonal_iiT3_T4_lilT5_lili.step_sizes@rel32@lo+12
	s_wait_alu 0xfffe
	s_add_co_ci_u32 s21, s21, __const._ZL30rocblas_trsm_small_left_deviceILi20ELi20ELb0EffPKPKfPKPfEv13rocblas_fill_18rocblas_operation_17rocblas_diagonal_iiT3_T4_lilT5_lili.step_sizes@rel32@hi+24
	s_lshl_b64 s[22:23], s[18:19], 2
	s_wait_alu 0xfffe
	s_add_nc_u64 s[20:21], s[20:21], s[22:23]
	s_load_b32 s20, s[20:21], 0x0
	s_wait_kmcnt 0x0
	s_add_co_i32 s19, s20, -1
	s_wait_alu 0xfffe
	s_add_co_i32 s14, s19, s16
	s_delay_alu instid0(SALU_CYCLE_1)
	s_cmp_ge_i32 s14, s35
	s_cbranch_scc1 .LBB22_30
; %bb.15:                               ;   in Loop: Header=BB22_14 Depth=2
	s_ashr_i32 s17, s16, 31
	s_ashr_i32 s21, s20, 31
	s_lshl_b64 s[22:23], s[16:17], 2
	s_max_i32 s41, s20, 1
	s_wait_alu 0xfffe
	v_add_co_u32 v70, vcc_lo, v80, s22
	s_wait_alu 0xfffd
	v_add_co_ci_u32_e64 v71, null, s23, v81, vcc_lo
	s_lshl_b64 s[22:23], s[20:21], 2
	s_mul_i32 s17, s16, 0x50
	s_mul_i32 s21, s20, 0x50
	;; [unrolled: 1-line block ×4, first 2 shown]
	s_branch .LBB22_17
.LBB22_16:                              ;   in Loop: Header=BB22_17 Depth=3
	v_add_co_u32 v70, vcc_lo, v70, s22
	s_add_co_i32 s16, s16, s20
	s_wait_alu 0xfffd
	v_add_co_ci_u32_e64 v71, null, s23, v71, vcc_lo
	s_add_co_i32 s14, s19, s16
	s_add_co_i32 s17, s17, s21
	;; [unrolled: 1-line block ×3, first 2 shown]
	s_cmp_ge_i32 s14, s35
	s_cbranch_scc1 .LBB22_30
.LBB22_17:                              ;   Parent Loop BB22_5 Depth=1
                                        ;     Parent Loop BB22_14 Depth=2
                                        ; =>    This Loop Header: Depth=3
                                        ;         Child Loop BB22_18 Depth 4
                                        ;         Child Loop BB22_21 Depth 4
                                        ;           Child Loop BB22_22 Depth 5
                                        ;         Child Loop BB22_27 Depth 4
                                        ;           Child Loop BB22_29 Depth 5
	v_dual_mov_b32 v73, v71 :: v_dual_mov_b32 v72, v70
	s_mov_b64 s[24:25], 0
.LBB22_18:                              ;   Parent Loop BB22_5 Depth=1
                                        ;     Parent Loop BB22_14 Depth=2
                                        ;       Parent Loop BB22_17 Depth=3
                                        ; =>      This Inner Loop Header: Depth=4
	flat_load_b32 v82, v[72:73]
	v_add_co_u32 v72, vcc_lo, v72, 4
	s_wait_alu 0xfffd
	v_add_co_ci_u32_e64 v73, null, 0, v73, vcc_lo
	s_wait_alu 0xfffe
	s_mov_b32 m0, s24
	s_add_nc_u64 s[24:25], s[24:25], 1
	s_wait_alu 0xfffe
	s_cmp_eq_u32 s41, s24
	s_wait_loadcnt_dscnt 0x0
	v_mul_f32_e32 v82, s34, v82
	s_delay_alu instid0(VALU_DEP_1)
	v_movreld_b32_e32 v34, v82
	s_cbranch_scc0 .LBB22_18
; %bb.19:                               ;   in Loop: Header=BB22_17 Depth=3
	s_cmp_lt_i32 s16, 1
	s_cbranch_scc1 .LBB22_24
; %bb.20:                               ;   in Loop: Header=BB22_17 Depth=3
	s_mov_b32 s14, 0
	s_mov_b32 s26, s17
.LBB22_21:                              ;   Parent Loop BB22_5 Depth=1
                                        ;     Parent Loop BB22_14 Depth=2
                                        ;       Parent Loop BB22_17 Depth=3
                                        ; =>      This Loop Header: Depth=4
                                        ;           Child Loop BB22_22 Depth 5
	s_lshl_b64 s[24:25], s[14:15], 2
	s_wait_alu 0xfffe
	s_mov_b32 s27, s26
	v_add_co_u32 v72, vcc_lo, v78, s24
	s_wait_alu 0xfffd
	v_add_co_ci_u32_e64 v73, null, s25, v79, vcc_lo
	s_mov_b64 s[24:25], 0
	flat_load_b32 v72, v[72:73]
.LBB22_22:                              ;   Parent Loop BB22_5 Depth=1
                                        ;     Parent Loop BB22_14 Depth=2
                                        ;       Parent Loop BB22_17 Depth=3
                                        ;         Parent Loop BB22_21 Depth=4
                                        ; =>        This Inner Loop Header: Depth=5
	s_wait_alu 0xfffe
	v_mov_b32_e32 v73, s27
	s_mov_b32 m0, s24
	s_add_nc_u64 s[24:25], s[24:25], 1
	v_movrels_b32_e32 v82, v34
	s_addk_co_i32 s27, 0x50
	ds_load_b32 v73, v73
	s_wait_alu 0xfffe
	s_cmp_eq_u32 s41, s24
	s_wait_loadcnt_dscnt 0x0
	v_fma_f32 v73, -v72, v73, v82
	s_delay_alu instid0(VALU_DEP_1)
	v_movreld_b32_e32 v34, v73
	s_cbranch_scc0 .LBB22_22
; %bb.23:                               ;   in Loop: Header=BB22_21 Depth=4
	s_add_co_i32 s14, s14, 1
	s_add_co_i32 s26, s26, 4
	s_cmp_eq_u32 s14, s16
	s_cbranch_scc0 .LBB22_21
.LBB22_24:                              ;   in Loop: Header=BB22_17 Depth=3
	s_mov_b64 s[24:25], 0
	s_mov_b32 s14, s42
	s_branch .LBB22_27
.LBB22_25:                              ;   in Loop: Header=BB22_27 Depth=4
	s_mov_b32 s26, s16
	s_mov_b64 s[28:29], 0
.LBB22_26:                              ;   in Loop: Header=BB22_27 Depth=4
	s_wait_alu 0xfffe
	s_mul_i32 s27, s26, 0x54
	s_mov_b32 m0, s28
	s_wait_alu 0xfffe
	v_mov_b32_e32 v72, s27
	v_movrels_b32_e32 v73, v34
	s_ashr_i32 s27, s26, 31
	s_add_nc_u64 s[24:25], s[24:25], 1
	s_wait_alu 0xfffe
	s_lshl_b64 s[26:27], s[26:27], 2
	ds_load_b32 v72, v72
	s_addk_co_i32 s14, 0x50
	s_cmp_eq_u32 s24, s41
	s_wait_dscnt 0x0
	v_mul_f32_e32 v82, v73, v72
	s_wait_alu 0xfffe
	v_add_co_u32 v72, vcc_lo, v78, s26
	s_wait_alu 0xfffd
	v_add_co_ci_u32_e64 v73, null, s27, v79, vcc_lo
	v_movreld_b32_e32 v34, v82
	flat_store_b32 v[72:73], v82
	s_cbranch_scc1 .LBB22_16
.LBB22_27:                              ;   Parent Loop BB22_5 Depth=1
                                        ;     Parent Loop BB22_14 Depth=2
                                        ;       Parent Loop BB22_17 Depth=3
                                        ; =>      This Loop Header: Depth=4
                                        ;           Child Loop BB22_29 Depth 5
	s_wait_alu 0xfffe
	s_cmp_eq_u32 s24, 0
	s_cbranch_scc1 .LBB22_25
; %bb.28:                               ;   in Loop: Header=BB22_27 Depth=4
	s_add_co_i32 s26, s24, s16
	s_mov_b64 s[30:31], 0
	s_mov_b64 s[28:29], s[24:25]
	s_mov_b32 s27, s14
.LBB22_29:                              ;   Parent Loop BB22_5 Depth=1
                                        ;     Parent Loop BB22_14 Depth=2
                                        ;       Parent Loop BB22_17 Depth=3
                                        ;         Parent Loop BB22_27 Depth=4
                                        ; =>        This Inner Loop Header: Depth=5
	s_wait_alu 0xfffe
	v_mov_b32_e32 v72, s27
	s_mov_b32 m0, s30
	s_add_nc_u64 s[30:31], s[30:31], 1
	v_movrels_b32_e32 v73, v34
	s_mov_b32 m0, s24
	ds_load_b32 v72, v72
	v_movrels_b32_e32 v82, v34
	s_add_co_i32 s27, s27, 4
	s_cmp_eq_u32 s24, s30
	s_wait_dscnt 0x0
	s_delay_alu instid0(VALU_DEP_1) | instskip(NEXT) | instid1(VALU_DEP_1)
	v_fma_f32 v72, -v73, v72, v82
	v_movreld_b32_e32 v34, v72
	s_cbranch_scc0 .LBB22_29
	s_branch .LBB22_26
.LBB22_30:                              ;   in Loop: Header=BB22_14 Depth=2
	s_cmp_lt_i32 s16, s35
	s_cselect_b32 s17, -1, 0
	s_add_co_i32 s14, s18, 1
	s_cmp_lt_u32 s18, 2
	s_cselect_b32 s18, -1, 0
	s_wait_alu 0xfffe
	s_and_b32 s17, s17, s18
	s_delay_alu instid0(SALU_CYCLE_1)
	s_and_b32 vcc_lo, exec_lo, s17
	s_wait_alu 0xfffe
	s_cbranch_vccz .LBB22_32
; %bb.31:                               ;   in Loop: Header=BB22_14 Depth=2
	s_mov_b32 s18, s14
	s_branch .LBB22_14
.LBB22_32:                              ;   in Loop: Header=BB22_5 Depth=1
	s_mov_b32 s14, 0
.LBB22_33:                              ;   in Loop: Header=BB22_5 Depth=1
	s_delay_alu instid0(SALU_CYCLE_1)
	s_and_b32 vcc_lo, exec_lo, s14
	s_wait_alu 0xfffe
	s_cbranch_vccz .LBB22_3
; %bb.34:                               ;   in Loop: Header=BB22_5 Depth=1
	v_add_co_u32 v36, vcc_lo, v68, v75
	s_wait_alu 0xfffd
	v_add_co_ci_u32_e64 v37, null, v69, v76, vcc_lo
	s_mov_b32 s14, 0
	s_mov_b32 s16, s36
.LBB22_35:                              ;   Parent Loop BB22_5 Depth=1
                                        ; =>  This Loop Header: Depth=2
                                        ;       Child Loop BB22_38 Depth 3
                                        ;         Child Loop BB22_39 Depth 4
                                        ;         Child Loop BB22_41 Depth 4
                                        ;           Child Loop BB22_42 Depth 5
                                        ;         Child Loop BB22_47 Depth 4
                                        ;           Child Loop BB22_49 Depth 5
	s_getpc_b64 s[18:19]
	s_wait_alu 0xfffe
	s_sext_i32_i16 s19, s19
	s_add_co_u32 s18, s18, __const._ZL30rocblas_trsm_small_left_deviceILi20ELi20ELb0EffPKPKfPKPfEv13rocblas_fill_18rocblas_operation_17rocblas_diagonal_iiT3_T4_lilT5_lili.step_sizes@rel32@lo+12
	s_wait_alu 0xfffe
	s_add_co_ci_u32 s19, s19, __const._ZL30rocblas_trsm_small_left_deviceILi20ELi20ELb0EffPKPKfPKPfEv13rocblas_fill_18rocblas_operation_17rocblas_diagonal_iiT3_T4_lilT5_lili.step_sizes@rel32@hi+24
	s_lshl_b64 s[20:21], s[14:15], 2
	s_wait_alu 0xfffe
	s_add_nc_u64 s[18:19], s[18:19], s[20:21]
	s_load_b32 s26, s[18:19], 0x0
	s_wait_kmcnt 0x0
	s_add_co_i32 s27, s26, -1
	s_wait_alu 0xfffe
	s_cmp_lt_i32 s16, s27
	s_cbranch_scc1 .LBB22_51
; %bb.36:                               ;   in Loop: Header=BB22_35 Depth=2
	s_lshl_b32 s17, s16, 2
	s_lshl_b32 s18, s26, 2
	s_max_i32 s28, s26, 1
	s_add_co_i32 s29, s39, s17
	s_wait_alu 0xfffe
	s_sub_co_i32 s30, 0, s18
	s_mul_i32 s31, s16, 0x54
	s_mul_i32 s41, s26, 0xffffffac
	s_branch .LBB22_38
.LBB22_37:                              ;   in Loop: Header=BB22_38 Depth=3
	s_sub_co_i32 s16, s16, s26
	s_add_co_i32 s29, s29, s30
	s_add_co_i32 s31, s31, s41
	s_cmp_lt_i32 s16, s27
	s_cbranch_scc1 .LBB22_51
.LBB22_38:                              ;   Parent Loop BB22_5 Depth=1
                                        ;     Parent Loop BB22_35 Depth=2
                                        ; =>    This Loop Header: Depth=3
                                        ;         Child Loop BB22_39 Depth 4
                                        ;         Child Loop BB22_41 Depth 4
                                        ;           Child Loop BB22_42 Depth 5
                                        ;         Child Loop BB22_47 Depth 4
                                        ;           Child Loop BB22_49 Depth 5
	s_ashr_i32 s17, s16, 31
	s_delay_alu instid0(SALU_CYCLE_1)
	s_lshl_b64 s[18:19], s[16:17], 2
	s_wait_alu 0xfffe
	v_add_co_u32 v34, vcc_lo, v36, s18
	s_wait_alu 0xfffd
	v_add_co_ci_u32_e64 v35, null, s19, v37, vcc_lo
	s_mov_b64 s[18:19], 0
.LBB22_39:                              ;   Parent Loop BB22_5 Depth=1
                                        ;     Parent Loop BB22_35 Depth=2
                                        ;       Parent Loop BB22_38 Depth=3
                                        ; =>      This Inner Loop Header: Depth=4
	flat_load_b32 v38, v[34:35]
	v_add_co_u32 v34, vcc_lo, v34, -4
	s_wait_alu 0xfffd
	v_add_co_ci_u32_e64 v35, null, -1, v35, vcc_lo
	s_wait_alu 0xfffe
	s_mov_b32 m0, s18
	s_add_nc_u64 s[18:19], s[18:19], 1
	s_wait_alu 0xfffe
	s_cmp_eq_u32 s28, s18
	s_wait_loadcnt_dscnt 0x0
	v_mul_f32_e32 v38, s34, v38
	s_delay_alu instid0(VALU_DEP_1)
	v_movreld_b32_e32 v2, v38
	s_cbranch_scc0 .LBB22_39
; %bb.40:                               ;   in Loop: Header=BB22_38 Depth=3
	s_cmp_le_i32 s36, s16
	s_mov_b32 s22, s29
	s_mov_b32 s18, s36
	s_cbranch_scc1 .LBB22_44
.LBB22_41:                              ;   Parent Loop BB22_5 Depth=1
                                        ;     Parent Loop BB22_35 Depth=2
                                        ;       Parent Loop BB22_38 Depth=3
                                        ; =>      This Loop Header: Depth=4
                                        ;           Child Loop BB22_42 Depth 5
	s_wait_alu 0xfffe
	s_ashr_i32 s19, s18, 31
	s_wait_alu 0xfffe
	s_lshl_b64 s[20:21], s[18:19], 2
	s_mov_b32 s19, s22
	s_wait_alu 0xfffe
	v_add_co_u32 v34, vcc_lo, v78, s20
	s_wait_alu 0xfffd
	v_add_co_ci_u32_e64 v35, null, s21, v79, vcc_lo
	s_mov_b64 s[20:21], 0
	flat_load_b32 v34, v[34:35]
.LBB22_42:                              ;   Parent Loop BB22_5 Depth=1
                                        ;     Parent Loop BB22_35 Depth=2
                                        ;       Parent Loop BB22_38 Depth=3
                                        ;         Parent Loop BB22_41 Depth=4
                                        ; =>        This Inner Loop Header: Depth=5
	s_wait_alu 0xfffe
	v_mov_b32_e32 v35, s19
	s_mov_b32 m0, s20
	s_add_nc_u64 s[20:21], s[20:21], 1
	v_movrels_b32_e32 v38, v2
	s_add_co_i32 s19, s19, -4
	ds_load_b32 v35, v35
	s_wait_alu 0xfffe
	s_cmp_eq_u32 s28, s20
	s_wait_loadcnt_dscnt 0x0
	v_fma_f32 v35, -v34, v35, v38
	s_delay_alu instid0(VALU_DEP_1)
	v_movreld_b32_e32 v2, v35
	s_cbranch_scc0 .LBB22_42
; %bb.43:                               ;   in Loop: Header=BB22_41 Depth=4
	s_add_co_i32 s18, s18, -1
	s_addk_co_i32 s22, 0xffb0
	s_wait_alu 0xfffe
	s_cmp_le_i32 s18, s16
	s_cbranch_scc0 .LBB22_41
.LBB22_44:                              ;   in Loop: Header=BB22_38 Depth=3
	s_mov_b64 s[18:19], 0
	s_mov_b32 s42, s31
	s_branch .LBB22_47
.LBB22_45:                              ;   in Loop: Header=BB22_47 Depth=4
	s_mov_b32 s20, s16
	s_mov_b64 s[24:25], 0
	s_mov_b64 s[22:23], s[16:17]
.LBB22_46:                              ;   in Loop: Header=BB22_47 Depth=4
	s_wait_alu 0xfffe
	s_mulk_i32 s20, 0x54
	s_mov_b32 m0, s24
	s_wait_alu 0xfffe
	v_mov_b32_e32 v34, s20
	v_movrels_b32_e32 v35, v2
	s_lshl_b64 s[20:21], s[22:23], 2
	s_add_nc_u64 s[18:19], s[18:19], 1
	s_add_co_i32 s42, s42, -4
	ds_load_b32 v34, v34
	s_wait_alu 0xfffe
	s_cmp_eq_u32 s18, s28
	s_wait_dscnt 0x0
	v_mul_f32_e32 v38, v35, v34
	v_add_co_u32 v34, vcc_lo, v78, s20
	s_wait_alu 0xfffd
	v_add_co_ci_u32_e64 v35, null, s21, v79, vcc_lo
	s_delay_alu instid0(VALU_DEP_3)
	v_movreld_b32_e32 v2, v38
	flat_store_b32 v[34:35], v38
	s_cbranch_scc1 .LBB22_37
.LBB22_47:                              ;   Parent Loop BB22_5 Depth=1
                                        ;     Parent Loop BB22_35 Depth=2
                                        ;       Parent Loop BB22_38 Depth=3
                                        ; =>      This Loop Header: Depth=4
                                        ;           Child Loop BB22_49 Depth 5
	s_wait_alu 0xfffe
	s_cmp_eq_u32 s18, 0
	s_cbranch_scc1 .LBB22_45
; %bb.48:                               ;   in Loop: Header=BB22_47 Depth=4
	s_mov_b64 s[20:21], 0
	s_mov_b32 s22, s42
.LBB22_49:                              ;   Parent Loop BB22_5 Depth=1
                                        ;     Parent Loop BB22_35 Depth=2
                                        ;       Parent Loop BB22_38 Depth=3
                                        ;         Parent Loop BB22_47 Depth=4
                                        ; =>        This Inner Loop Header: Depth=5
	s_wait_alu 0xfffe
	v_mov_b32_e32 v34, s22
	s_mov_b32 m0, s20
	s_add_nc_u64 s[20:21], s[20:21], 1
	v_movrels_b32_e32 v35, v2
	s_mov_b32 m0, s18
	ds_load_b32 v34, v34
	v_movrels_b32_e32 v38, v2
	s_addk_co_i32 s22, 0xffb0
	s_wait_alu 0xfffe
	s_cmp_eq_u32 s18, s20
	s_wait_dscnt 0x0
	v_fma_f32 v34, -v35, v34, v38
	s_delay_alu instid0(VALU_DEP_1)
	v_movreld_b32_e32 v2, v34
	s_cbranch_scc0 .LBB22_49
; %bb.50:                               ;   in Loop: Header=BB22_47 Depth=4
	s_sub_co_i32 s20, s16, s18
	s_mov_b64 s[24:25], s[18:19]
	s_wait_alu 0xfffe
	s_ashr_i32 s21, s20, 31
	s_wait_alu 0xfffe
	s_mov_b64 s[22:23], s[20:21]
	s_branch .LBB22_46
.LBB22_51:                              ;   in Loop: Header=BB22_35 Depth=2
	s_cmp_gt_i32 s16, -1
	s_cselect_b32 s18, -1, 0
	s_add_co_i32 s17, s14, 1
	s_cmp_lt_u32 s14, 2
	s_cselect_b32 s14, -1, 0
	s_wait_alu 0xfffe
	s_and_b32 s14, s18, s14
	s_delay_alu instid0(SALU_CYCLE_1)
	s_and_not1_b32 vcc_lo, exec_lo, s14
	s_wait_alu 0xfffe
	s_cbranch_vccnz .LBB22_2
; %bb.52:                               ;   in Loop: Header=BB22_35 Depth=2
	s_mov_b32 s14, s17
	s_branch .LBB22_35
.LBB22_53:
	s_endpgm
	.section	.rodata,"a",@progbits
	.p2align	6, 0x0
	.amdhsa_kernel _ZL30rocblas_trsm_small_left_deviceILi20ELi20ELb0EffPKPKfPKPfEv13rocblas_fill_18rocblas_operation_17rocblas_diagonal_iiT3_T4_lilT5_lili
		.amdhsa_group_segment_fixed_size 1600
		.amdhsa_private_segment_fixed_size 0
		.amdhsa_kernarg_size 352
		.amdhsa_user_sgpr_count 2
		.amdhsa_user_sgpr_dispatch_ptr 0
		.amdhsa_user_sgpr_queue_ptr 0
		.amdhsa_user_sgpr_kernarg_segment_ptr 1
		.amdhsa_user_sgpr_dispatch_id 0
		.amdhsa_user_sgpr_private_segment_size 0
		.amdhsa_wavefront_size32 1
		.amdhsa_uses_dynamic_stack 0
		.amdhsa_enable_private_segment 0
		.amdhsa_system_sgpr_workgroup_id_x 1
		.amdhsa_system_sgpr_workgroup_id_y 0
		.amdhsa_system_sgpr_workgroup_id_z 1
		.amdhsa_system_sgpr_workgroup_info 0
		.amdhsa_system_vgpr_workitem_id 0
		.amdhsa_next_free_vgpr 83
		.amdhsa_next_free_sgpr 44
		.amdhsa_reserve_vcc 1
		.amdhsa_float_round_mode_32 0
		.amdhsa_float_round_mode_16_64 0
		.amdhsa_float_denorm_mode_32 3
		.amdhsa_float_denorm_mode_16_64 3
		.amdhsa_fp16_overflow 0
		.amdhsa_workgroup_processor_mode 1
		.amdhsa_memory_ordered 1
		.amdhsa_forward_progress 1
		.amdhsa_inst_pref_size 22
		.amdhsa_round_robin_scheduling 0
		.amdhsa_exception_fp_ieee_invalid_op 0
		.amdhsa_exception_fp_denorm_src 0
		.amdhsa_exception_fp_ieee_div_zero 0
		.amdhsa_exception_fp_ieee_overflow 0
		.amdhsa_exception_fp_ieee_underflow 0
		.amdhsa_exception_fp_ieee_inexact 0
		.amdhsa_exception_int_div_zero 0
	.end_amdhsa_kernel
	.section	.text._ZL30rocblas_trsm_small_left_deviceILi20ELi20ELb0EffPKPKfPKPfEv13rocblas_fill_18rocblas_operation_17rocblas_diagonal_iiT3_T4_lilT5_lili,"axG",@progbits,_ZL30rocblas_trsm_small_left_deviceILi20ELi20ELb0EffPKPKfPKPfEv13rocblas_fill_18rocblas_operation_17rocblas_diagonal_iiT3_T4_lilT5_lili,comdat
.Lfunc_end22:
	.size	_ZL30rocblas_trsm_small_left_deviceILi20ELi20ELb0EffPKPKfPKPfEv13rocblas_fill_18rocblas_operation_17rocblas_diagonal_iiT3_T4_lilT5_lili, .Lfunc_end22-_ZL30rocblas_trsm_small_left_deviceILi20ELi20ELb0EffPKPKfPKPfEv13rocblas_fill_18rocblas_operation_17rocblas_diagonal_iiT3_T4_lilT5_lili
                                        ; -- End function
	.set _ZL30rocblas_trsm_small_left_deviceILi20ELi20ELb0EffPKPKfPKPfEv13rocblas_fill_18rocblas_operation_17rocblas_diagonal_iiT3_T4_lilT5_lili.num_vgpr, 83
	.set _ZL30rocblas_trsm_small_left_deviceILi20ELi20ELb0EffPKPKfPKPfEv13rocblas_fill_18rocblas_operation_17rocblas_diagonal_iiT3_T4_lilT5_lili.num_agpr, 0
	.set _ZL30rocblas_trsm_small_left_deviceILi20ELi20ELb0EffPKPKfPKPfEv13rocblas_fill_18rocblas_operation_17rocblas_diagonal_iiT3_T4_lilT5_lili.numbered_sgpr, 44
	.set _ZL30rocblas_trsm_small_left_deviceILi20ELi20ELb0EffPKPKfPKPfEv13rocblas_fill_18rocblas_operation_17rocblas_diagonal_iiT3_T4_lilT5_lili.num_named_barrier, 0
	.set _ZL30rocblas_trsm_small_left_deviceILi20ELi20ELb0EffPKPKfPKPfEv13rocblas_fill_18rocblas_operation_17rocblas_diagonal_iiT3_T4_lilT5_lili.private_seg_size, 0
	.set _ZL30rocblas_trsm_small_left_deviceILi20ELi20ELb0EffPKPKfPKPfEv13rocblas_fill_18rocblas_operation_17rocblas_diagonal_iiT3_T4_lilT5_lili.uses_vcc, 1
	.set _ZL30rocblas_trsm_small_left_deviceILi20ELi20ELb0EffPKPKfPKPfEv13rocblas_fill_18rocblas_operation_17rocblas_diagonal_iiT3_T4_lilT5_lili.uses_flat_scratch, 0
	.set _ZL30rocblas_trsm_small_left_deviceILi20ELi20ELb0EffPKPKfPKPfEv13rocblas_fill_18rocblas_operation_17rocblas_diagonal_iiT3_T4_lilT5_lili.has_dyn_sized_stack, 0
	.set _ZL30rocblas_trsm_small_left_deviceILi20ELi20ELb0EffPKPKfPKPfEv13rocblas_fill_18rocblas_operation_17rocblas_diagonal_iiT3_T4_lilT5_lili.has_recursion, 0
	.set _ZL30rocblas_trsm_small_left_deviceILi20ELi20ELb0EffPKPKfPKPfEv13rocblas_fill_18rocblas_operation_17rocblas_diagonal_iiT3_T4_lilT5_lili.has_indirect_call, 0
	.section	.AMDGPU.csdata,"",@progbits
; Kernel info:
; codeLenInByte = 2816
; TotalNumSgprs: 46
; NumVgprs: 83
; ScratchSize: 0
; MemoryBound: 0
; FloatMode: 240
; IeeeMode: 1
; LDSByteSize: 1600 bytes/workgroup (compile time only)
; SGPRBlocks: 0
; VGPRBlocks: 10
; NumSGPRsForWavesPerEU: 46
; NumVGPRsForWavesPerEU: 83
; Occupancy: 16
; WaveLimiterHint : 1
; COMPUTE_PGM_RSRC2:SCRATCH_EN: 0
; COMPUTE_PGM_RSRC2:USER_SGPR: 2
; COMPUTE_PGM_RSRC2:TRAP_HANDLER: 0
; COMPUTE_PGM_RSRC2:TGID_X_EN: 1
; COMPUTE_PGM_RSRC2:TGID_Y_EN: 0
; COMPUTE_PGM_RSRC2:TGID_Z_EN: 1
; COMPUTE_PGM_RSRC2:TIDIG_COMP_CNT: 0
	.section	.text._ZL38rocblas_trsm_small_left_device_sharedBILi20ELi20ELb1EffPKPKfPKPfEv13rocblas_fill_18rocblas_operation_17rocblas_diagonal_iiT3_T4_lilT5_lili,"axG",@progbits,_ZL38rocblas_trsm_small_left_device_sharedBILi20ELi20ELb1EffPKPKfPKPfEv13rocblas_fill_18rocblas_operation_17rocblas_diagonal_iiT3_T4_lilT5_lili,comdat
	.globl	_ZL38rocblas_trsm_small_left_device_sharedBILi20ELi20ELb1EffPKPKfPKPfEv13rocblas_fill_18rocblas_operation_17rocblas_diagonal_iiT3_T4_lilT5_lili ; -- Begin function _ZL38rocblas_trsm_small_left_device_sharedBILi20ELi20ELb1EffPKPKfPKPfEv13rocblas_fill_18rocblas_operation_17rocblas_diagonal_iiT3_T4_lilT5_lili
	.p2align	8
	.type	_ZL38rocblas_trsm_small_left_device_sharedBILi20ELi20ELb1EffPKPKfPKPfEv13rocblas_fill_18rocblas_operation_17rocblas_diagonal_iiT3_T4_lilT5_lili,@function
_ZL38rocblas_trsm_small_left_device_sharedBILi20ELi20ELb1EffPKPKfPKPfEv13rocblas_fill_18rocblas_operation_17rocblas_diagonal_iiT3_T4_lilT5_lili: ; @_ZL38rocblas_trsm_small_left_device_sharedBILi20ELi20ELb1EffPKPKfPKPfEv13rocblas_fill_18rocblas_operation_17rocblas_diagonal_iiT3_T4_lilT5_lili
; %bb.0:
	s_load_b32 s24, s[0:1], 0x58
	s_lshr_b32 s2, ttmp7, 16
	s_wait_kmcnt 0x0
	s_cmp_ge_u32 s2, s24
	s_cbranch_scc1 .LBB23_56
; %bb.1:
	s_clause 0x6
	s_load_b32 s18, s[0:1], 0x28
	s_load_b32 s20, s[0:1], 0x48
	s_load_b128 s[12:15], s[0:1], 0x4
	s_load_b32 s3, s[0:1], 0x60
	s_load_b128 s[4:7], s[0:1], 0x18
	s_load_b128 s[8:11], s[0:1], 0x38
	s_load_b32 s1, s[0:1], 0x14
	s_mul_i32 s0, ttmp9, 0xffffffec
	s_mul_i32 s22, ttmp9, 20
	v_mov_b32_e32 v1, 0
	v_lshlrev_b32_e32 v69, 2, v0
	v_mul_u32_u24_e32 v23, 0x50, v0
	s_mov_b32 s17, 0
	s_delay_alu instid0(VALU_DEP_3) | instskip(NEXT) | instid1(VALU_DEP_3)
	v_mov_b32_e32 v2, v1
	v_dual_mov_b32 v3, v1 :: v_dual_add_nc_u32 v66, 0x640, v69
	v_dual_mov_b32 v4, v1 :: v_dual_mov_b32 v5, v1
	v_mov_b32_e32 v6, v1
	s_wait_kmcnt 0x0
	s_ashr_i32 s19, s18, 31
	s_ashr_i32 s21, s20, 31
	s_min_i32 s25, s14, 20
	s_add_co_i32 s3, s3, -1
	s_add_co_i32 s15, s15, s0
	v_mad_co_i64_i32 v[21:22], null, s20, v0, 0
	s_add_co_i32 s26, s25, -1
	s_cmp_ge_u32 ttmp9, s3
	v_dual_mov_b32 v7, v1 :: v_dual_mov_b32 v8, v1
	s_cselect_b32 s3, s15, 20
	s_ashr_i32 s23, s22, 31
	s_cmp_lg_u32 s13, 0x84
	v_cmp_gt_i32_e32 vcc_lo, s3, v0
	s_cselect_b32 s27, -1, 0
	s_cmp_gt_i32 s14, 0
	v_dual_mov_b32 v9, v1 :: v_dual_mov_b32 v10, v1
	v_dual_mov_b32 v11, v1 :: v_dual_mov_b32 v12, v1
	;; [unrolled: 1-line block ×6, first 2 shown]
	v_cmp_gt_i32_e64 s0, s25, v0
	s_cselect_b32 s3, -1, 0
	s_cmp_lg_u32 s12, 0x6f
	v_lshlrev_b32_e32 v0, 2, v0
	v_add_nc_u32_e32 v70, v69, v23
	v_lshlrev_b64_e32 v[67:68], 2, v[21:22]
	v_mov_b32_e32 v33, v32
	v_mov_b32_e32 v32, v31
	;; [unrolled: 1-line block ×32, first 2 shown]
	s_mul_u64 s[20:21], s[20:21], s[22:23]
	s_cselect_b32 s28, -1, 0
	s_lshl_b32 s30, s25, 2
	s_wait_alu 0xfffe
	s_and_b32 s29, vcc_lo, s3
	s_lshl_b64 s[12:13], s[18:19], 2
	s_add_co_i32 s30, s30, -4
	s_lshl_b64 s[6:7], s[6:7], 2
	s_lshl_b64 s[10:11], s[10:11], 2
	;; [unrolled: 1-line block ×3, first 2 shown]
	s_branch .LBB23_3
.LBB23_2:                               ;   in Loop: Header=BB23_3 Depth=1
	s_wait_alu 0xfffe
	s_or_b32 exec_lo, exec_lo, s3
	v_dual_mov_b32 v2, v34 :: v_dual_mov_b32 v3, v35
	v_dual_mov_b32 v4, v36 :: v_dual_mov_b32 v5, v37
	;; [unrolled: 1-line block ×16, first 2 shown]
	s_add_co_i32 s2, s2, 0x10000
	s_wait_alu 0xfffe
	s_cmp_lt_u32 s2, s24
	s_cbranch_scc0 .LBB23_56
.LBB23_3:                               ; =>This Loop Header: Depth=1
                                        ;     Child Loop BB23_5 Depth 2
                                        ;     Child Loop BB23_11 Depth 2
	;; [unrolled: 1-line block ×3, first 2 shown]
                                        ;       Child Loop BB23_17 Depth 3
                                        ;         Child Loop BB23_18 Depth 4
                                        ;         Child Loop BB23_20 Depth 4
                                        ;           Child Loop BB23_21 Depth 5
                                        ;         Child Loop BB23_26 Depth 4
                                        ;           Child Loop BB23_28 Depth 5
                                        ;     Child Loop BB23_34 Depth 2
                                        ;       Child Loop BB23_37 Depth 3
                                        ;         Child Loop BB23_38 Depth 4
                                        ;         Child Loop BB23_41 Depth 4
                                        ;           Child Loop BB23_42 Depth 5
                                        ;         Child Loop BB23_47 Depth 4
                                        ;           Child Loop BB23_49 Depth 5
                                        ;     Child Loop BB23_55 Depth 2
	s_mov_b32 s3, s17
	s_wait_alu 0xfffe
	s_lshl_b64 s[18:19], s[2:3], 3
	s_wait_alu 0xfffe
	s_add_nc_u64 s[20:21], s[8:9], s[18:19]
	global_load_b64 v[34:35], v1, s[20:21]
	s_and_saveexec_b32 s3, s0
	s_cbranch_execz .LBB23_9
; %bb.4:                                ;   in Loop: Header=BB23_3 Depth=1
	s_add_nc_u64 s[18:19], s[4:5], s[18:19]
	v_mov_b32_e32 v38, v69
	global_load_b64 v[36:37], v1, s[18:19]
	s_mov_b32 s16, s25
	s_wait_loadcnt 0x0
	v_add_co_u32 v36, vcc_lo, v36, s6
	s_wait_alu 0xfffd
	v_add_co_ci_u32_e64 v37, null, s7, v37, vcc_lo
	s_delay_alu instid0(VALU_DEP_2) | instskip(SKIP_1) | instid1(VALU_DEP_2)
	v_add_co_u32 v36, vcc_lo, v36, v0
	s_wait_alu 0xfffd
	v_add_co_ci_u32_e64 v37, null, 0, v37, vcc_lo
.LBB23_5:                               ;   Parent Loop BB23_3 Depth=1
                                        ; =>  This Inner Loop Header: Depth=2
	flat_load_b32 v39, v[36:37]
	v_add_co_u32 v36, vcc_lo, v36, s12
	s_wait_alu 0xfffd
	v_add_co_ci_u32_e64 v37, null, s13, v37, vcc_lo
	s_add_co_i32 s16, s16, -1
	s_delay_alu instid0(SALU_CYCLE_1)
	s_cmp_eq_u32 s16, 0
	s_wait_loadcnt_dscnt 0x0
	ds_store_b32 v38, v39
	v_add_nc_u32_e32 v38, 0x50, v38
	s_cbranch_scc0 .LBB23_5
; %bb.6:                                ;   in Loop: Header=BB23_3 Depth=1
	v_mov_b32_e32 v36, 1.0
	s_and_b32 vcc_lo, exec_lo, s27
	s_wait_alu 0xfffe
	s_cbranch_vccz .LBB23_8
; %bb.7:                                ;   in Loop: Header=BB23_3 Depth=1
	ds_load_b32 v36, v70
	s_wait_dscnt 0x0
	v_div_scale_f32 v37, null, v36, v36, 1.0
	s_delay_alu instid0(VALU_DEP_1) | instskip(NEXT) | instid1(TRANS32_DEP_1)
	v_rcp_f32_e32 v38, v37
	v_fma_f32 v39, -v37, v38, 1.0
	s_delay_alu instid0(VALU_DEP_1) | instskip(SKIP_1) | instid1(VALU_DEP_1)
	v_fmac_f32_e32 v38, v39, v38
	v_div_scale_f32 v39, vcc_lo, 1.0, v36, 1.0
	v_mul_f32_e32 v40, v39, v38
	s_delay_alu instid0(VALU_DEP_1) | instskip(NEXT) | instid1(VALU_DEP_1)
	v_fma_f32 v41, -v37, v40, v39
	v_fmac_f32_e32 v40, v41, v38
	s_delay_alu instid0(VALU_DEP_1) | instskip(SKIP_1) | instid1(VALU_DEP_1)
	v_fma_f32 v37, -v37, v40, v39
	s_wait_alu 0xfffd
	v_div_fmas_f32 v37, v37, v38, v40
	s_delay_alu instid0(VALU_DEP_1)
	v_div_fixup_f32 v36, v37, v36, 1.0
.LBB23_8:                               ;   in Loop: Header=BB23_3 Depth=1
	ds_store_b32 v70, v36
.LBB23_9:                               ;   in Loop: Header=BB23_3 Depth=1
	s_wait_alu 0xfffe
	s_or_b32 exec_lo, exec_lo, s3
	s_wait_loadcnt 0x0
	v_add_co_u32 v34, vcc_lo, v34, s10
	s_wait_alu 0xfffd
	v_add_co_ci_u32_e64 v35, null, s11, v35, vcc_lo
	s_delay_alu instid0(VALU_DEP_2) | instskip(SKIP_1) | instid1(VALU_DEP_2)
	v_add_co_u32 v71, vcc_lo, v34, s14
	s_wait_alu 0xfffd
	v_add_co_ci_u32_e64 v72, null, s15, v35, vcc_lo
	s_and_saveexec_b32 s3, s29
	s_cbranch_execz .LBB23_12
; %bb.10:                               ;   in Loop: Header=BB23_3 Depth=1
	v_add_co_u32 v34, vcc_lo, v71, v67
	s_wait_alu 0xfffd
	v_add_co_ci_u32_e64 v35, null, v72, v68, vcc_lo
	v_mov_b32_e32 v36, v66
	s_mov_b32 s16, s25
.LBB23_11:                              ;   Parent Loop BB23_3 Depth=1
                                        ; =>  This Inner Loop Header: Depth=2
	flat_load_b32 v37, v[34:35]
	v_add_co_u32 v34, vcc_lo, v34, 4
	s_wait_alu 0xfffd
	v_add_co_ci_u32_e64 v35, null, 0, v35, vcc_lo
	s_add_co_i32 s16, s16, -1
	s_delay_alu instid0(SALU_CYCLE_1)
	s_cmp_lg_u32 s16, 0
	s_wait_loadcnt_dscnt 0x0
	v_mul_f32_e32 v37, s1, v37
	ds_store_b32 v36, v37
	v_add_nc_u32_e32 v36, 0x50, v36
	s_cbranch_scc1 .LBB23_11
.LBB23_12:                              ;   in Loop: Header=BB23_3 Depth=1
	s_wait_alu 0xfffe
	s_or_b32 exec_lo, exec_lo, s3
	s_delay_alu instid0(SALU_CYCLE_1)
	s_and_not1_b32 vcc_lo, exec_lo, s28
	s_mov_b32 s3, -1
	s_wait_dscnt 0x0
	; wave barrier
	global_inv scope:SCOPE_SE
                                        ; implicit-def: $vgpr34_vgpr35_vgpr36_vgpr37_vgpr38_vgpr39_vgpr40_vgpr41_vgpr42_vgpr43_vgpr44_vgpr45_vgpr46_vgpr47_vgpr48_vgpr49_vgpr50_vgpr51_vgpr52_vgpr53_vgpr54_vgpr55_vgpr56_vgpr57_vgpr58_vgpr59_vgpr60_vgpr61_vgpr62_vgpr63_vgpr64_vgpr65
	s_wait_alu 0xfffe
	s_cbranch_vccnz .LBB23_32
; %bb.13:                               ;   in Loop: Header=BB23_3 Depth=1
	v_dual_mov_b32 v65, v33 :: v_dual_mov_b32 v64, v32
	v_dual_mov_b32 v63, v31 :: v_dual_mov_b32 v62, v30
	;; [unrolled: 1-line block ×16, first 2 shown]
	s_mov_b32 s16, 0
	s_mov_b32 s3, s26
.LBB23_14:                              ;   Parent Loop BB23_3 Depth=1
                                        ; =>  This Loop Header: Depth=2
                                        ;       Child Loop BB23_17 Depth 3
                                        ;         Child Loop BB23_18 Depth 4
                                        ;         Child Loop BB23_20 Depth 4
                                        ;           Child Loop BB23_21 Depth 5
                                        ;         Child Loop BB23_26 Depth 4
                                        ;           Child Loop BB23_28 Depth 5
	s_getpc_b64 s[18:19]
	s_wait_alu 0xfffe
	s_sext_i32_i16 s19, s19
	s_add_co_u32 s18, s18, __const._ZL38rocblas_trsm_small_left_device_sharedBILi20ELi20ELb1EffPKPKfPKPfEv13rocblas_fill_18rocblas_operation_17rocblas_diagonal_iiT3_T4_lilT5_lili.step_sizes@rel32@lo+12
	s_wait_alu 0xfffe
	s_add_co_ci_u32 s19, s19, __const._ZL38rocblas_trsm_small_left_device_sharedBILi20ELi20ELb1EffPKPKfPKPfEv13rocblas_fill_18rocblas_operation_17rocblas_diagonal_iiT3_T4_lilT5_lili.step_sizes@rel32@hi+24
	s_lshl_b64 s[20:21], s[16:17], 2
	s_wait_alu 0xfffe
	s_add_nc_u64 s[18:19], s[18:19], s[20:21]
	s_load_b32 s31, s[18:19], 0x0
	s_wait_kmcnt 0x0
	s_add_co_i32 s33, s31, -1
	s_wait_alu 0xfffe
	s_cmp_lt_i32 s3, s33
	s_cbranch_scc1 .LBB23_29
; %bb.15:                               ;   in Loop: Header=BB23_14 Depth=2
	s_mul_i32 s18, s3, 0x50
	s_max_i32 s34, s31, 1
	s_wait_alu 0xfffe
	v_add_nc_u32_e32 v73, s18, v66
	s_mul_i32 s35, s31, 0xffffffb0
	s_add_co_i32 s36, s30, s18
	s_mul_i32 s37, s3, 0x54
	s_mul_i32 s38, s31, 0xffffffac
	s_branch .LBB23_17
.LBB23_16:                              ;   in Loop: Header=BB23_17 Depth=3
	v_add_nc_u32_e32 v73, s35, v73
	s_sub_co_i32 s3, s3, s31
	s_add_co_i32 s36, s36, s35
	s_add_co_i32 s37, s37, s38
	s_wait_alu 0xfffe
	s_cmp_lt_i32 s3, s33
	s_cbranch_scc1 .LBB23_29
.LBB23_17:                              ;   Parent Loop BB23_3 Depth=1
                                        ;     Parent Loop BB23_14 Depth=2
                                        ; =>    This Loop Header: Depth=3
                                        ;         Child Loop BB23_18 Depth 4
                                        ;         Child Loop BB23_20 Depth 4
                                        ;           Child Loop BB23_21 Depth 5
                                        ;         Child Loop BB23_26 Depth 4
                                        ;           Child Loop BB23_28 Depth 5
	v_mov_b32_e32 v74, v73
	s_mov_b64 s[18:19], 0
.LBB23_18:                              ;   Parent Loop BB23_3 Depth=1
                                        ;     Parent Loop BB23_14 Depth=2
                                        ;       Parent Loop BB23_17 Depth=3
                                        ; =>      This Inner Loop Header: Depth=4
	ds_load_b32 v75, v74
	v_add_nc_u32_e32 v74, 0xffffffb0, v74
	s_wait_alu 0xfffe
	s_mov_b32 m0, s18
	s_add_nc_u64 s[18:19], s[18:19], 1
	s_wait_alu 0xfffe
	s_cmp_eq_u32 s34, s18
	s_wait_dscnt 0x0
	v_movreld_b32_e32 v34, v75
	s_cbranch_scc0 .LBB23_18
; %bb.19:                               ;   in Loop: Header=BB23_17 Depth=3
	s_cmp_le_i32 s26, s3
	s_mov_b32 s20, s36
	s_mov_b32 s21, s26
	s_cbranch_scc1 .LBB23_23
.LBB23_20:                              ;   Parent Loop BB23_3 Depth=1
                                        ;     Parent Loop BB23_14 Depth=2
                                        ;       Parent Loop BB23_17 Depth=3
                                        ; =>      This Loop Header: Depth=4
                                        ;           Child Loop BB23_21 Depth 5
	s_wait_alu 0xfffe
	v_mad_co_u64_u32 v[74:75], null, 0x50, s21, v[66:67]
	s_mov_b64 s[18:19], 0
	s_mov_b32 s22, s20
	ds_load_b32 v74, v74
.LBB23_21:                              ;   Parent Loop BB23_3 Depth=1
                                        ;     Parent Loop BB23_14 Depth=2
                                        ;       Parent Loop BB23_17 Depth=3
                                        ;         Parent Loop BB23_20 Depth=4
                                        ; =>        This Inner Loop Header: Depth=5
	s_wait_alu 0xfffe
	v_mov_b32_e32 v75, s22
	s_mov_b32 m0, s18
	s_add_nc_u64 s[18:19], s[18:19], 1
	v_movrels_b32_e32 v76, v34
	s_addk_co_i32 s22, 0xffb0
	ds_load_b32 v75, v75
	s_wait_alu 0xfffe
	s_cmp_eq_u32 s34, s18
	s_wait_dscnt 0x0
	v_fma_f32 v75, -v74, v75, v76
	s_delay_alu instid0(VALU_DEP_1)
	v_movreld_b32_e32 v34, v75
	s_cbranch_scc0 .LBB23_21
; %bb.22:                               ;   in Loop: Header=BB23_20 Depth=4
	s_add_co_i32 s21, s21, -1
	s_add_co_i32 s20, s20, -4
	s_wait_alu 0xfffe
	s_cmp_le_i32 s21, s3
	s_cbranch_scc0 .LBB23_20
.LBB23_23:                              ;   in Loop: Header=BB23_17 Depth=3
	s_mul_i32 s39, s3, 0x50
	s_mov_b64 s[18:19], 0
	s_mov_b32 s40, s37
	s_branch .LBB23_26
.LBB23_24:                              ;   in Loop: Header=BB23_26 Depth=4
	s_mov_b32 s42, s3
	s_mov_b64 s[20:21], 0
	s_mov_b32 s41, s39
.LBB23_25:                              ;   in Loop: Header=BB23_26 Depth=4
	s_wait_alu 0xfffe
	s_mov_b32 m0, s20
	s_mul_i32 s20, s42, 0x54
	v_movrels_b32_e32 v75, v34
	s_wait_alu 0xfffe
	v_mov_b32_e32 v74, s20
	s_add_nc_u64 s[18:19], s[18:19], 1
	s_addk_co_i32 s40, 0xffb0
	s_wait_alu 0xfffe
	s_cmp_eq_u32 s18, s34
	ds_load_b32 v74, v74
	s_wait_dscnt 0x0
	v_mul_f32_e32 v74, v75, v74
	v_add_nc_u32_e32 v75, s41, v66
	s_delay_alu instid0(VALU_DEP_2)
	v_movreld_b32_e32 v34, v74
	ds_store_b32 v75, v74
	s_cbranch_scc1 .LBB23_16
.LBB23_26:                              ;   Parent Loop BB23_3 Depth=1
                                        ;     Parent Loop BB23_14 Depth=2
                                        ;       Parent Loop BB23_17 Depth=3
                                        ; =>      This Loop Header: Depth=4
                                        ;           Child Loop BB23_28 Depth 5
	s_wait_alu 0xfffe
	s_cmp_eq_u32 s18, 0
	s_cbranch_scc1 .LBB23_24
; %bb.27:                               ;   in Loop: Header=BB23_26 Depth=4
	s_sub_co_i32 s42, s3, s18
	s_mov_b64 s[20:21], s[18:19]
	s_mov_b64 s[22:23], 0
	s_mul_i32 s41, s42, 0x50
	s_mov_b32 s21, s40
.LBB23_28:                              ;   Parent Loop BB23_3 Depth=1
                                        ;     Parent Loop BB23_14 Depth=2
                                        ;       Parent Loop BB23_17 Depth=3
                                        ;         Parent Loop BB23_26 Depth=4
                                        ; =>        This Inner Loop Header: Depth=5
	s_wait_alu 0xfffe
	v_mov_b32_e32 v74, s21
	s_mov_b32 m0, s22
	s_add_nc_u64 s[22:23], s[22:23], 1
	v_movrels_b32_e32 v75, v34
	s_mov_b32 m0, s18
	ds_load_b32 v74, v74
	v_movrels_b32_e32 v76, v34
	s_add_co_i32 s21, s21, -4
	s_wait_alu 0xfffe
	s_cmp_eq_u32 s18, s22
	s_wait_dscnt 0x0
	v_fma_f32 v74, -v75, v74, v76
	s_delay_alu instid0(VALU_DEP_1)
	v_movreld_b32_e32 v34, v74
	s_cbranch_scc0 .LBB23_28
	s_branch .LBB23_25
.LBB23_29:                              ;   in Loop: Header=BB23_14 Depth=2
	s_cmp_gt_i32 s3, -1
	s_cselect_b32 s19, -1, 0
	s_add_co_i32 s18, s16, 1
	s_cmp_lt_u32 s16, 2
	s_cselect_b32 s16, -1, 0
	s_wait_alu 0xfffe
	s_and_b32 s16, s19, s16
	s_delay_alu instid0(SALU_CYCLE_1)
	s_and_b32 vcc_lo, exec_lo, s16
	s_wait_alu 0xfffe
	s_cbranch_vccz .LBB23_31
; %bb.30:                               ;   in Loop: Header=BB23_14 Depth=2
	s_mov_b32 s16, s18
	s_branch .LBB23_14
.LBB23_31:                              ;   in Loop: Header=BB23_3 Depth=1
	s_mov_b32 s3, 0
.LBB23_32:                              ;   in Loop: Header=BB23_3 Depth=1
	s_wait_alu 0xfffe
	s_and_b32 vcc_lo, exec_lo, s3
	s_wait_alu 0xfffe
	s_cbranch_vccz .LBB23_53
; %bb.33:                               ;   in Loop: Header=BB23_3 Depth=1
	s_mov_b32 s3, 0
	s_wait_alu 0xfffe
	s_mov_b32 s16, s3
.LBB23_34:                              ;   Parent Loop BB23_3 Depth=1
                                        ; =>  This Loop Header: Depth=2
                                        ;       Child Loop BB23_37 Depth 3
                                        ;         Child Loop BB23_38 Depth 4
                                        ;         Child Loop BB23_41 Depth 4
                                        ;           Child Loop BB23_42 Depth 5
                                        ;         Child Loop BB23_47 Depth 4
                                        ;           Child Loop BB23_49 Depth 5
	s_getpc_b64 s[18:19]
	s_wait_alu 0xfffe
	s_sext_i32_i16 s19, s19
	s_add_co_u32 s18, s18, __const._ZL38rocblas_trsm_small_left_device_sharedBILi20ELi20ELb1EffPKPKfPKPfEv13rocblas_fill_18rocblas_operation_17rocblas_diagonal_iiT3_T4_lilT5_lili.step_sizes@rel32@lo+12
	s_wait_alu 0xfffe
	s_add_co_ci_u32 s19, s19, __const._ZL38rocblas_trsm_small_left_device_sharedBILi20ELi20ELb1EffPKPKfPKPfEv13rocblas_fill_18rocblas_operation_17rocblas_diagonal_iiT3_T4_lilT5_lili.step_sizes@rel32@hi+24
	s_lshl_b64 s[20:21], s[16:17], 2
	s_wait_alu 0xfffe
	s_add_nc_u64 s[18:19], s[18:19], s[20:21]
	s_load_b32 s22, s[18:19], 0x0
	s_wait_kmcnt 0x0
	s_add_co_i32 s23, s22, -1
	s_wait_alu 0xfffe
	s_add_co_i32 s18, s23, s3
	s_wait_alu 0xfffe
	s_cmp_ge_i32 s18, s25
	s_cbranch_scc1 .LBB23_50
; %bb.35:                               ;   in Loop: Header=BB23_34 Depth=2
	v_mad_co_u64_u32 v[34:35], null, 0x50, s3, v[66:67]
	s_max_i32 s31, s22, 1
	s_mul_i32 s33, s22, 0x50
	s_lshl_b32 s34, s3, 2
	s_lshl_b32 s35, s22, 2
	s_mul_i32 s36, s3, 0x54
	s_mul_i32 s37, s22, 0x54
	s_branch .LBB23_37
.LBB23_36:                              ;   in Loop: Header=BB23_37 Depth=3
	s_add_co_i32 s3, s3, s22
	v_add_nc_u32_e32 v34, s33, v34
	s_wait_alu 0xfffe
	s_add_co_i32 s18, s23, s3
	s_add_co_i32 s34, s34, s35
	;; [unrolled: 1-line block ×3, first 2 shown]
	s_wait_alu 0xfffe
	s_cmp_ge_i32 s18, s25
	s_cbranch_scc1 .LBB23_50
.LBB23_37:                              ;   Parent Loop BB23_3 Depth=1
                                        ;     Parent Loop BB23_34 Depth=2
                                        ; =>    This Loop Header: Depth=3
                                        ;         Child Loop BB23_38 Depth 4
                                        ;         Child Loop BB23_41 Depth 4
                                        ;           Child Loop BB23_42 Depth 5
                                        ;         Child Loop BB23_47 Depth 4
                                        ;           Child Loop BB23_49 Depth 5
	v_mov_b32_e32 v35, v34
	s_mov_b64 s[18:19], 0
.LBB23_38:                              ;   Parent Loop BB23_3 Depth=1
                                        ;     Parent Loop BB23_34 Depth=2
                                        ;       Parent Loop BB23_37 Depth=3
                                        ; =>      This Inner Loop Header: Depth=4
	ds_load_b32 v36, v35
	v_add_nc_u32_e32 v35, 0x50, v35
	s_wait_alu 0xfffe
	s_mov_b32 m0, s18
	s_add_nc_u64 s[18:19], s[18:19], 1
	s_wait_alu 0xfffe
	s_cmp_eq_u32 s31, s18
	s_wait_dscnt 0x0
	v_movreld_b32_e32 v2, v36
	s_cbranch_scc0 .LBB23_38
; %bb.39:                               ;   in Loop: Header=BB23_37 Depth=3
	s_cmp_lt_i32 s3, 1
	s_cbranch_scc1 .LBB23_44
; %bb.40:                               ;   in Loop: Header=BB23_37 Depth=3
	s_mov_b32 s20, 0
	s_mov_b32 s21, s34
.LBB23_41:                              ;   Parent Loop BB23_3 Depth=1
                                        ;     Parent Loop BB23_34 Depth=2
                                        ;       Parent Loop BB23_37 Depth=3
                                        ; =>      This Loop Header: Depth=4
                                        ;           Child Loop BB23_42 Depth 5
	s_wait_alu 0xfffe
	v_mad_co_u64_u32 v[35:36], null, 0x50, s20, v[66:67]
	s_mov_b64 s[18:19], 0
	s_mov_b32 s38, s21
	ds_load_b32 v35, v35
.LBB23_42:                              ;   Parent Loop BB23_3 Depth=1
                                        ;     Parent Loop BB23_34 Depth=2
                                        ;       Parent Loop BB23_37 Depth=3
                                        ;         Parent Loop BB23_41 Depth=4
                                        ; =>        This Inner Loop Header: Depth=5
	s_wait_alu 0xfffe
	v_mov_b32_e32 v36, s38
	s_mov_b32 m0, s18
	s_add_nc_u64 s[18:19], s[18:19], 1
	v_movrels_b32_e32 v37, v2
	s_add_co_i32 s38, s38, 4
	ds_load_b32 v36, v36
	s_wait_alu 0xfffe
	s_cmp_eq_u32 s31, s18
	s_wait_dscnt 0x0
	v_fma_f32 v36, -v35, v36, v37
	s_delay_alu instid0(VALU_DEP_1)
	v_movreld_b32_e32 v2, v36
	s_cbranch_scc0 .LBB23_42
; %bb.43:                               ;   in Loop: Header=BB23_41 Depth=4
	s_add_co_i32 s20, s20, 1
	s_addk_co_i32 s21, 0x50
	s_wait_alu 0xfffe
	s_cmp_eq_u32 s20, s3
	s_cbranch_scc0 .LBB23_41
.LBB23_44:                              ;   in Loop: Header=BB23_37 Depth=3
	s_mov_b64 s[18:19], 0
	s_mov_b32 s38, s36
	s_branch .LBB23_47
.LBB23_45:                              ;   in Loop: Header=BB23_47 Depth=4
	s_mov_b64 s[20:21], s[18:19]
.LBB23_46:                              ;   in Loop: Header=BB23_47 Depth=4
	s_wait_alu 0xfffe
	s_mov_b32 m0, s20
	s_add_co_i32 s20, s18, s3
	v_movrels_b32_e32 v36, v2
	s_wait_alu 0xfffe
	s_mul_i32 s21, s20, 0x54
	s_add_nc_u64 s[18:19], s[18:19], 1
	s_wait_alu 0xfffe
	v_mov_b32_e32 v35, s21
	s_add_co_i32 s38, s38, 4
	s_cmp_eq_u32 s18, s31
	ds_load_b32 v35, v35
	s_wait_dscnt 0x0
	v_mul_f32_e32 v37, v36, v35
	v_mad_co_u64_u32 v[35:36], null, 0x50, s20, v[66:67]
	s_delay_alu instid0(VALU_DEP_2)
	v_movreld_b32_e32 v2, v37
	ds_store_b32 v35, v37
	s_cbranch_scc1 .LBB23_36
.LBB23_47:                              ;   Parent Loop BB23_3 Depth=1
                                        ;     Parent Loop BB23_34 Depth=2
                                        ;       Parent Loop BB23_37 Depth=3
                                        ; =>      This Loop Header: Depth=4
                                        ;           Child Loop BB23_49 Depth 5
	s_mov_b64 s[20:21], 0
	s_wait_alu 0xfffe
	s_cmp_eq_u32 s18, 0
	s_cbranch_scc1 .LBB23_46
; %bb.48:                               ;   in Loop: Header=BB23_47 Depth=4
	s_mov_b32 s39, s38
.LBB23_49:                              ;   Parent Loop BB23_3 Depth=1
                                        ;     Parent Loop BB23_34 Depth=2
                                        ;       Parent Loop BB23_37 Depth=3
                                        ;         Parent Loop BB23_47 Depth=4
                                        ; =>        This Inner Loop Header: Depth=5
	s_wait_alu 0xfffe
	v_mov_b32_e32 v35, s39
	s_mov_b32 m0, s20
	s_add_nc_u64 s[20:21], s[20:21], 1
	v_movrels_b32_e32 v36, v2
	s_mov_b32 m0, s18
	ds_load_b32 v35, v35
	v_movrels_b32_e32 v37, v2
	s_addk_co_i32 s39, 0x50
	s_wait_alu 0xfffe
	s_cmp_eq_u32 s18, s20
	s_wait_dscnt 0x0
	v_fma_f32 v35, -v36, v35, v37
	s_delay_alu instid0(VALU_DEP_1)
	v_movreld_b32_e32 v2, v35
	s_cbranch_scc0 .LBB23_49
	s_branch .LBB23_45
.LBB23_50:                              ;   in Loop: Header=BB23_34 Depth=2
	s_cmp_lt_i32 s3, s25
	s_cselect_b32 s19, -1, 0
	s_add_co_i32 s18, s16, 1
	s_cmp_lt_u32 s16, 2
	s_cselect_b32 s16, -1, 0
	s_wait_alu 0xfffe
	s_and_b32 s16, s19, s16
	s_delay_alu instid0(SALU_CYCLE_1)
	s_and_not1_b32 vcc_lo, exec_lo, s16
	s_wait_alu 0xfffe
	s_cbranch_vccnz .LBB23_52
; %bb.51:                               ;   in Loop: Header=BB23_34 Depth=2
	s_mov_b32 s16, s18
	s_branch .LBB23_34
.LBB23_52:                              ;   in Loop: Header=BB23_3 Depth=1
	v_dual_mov_b32 v65, v33 :: v_dual_mov_b32 v64, v32
	v_dual_mov_b32 v63, v31 :: v_dual_mov_b32 v62, v30
	;; [unrolled: 1-line block ×16, first 2 shown]
.LBB23_53:                              ;   in Loop: Header=BB23_3 Depth=1
	; wave barrier
	s_wait_loadcnt_dscnt 0x0
	global_inv scope:SCOPE_SE
	s_and_saveexec_b32 s3, s29
	s_cbranch_execz .LBB23_2
; %bb.54:                               ;   in Loop: Header=BB23_3 Depth=1
	v_add_co_u32 v2, vcc_lo, v71, v67
	s_wait_alu 0xfffd
	v_add_co_ci_u32_e64 v3, null, v72, v68, vcc_lo
	v_mov_b32_e32 v4, v66
	s_mov_b32 s16, s25
.LBB23_55:                              ;   Parent Loop BB23_3 Depth=1
                                        ; =>  This Inner Loop Header: Depth=2
	ds_load_b32 v5, v4
	v_add_nc_u32_e32 v4, 0x50, v4
	s_add_co_i32 s16, s16, -1
	s_delay_alu instid0(SALU_CYCLE_1)
	s_cmp_lg_u32 s16, 0
	s_wait_dscnt 0x0
	flat_store_b32 v[2:3], v5
	v_add_co_u32 v2, vcc_lo, v2, 4
	s_wait_alu 0xfffd
	v_add_co_ci_u32_e64 v3, null, 0, v3, vcc_lo
	s_cbranch_scc1 .LBB23_55
	s_branch .LBB23_2
.LBB23_56:
	s_endpgm
	.section	.rodata,"a",@progbits
	.p2align	6, 0x0
	.amdhsa_kernel _ZL38rocblas_trsm_small_left_device_sharedBILi20ELi20ELb1EffPKPKfPKPfEv13rocblas_fill_18rocblas_operation_17rocblas_diagonal_iiT3_T4_lilT5_lili
		.amdhsa_group_segment_fixed_size 3200
		.amdhsa_private_segment_fixed_size 0
		.amdhsa_kernarg_size 352
		.amdhsa_user_sgpr_count 2
		.amdhsa_user_sgpr_dispatch_ptr 0
		.amdhsa_user_sgpr_queue_ptr 0
		.amdhsa_user_sgpr_kernarg_segment_ptr 1
		.amdhsa_user_sgpr_dispatch_id 0
		.amdhsa_user_sgpr_private_segment_size 0
		.amdhsa_wavefront_size32 1
		.amdhsa_uses_dynamic_stack 0
		.amdhsa_enable_private_segment 0
		.amdhsa_system_sgpr_workgroup_id_x 1
		.amdhsa_system_sgpr_workgroup_id_y 0
		.amdhsa_system_sgpr_workgroup_id_z 1
		.amdhsa_system_sgpr_workgroup_info 0
		.amdhsa_system_vgpr_workitem_id 0
		.amdhsa_next_free_vgpr 121
		.amdhsa_next_free_sgpr 43
		.amdhsa_reserve_vcc 1
		.amdhsa_float_round_mode_32 0
		.amdhsa_float_round_mode_16_64 0
		.amdhsa_float_denorm_mode_32 3
		.amdhsa_float_denorm_mode_16_64 3
		.amdhsa_fp16_overflow 0
		.amdhsa_workgroup_processor_mode 1
		.amdhsa_memory_ordered 1
		.amdhsa_forward_progress 1
		.amdhsa_inst_pref_size 22
		.amdhsa_round_robin_scheduling 0
		.amdhsa_exception_fp_ieee_invalid_op 0
		.amdhsa_exception_fp_denorm_src 0
		.amdhsa_exception_fp_ieee_div_zero 0
		.amdhsa_exception_fp_ieee_overflow 0
		.amdhsa_exception_fp_ieee_underflow 0
		.amdhsa_exception_fp_ieee_inexact 0
		.amdhsa_exception_int_div_zero 0
	.end_amdhsa_kernel
	.section	.text._ZL38rocblas_trsm_small_left_device_sharedBILi20ELi20ELb1EffPKPKfPKPfEv13rocblas_fill_18rocblas_operation_17rocblas_diagonal_iiT3_T4_lilT5_lili,"axG",@progbits,_ZL38rocblas_trsm_small_left_device_sharedBILi20ELi20ELb1EffPKPKfPKPfEv13rocblas_fill_18rocblas_operation_17rocblas_diagonal_iiT3_T4_lilT5_lili,comdat
.Lfunc_end23:
	.size	_ZL38rocblas_trsm_small_left_device_sharedBILi20ELi20ELb1EffPKPKfPKPfEv13rocblas_fill_18rocblas_operation_17rocblas_diagonal_iiT3_T4_lilT5_lili, .Lfunc_end23-_ZL38rocblas_trsm_small_left_device_sharedBILi20ELi20ELb1EffPKPKfPKPfEv13rocblas_fill_18rocblas_operation_17rocblas_diagonal_iiT3_T4_lilT5_lili
                                        ; -- End function
	.set _ZL38rocblas_trsm_small_left_device_sharedBILi20ELi20ELb1EffPKPKfPKPfEv13rocblas_fill_18rocblas_operation_17rocblas_diagonal_iiT3_T4_lilT5_lili.num_vgpr, 77
	.set _ZL38rocblas_trsm_small_left_device_sharedBILi20ELi20ELb1EffPKPKfPKPfEv13rocblas_fill_18rocblas_operation_17rocblas_diagonal_iiT3_T4_lilT5_lili.num_agpr, 0
	.set _ZL38rocblas_trsm_small_left_device_sharedBILi20ELi20ELb1EffPKPKfPKPfEv13rocblas_fill_18rocblas_operation_17rocblas_diagonal_iiT3_T4_lilT5_lili.numbered_sgpr, 43
	.set _ZL38rocblas_trsm_small_left_device_sharedBILi20ELi20ELb1EffPKPKfPKPfEv13rocblas_fill_18rocblas_operation_17rocblas_diagonal_iiT3_T4_lilT5_lili.num_named_barrier, 0
	.set _ZL38rocblas_trsm_small_left_device_sharedBILi20ELi20ELb1EffPKPKfPKPfEv13rocblas_fill_18rocblas_operation_17rocblas_diagonal_iiT3_T4_lilT5_lili.private_seg_size, 0
	.set _ZL38rocblas_trsm_small_left_device_sharedBILi20ELi20ELb1EffPKPKfPKPfEv13rocblas_fill_18rocblas_operation_17rocblas_diagonal_iiT3_T4_lilT5_lili.uses_vcc, 1
	.set _ZL38rocblas_trsm_small_left_device_sharedBILi20ELi20ELb1EffPKPKfPKPfEv13rocblas_fill_18rocblas_operation_17rocblas_diagonal_iiT3_T4_lilT5_lili.uses_flat_scratch, 0
	.set _ZL38rocblas_trsm_small_left_device_sharedBILi20ELi20ELb1EffPKPKfPKPfEv13rocblas_fill_18rocblas_operation_17rocblas_diagonal_iiT3_T4_lilT5_lili.has_dyn_sized_stack, 0
	.set _ZL38rocblas_trsm_small_left_device_sharedBILi20ELi20ELb1EffPKPKfPKPfEv13rocblas_fill_18rocblas_operation_17rocblas_diagonal_iiT3_T4_lilT5_lili.has_recursion, 0
	.set _ZL38rocblas_trsm_small_left_device_sharedBILi20ELi20ELb1EffPKPKfPKPfEv13rocblas_fill_18rocblas_operation_17rocblas_diagonal_iiT3_T4_lilT5_lili.has_indirect_call, 0
	.section	.AMDGPU.csdata,"",@progbits
; Kernel info:
; codeLenInByte = 2812
; TotalNumSgprs: 45
; NumVgprs: 77
; ScratchSize: 0
; MemoryBound: 0
; FloatMode: 240
; IeeeMode: 1
; LDSByteSize: 3200 bytes/workgroup (compile time only)
; SGPRBlocks: 0
; VGPRBlocks: 15
; NumSGPRsForWavesPerEU: 45
; NumVGPRsForWavesPerEU: 121
; Occupancy: 10
; WaveLimiterHint : 0
; COMPUTE_PGM_RSRC2:SCRATCH_EN: 0
; COMPUTE_PGM_RSRC2:USER_SGPR: 2
; COMPUTE_PGM_RSRC2:TRAP_HANDLER: 0
; COMPUTE_PGM_RSRC2:TGID_X_EN: 1
; COMPUTE_PGM_RSRC2:TGID_Y_EN: 0
; COMPUTE_PGM_RSRC2:TGID_Z_EN: 1
; COMPUTE_PGM_RSRC2:TIDIG_COMP_CNT: 0
	.section	.text._ZL30rocblas_trsm_small_left_deviceILi20ELi20ELb1EffPKPKfPKPfEv13rocblas_fill_18rocblas_operation_17rocblas_diagonal_iiT3_T4_lilT5_lili,"axG",@progbits,_ZL30rocblas_trsm_small_left_deviceILi20ELi20ELb1EffPKPKfPKPfEv13rocblas_fill_18rocblas_operation_17rocblas_diagonal_iiT3_T4_lilT5_lili,comdat
	.globl	_ZL30rocblas_trsm_small_left_deviceILi20ELi20ELb1EffPKPKfPKPfEv13rocblas_fill_18rocblas_operation_17rocblas_diagonal_iiT3_T4_lilT5_lili ; -- Begin function _ZL30rocblas_trsm_small_left_deviceILi20ELi20ELb1EffPKPKfPKPfEv13rocblas_fill_18rocblas_operation_17rocblas_diagonal_iiT3_T4_lilT5_lili
	.p2align	8
	.type	_ZL30rocblas_trsm_small_left_deviceILi20ELi20ELb1EffPKPKfPKPfEv13rocblas_fill_18rocblas_operation_17rocblas_diagonal_iiT3_T4_lilT5_lili,@function
_ZL30rocblas_trsm_small_left_deviceILi20ELi20ELb1EffPKPKfPKPfEv13rocblas_fill_18rocblas_operation_17rocblas_diagonal_iiT3_T4_lilT5_lili: ; @_ZL30rocblas_trsm_small_left_deviceILi20ELi20ELb1EffPKPKfPKPfEv13rocblas_fill_18rocblas_operation_17rocblas_diagonal_iiT3_T4_lilT5_lili
; %bb.0:
	s_load_b32 s28, s[0:1], 0x58
	s_lshr_b32 s2, ttmp7, 16
	s_wait_kmcnt 0x0
	s_cmp_ge_u32 s2, s28
	s_cbranch_scc1 .LBB24_53
; %bb.1:
	s_clause 0x6
	s_load_b32 s16, s[0:1], 0x28
	s_load_b128 s[12:15], s[0:1], 0x4
	s_load_b32 s3, s[0:1], 0x60
	s_load_b32 s18, s[0:1], 0x48
	s_load_b128 s[4:7], s[0:1], 0x18
	s_load_b128 s[8:11], s[0:1], 0x38
	s_load_b32 s29, s[0:1], 0x14
	v_mad_co_u64_u32 v[2:3], null, ttmp9, 20, v[0:1]
	s_mul_i32 s0, ttmp9, 0xffffffec
	v_dual_mov_b32 v1, 0 :: v_dual_lshlrev_b32 v72, 2, v0
	v_mul_u32_u24_e32 v34, 0x50, v0
	s_mov_b32 s36, 0
	s_delay_alu instid0(VALU_DEP_2)
	v_dual_mov_b32 v4, v1 :: v_dual_mov_b32 v5, v1
	v_dual_mov_b32 v6, v1 :: v_dual_mov_b32 v7, v1
	s_wait_kmcnt 0x0
	s_ashr_i32 s17, s16, 31
	s_min_i32 s30, s14, 20
	s_add_co_i32 s3, s3, -1
	v_mad_co_i64_i32 v[2:3], null, s18, v2, 0
	s_wait_alu 0xfffe
	s_add_co_i32 s0, s15, s0
	s_add_co_i32 s31, s30, -1
	s_wait_alu 0xfffe
	s_cmp_ge_u32 ttmp9, s3
	v_dual_mov_b32 v8, v1 :: v_dual_mov_b32 v9, v1
	s_cselect_b32 s1, s0, 20
	s_cmp_lg_u32 s13, 0x84
	v_lshlrev_b64_e32 v[66:67], 2, v[2:3]
	s_cselect_b32 s33, -1, 0
	s_cmp_lg_u32 s12, 0x6f
	v_dual_mov_b32 v2, v1 :: v_dual_mov_b32 v3, v1
	s_cselect_b32 s34, -1, 0
	s_lshl_b64 s[10:11], s[10:11], 2
	v_dual_mov_b32 v10, v1 :: v_dual_mov_b32 v11, v1
	v_dual_mov_b32 v12, v1 :: v_dual_mov_b32 v13, v1
	;; [unrolled: 1-line block ×5, first 2 shown]
	v_dual_mov_b32 v20, v1 :: v_dual_add_nc_u32 v75, v72, v34
	v_add_co_u32 v73, vcc_lo, v66, s10
	v_cmp_gt_i32_e64 s0, s30, v0
	s_wait_alu 0xfffe
	v_cmp_gt_i32_e64 s1, s1, v0
	v_dual_mov_b32 v33, v32 :: v_dual_lshlrev_b32 v0, 2, v0
	v_add_co_ci_u32_e64 v74, null, s11, v67, vcc_lo
	v_mov_b32_e32 v32, v31
	v_mov_b32_e32 v31, v30
	v_mov_b32_e32 v30, v29
	v_mov_b32_e32 v29, v28
	v_mov_b32_e32 v28, v27
	v_mov_b32_e32 v27, v26
	v_mov_b32_e32 v26, v25
	v_mov_b32_e32 v25, v24
	v_mov_b32_e32 v24, v23
	v_mov_b32_e32 v23, v22
	v_mov_b32_e32 v22, v21
	v_mov_b32_e32 v21, v20
	v_mov_b32_e32 v20, v19
	v_mov_b32_e32 v19, v18
	v_mov_b32_e32 v18, v17
	v_mov_b32_e32 v17, v16
	v_mov_b32_e32 v16, v15
	v_mov_b32_e32 v15, v14
	v_mov_b32_e32 v14, v13
	v_mov_b32_e32 v13, v12
	v_mov_b32_e32 v12, v11
	v_mov_b32_e32 v11, v10
	v_mov_b32_e32 v10, v9
	v_mov_b32_e32 v9, v8
	v_mov_b32_e32 v8, v7
	v_mov_b32_e32 v7, v6
	v_mov_b32_e32 v6, v5
	v_mov_b32_e32 v5, v4
	v_mov_b32_e32 v4, v3
	v_mov_b32_e32 v3, v2
	v_mov_b32_e32 v2, v1
	s_lshl_b32 s35, s30, 2
	s_lshl_b64 s[12:13], s[16:17], 2
	s_mov_b32 s15, 0
	s_add_co_i32 s35, s35, -4
	s_lshl_b64 s[6:7], s[6:7], 2
	s_branch .LBB24_5
.LBB24_2:                               ;   in Loop: Header=BB24_5 Depth=1
	v_dual_mov_b32 v65, v33 :: v_dual_mov_b32 v64, v32
	v_dual_mov_b32 v63, v31 :: v_dual_mov_b32 v62, v30
	;; [unrolled: 1-line block ×16, first 2 shown]
.LBB24_3:                               ;   in Loop: Header=BB24_5 Depth=1
	s_add_co_i32 s2, s2, 0x10000
	s_delay_alu instid0(SALU_CYCLE_1) | instskip(SKIP_1) | instid1(SALU_CYCLE_1)
	s_cmp_ge_u32 s2, s28
	s_cselect_b32 s14, -1, 0
	s_or_not1_b32 s14, s14, exec_lo
.LBB24_4:                               ;   in Loop: Header=BB24_5 Depth=1
	s_or_b32 exec_lo, exec_lo, s3
	v_dual_mov_b32 v2, v34 :: v_dual_mov_b32 v3, v35
	v_dual_mov_b32 v4, v36 :: v_dual_mov_b32 v5, v37
	;; [unrolled: 1-line block ×16, first 2 shown]
	s_and_b32 s3, exec_lo, s14
	s_delay_alu instid0(SALU_CYCLE_1) | instskip(NEXT) | instid1(SALU_CYCLE_1)
	s_or_b32 s36, s3, s36
	s_and_not1_b32 exec_lo, exec_lo, s36
	s_cbranch_execz .LBB24_53
.LBB24_5:                               ; =>This Loop Header: Depth=1
                                        ;     Child Loop BB24_7 Depth 2
                                        ;     Child Loop BB24_14 Depth 2
                                        ;       Child Loop BB24_17 Depth 3
                                        ;         Child Loop BB24_18 Depth 4
                                        ;         Child Loop BB24_20 Depth 4
                                        ;           Child Loop BB24_21 Depth 5
                                        ;         Child Loop BB24_26 Depth 4
                                        ;           Child Loop BB24_28 Depth 5
                                        ;     Child Loop BB24_35 Depth 2
                                        ;       Child Loop BB24_38 Depth 3
                                        ;         Child Loop BB24_39 Depth 4
                                        ;         Child Loop BB24_42 Depth 4
                                        ;           Child Loop BB24_43 Depth 5
                                        ;         Child Loop BB24_48 Depth 4
                                        ;           Child Loop BB24_50 Depth 5
	s_mov_b32 s3, s15
	s_delay_alu instid0(SALU_CYCLE_1) | instskip(NEXT) | instid1(SALU_CYCLE_1)
	s_lshl_b64 s[16:17], s[2:3], 3
	s_add_nc_u64 s[18:19], s[8:9], s[16:17]
	global_load_b64 v[68:69], v1, s[18:19]
	s_and_saveexec_b32 s3, s0
	s_cbranch_execz .LBB24_11
; %bb.6:                                ;   in Loop: Header=BB24_5 Depth=1
	s_add_nc_u64 s[16:17], s[4:5], s[16:17]
	v_mov_b32_e32 v36, v72
	global_load_b64 v[34:35], v1, s[16:17]
	s_mov_b32 s14, s30
	s_wait_loadcnt 0x0
	v_add_co_u32 v34, vcc_lo, v34, s6
	s_wait_alu 0xfffd
	v_add_co_ci_u32_e64 v35, null, s7, v35, vcc_lo
	s_delay_alu instid0(VALU_DEP_2) | instskip(SKIP_1) | instid1(VALU_DEP_2)
	v_add_co_u32 v34, vcc_lo, v34, v0
	s_wait_alu 0xfffd
	v_add_co_ci_u32_e64 v35, null, 0, v35, vcc_lo
.LBB24_7:                               ;   Parent Loop BB24_5 Depth=1
                                        ; =>  This Inner Loop Header: Depth=2
	flat_load_b32 v37, v[34:35]
	v_add_co_u32 v34, vcc_lo, v34, s12
	s_wait_alu 0xfffd
	v_add_co_ci_u32_e64 v35, null, s13, v35, vcc_lo
	s_add_co_i32 s14, s14, -1
	s_delay_alu instid0(SALU_CYCLE_1)
	s_cmp_eq_u32 s14, 0
	s_wait_loadcnt_dscnt 0x0
	ds_store_b32 v36, v37
	v_add_nc_u32_e32 v36, 0x50, v36
	s_cbranch_scc0 .LBB24_7
; %bb.8:                                ;   in Loop: Header=BB24_5 Depth=1
	v_mov_b32_e32 v34, 1.0
	s_and_b32 vcc_lo, exec_lo, s33
	s_wait_alu 0xfffe
	s_cbranch_vccz .LBB24_10
; %bb.9:                                ;   in Loop: Header=BB24_5 Depth=1
	ds_load_b32 v34, v75
	s_wait_dscnt 0x0
	v_div_scale_f32 v35, null, v34, v34, 1.0
	s_delay_alu instid0(VALU_DEP_1) | instskip(NEXT) | instid1(TRANS32_DEP_1)
	v_rcp_f32_e32 v36, v35
	v_fma_f32 v37, -v35, v36, 1.0
	s_delay_alu instid0(VALU_DEP_1) | instskip(SKIP_1) | instid1(VALU_DEP_1)
	v_fmac_f32_e32 v36, v37, v36
	v_div_scale_f32 v37, vcc_lo, 1.0, v34, 1.0
	v_mul_f32_e32 v38, v37, v36
	s_delay_alu instid0(VALU_DEP_1) | instskip(NEXT) | instid1(VALU_DEP_1)
	v_fma_f32 v39, -v35, v38, v37
	v_fmac_f32_e32 v38, v39, v36
	s_delay_alu instid0(VALU_DEP_1) | instskip(SKIP_1) | instid1(VALU_DEP_1)
	v_fma_f32 v35, -v35, v38, v37
	s_wait_alu 0xfffd
	v_div_fmas_f32 v35, v35, v36, v38
	s_delay_alu instid0(VALU_DEP_1)
	v_div_fixup_f32 v34, v35, v34, 1.0
.LBB24_10:                              ;   in Loop: Header=BB24_5 Depth=1
	ds_store_b32 v75, v34
.LBB24_11:                              ;   in Loop: Header=BB24_5 Depth=1
	s_or_b32 exec_lo, exec_lo, s3
	s_mov_b32 s14, -1
	; wave barrier
	s_wait_loadcnt_dscnt 0x0
	global_inv scope:SCOPE_SE
                                        ; implicit-def: $vgpr34_vgpr35_vgpr36_vgpr37_vgpr38_vgpr39_vgpr40_vgpr41_vgpr42_vgpr43_vgpr44_vgpr45_vgpr46_vgpr47_vgpr48_vgpr49_vgpr50_vgpr51_vgpr52_vgpr53_vgpr54_vgpr55_vgpr56_vgpr57_vgpr58_vgpr59_vgpr60_vgpr61_vgpr62_vgpr63_vgpr64_vgpr65
	s_and_saveexec_b32 s3, s1
	s_cbranch_execz .LBB24_4
; %bb.12:                               ;   in Loop: Header=BB24_5 Depth=1
	v_add_co_u32 v34, vcc_lo, v68, s10
	s_wait_alu 0xfffd
	v_add_co_ci_u32_e64 v35, null, s11, v69, vcc_lo
	s_delay_alu instid0(VALU_DEP_2) | instskip(SKIP_1) | instid1(VALU_DEP_2)
	v_add_co_u32 v76, vcc_lo, v34, v66
	s_wait_alu 0xfffd
	v_add_co_ci_u32_e64 v77, null, v35, v67, vcc_lo
	s_and_not1_b32 vcc_lo, exec_lo, s34
                                        ; implicit-def: $vgpr34_vgpr35_vgpr36_vgpr37_vgpr38_vgpr39_vgpr40_vgpr41_vgpr42_vgpr43_vgpr44_vgpr45_vgpr46_vgpr47_vgpr48_vgpr49_vgpr50_vgpr51_vgpr52_vgpr53_vgpr54_vgpr55_vgpr56_vgpr57_vgpr58_vgpr59_vgpr60_vgpr61_vgpr62_vgpr63_vgpr64_vgpr65
	s_wait_alu 0xfffe
	s_cbranch_vccnz .LBB24_33
; %bb.13:                               ;   in Loop: Header=BB24_5 Depth=1
	v_add_co_u32 v78, vcc_lo, v68, v73
	v_dual_mov_b32 v65, v33 :: v_dual_mov_b32 v64, v32
	v_dual_mov_b32 v63, v31 :: v_dual_mov_b32 v62, v30
	;; [unrolled: 1-line block ×16, first 2 shown]
	s_wait_alu 0xfffd
	v_add_co_ci_u32_e64 v79, null, v69, v74, vcc_lo
	s_mov_b32 s14, 0
	s_mov_b32 s16, s31
.LBB24_14:                              ;   Parent Loop BB24_5 Depth=1
                                        ; =>  This Loop Header: Depth=2
                                        ;       Child Loop BB24_17 Depth 3
                                        ;         Child Loop BB24_18 Depth 4
                                        ;         Child Loop BB24_20 Depth 4
                                        ;           Child Loop BB24_21 Depth 5
                                        ;         Child Loop BB24_26 Depth 4
                                        ;           Child Loop BB24_28 Depth 5
	s_getpc_b64 s[18:19]
	s_wait_alu 0xfffe
	s_sext_i32_i16 s19, s19
	s_add_co_u32 s18, s18, __const._ZL30rocblas_trsm_small_left_deviceILi20ELi20ELb1EffPKPKfPKPfEv13rocblas_fill_18rocblas_operation_17rocblas_diagonal_iiT3_T4_lilT5_lili.step_sizes@rel32@lo+12
	s_wait_alu 0xfffe
	s_add_co_ci_u32 s19, s19, __const._ZL30rocblas_trsm_small_left_deviceILi20ELi20ELb1EffPKPKfPKPfEv13rocblas_fill_18rocblas_operation_17rocblas_diagonal_iiT3_T4_lilT5_lili.step_sizes@rel32@hi+24
	s_lshl_b64 s[20:21], s[14:15], 2
	s_wait_alu 0xfffe
	s_add_nc_u64 s[18:19], s[18:19], s[20:21]
	s_load_b32 s26, s[18:19], 0x0
	s_wait_kmcnt 0x0
	s_add_co_i32 s27, s26, -1
	s_wait_alu 0xfffe
	s_cmp_lt_i32 s16, s27
	s_cbranch_scc1 .LBB24_30
; %bb.15:                               ;   in Loop: Header=BB24_14 Depth=2
	s_mul_i32 s17, s16, 0x50
	s_max_i32 s37, s26, 1
	s_add_co_i32 s38, s35, s17
	s_mul_i32 s39, s26, 0xffffffb0
	s_mul_i32 s40, s16, 0x54
	;; [unrolled: 1-line block ×3, first 2 shown]
	s_branch .LBB24_17
.LBB24_16:                              ;   in Loop: Header=BB24_17 Depth=3
	s_sub_co_i32 s16, s16, s26
	s_add_co_i32 s38, s38, s39
	s_add_co_i32 s40, s40, s41
	s_cmp_lt_i32 s16, s27
	s_cbranch_scc1 .LBB24_30
.LBB24_17:                              ;   Parent Loop BB24_5 Depth=1
                                        ;     Parent Loop BB24_14 Depth=2
                                        ; =>    This Loop Header: Depth=3
                                        ;         Child Loop BB24_18 Depth 4
                                        ;         Child Loop BB24_20 Depth 4
                                        ;           Child Loop BB24_21 Depth 5
                                        ;         Child Loop BB24_26 Depth 4
                                        ;           Child Loop BB24_28 Depth 5
	s_ashr_i32 s17, s16, 31
	s_delay_alu instid0(SALU_CYCLE_1)
	s_lshl_b64 s[18:19], s[16:17], 2
	s_wait_alu 0xfffe
	v_add_co_u32 v70, vcc_lo, v78, s18
	s_wait_alu 0xfffd
	v_add_co_ci_u32_e64 v71, null, s19, v79, vcc_lo
	s_mov_b64 s[18:19], 0
.LBB24_18:                              ;   Parent Loop BB24_5 Depth=1
                                        ;     Parent Loop BB24_14 Depth=2
                                        ;       Parent Loop BB24_17 Depth=3
                                        ; =>      This Inner Loop Header: Depth=4
	flat_load_b32 v80, v[70:71]
	v_add_co_u32 v70, vcc_lo, v70, -4
	s_wait_alu 0xfffd
	v_add_co_ci_u32_e64 v71, null, -1, v71, vcc_lo
	s_wait_alu 0xfffe
	s_mov_b32 m0, s18
	s_add_nc_u64 s[18:19], s[18:19], 1
	s_wait_alu 0xfffe
	s_cmp_eq_u32 s37, s18
	s_wait_loadcnt_dscnt 0x0
	v_mul_f32_e32 v80, s29, v80
	s_delay_alu instid0(VALU_DEP_1)
	v_movreld_b32_e32 v34, v80
	s_cbranch_scc0 .LBB24_18
; %bb.19:                               ;   in Loop: Header=BB24_17 Depth=3
	s_cmp_le_i32 s31, s16
	s_mov_b32 s22, s38
	s_mov_b32 s18, s31
	s_cbranch_scc1 .LBB24_23
.LBB24_20:                              ;   Parent Loop BB24_5 Depth=1
                                        ;     Parent Loop BB24_14 Depth=2
                                        ;       Parent Loop BB24_17 Depth=3
                                        ; =>      This Loop Header: Depth=4
                                        ;           Child Loop BB24_21 Depth 5
	s_wait_alu 0xfffe
	s_ashr_i32 s19, s18, 31
	s_wait_alu 0xfffe
	s_lshl_b64 s[20:21], s[18:19], 2
	s_mov_b32 s19, s22
	s_wait_alu 0xfffe
	v_add_co_u32 v70, vcc_lo, v76, s20
	s_wait_alu 0xfffd
	v_add_co_ci_u32_e64 v71, null, s21, v77, vcc_lo
	s_mov_b64 s[20:21], 0
	flat_load_b32 v70, v[70:71]
.LBB24_21:                              ;   Parent Loop BB24_5 Depth=1
                                        ;     Parent Loop BB24_14 Depth=2
                                        ;       Parent Loop BB24_17 Depth=3
                                        ;         Parent Loop BB24_20 Depth=4
                                        ; =>        This Inner Loop Header: Depth=5
	s_wait_alu 0xfffe
	v_mov_b32_e32 v71, s19
	s_mov_b32 m0, s20
	s_add_nc_u64 s[20:21], s[20:21], 1
	v_movrels_b32_e32 v80, v34
	s_addk_co_i32 s19, 0xffb0
	ds_load_b32 v71, v71
	s_wait_alu 0xfffe
	s_cmp_eq_u32 s37, s20
	s_wait_loadcnt_dscnt 0x0
	v_fma_f32 v71, -v70, v71, v80
	s_delay_alu instid0(VALU_DEP_1)
	v_movreld_b32_e32 v34, v71
	s_cbranch_scc0 .LBB24_21
; %bb.22:                               ;   in Loop: Header=BB24_20 Depth=4
	s_add_co_i32 s18, s18, -1
	s_add_co_i32 s22, s22, -4
	s_wait_alu 0xfffe
	s_cmp_le_i32 s18, s16
	s_cbranch_scc0 .LBB24_20
.LBB24_23:                              ;   in Loop: Header=BB24_17 Depth=3
	s_mov_b64 s[18:19], 0
	s_mov_b32 s42, s40
	s_branch .LBB24_26
.LBB24_24:                              ;   in Loop: Header=BB24_26 Depth=4
	s_mov_b32 s22, s16
	s_mov_b64 s[20:21], 0
	s_mov_b64 s[24:25], s[16:17]
.LBB24_25:                              ;   in Loop: Header=BB24_26 Depth=4
	s_wait_alu 0xfffe
	s_mov_b32 m0, s20
	s_mul_i32 s20, s22, 0x54
	v_movrels_b32_e32 v71, v34
	s_wait_alu 0xfffe
	v_mov_b32_e32 v70, s20
	s_lshl_b64 s[20:21], s[24:25], 2
	s_add_nc_u64 s[18:19], s[18:19], 1
	s_addk_co_i32 s42, 0xffb0
	s_wait_alu 0xfffe
	s_cmp_eq_u32 s18, s37
	ds_load_b32 v70, v70
	s_wait_dscnt 0x0
	v_mul_f32_e32 v80, v71, v70
	v_add_co_u32 v70, vcc_lo, v76, s20
	s_wait_alu 0xfffd
	v_add_co_ci_u32_e64 v71, null, s21, v77, vcc_lo
	s_delay_alu instid0(VALU_DEP_3)
	v_movreld_b32_e32 v34, v80
	flat_store_b32 v[70:71], v80
	s_cbranch_scc1 .LBB24_16
.LBB24_26:                              ;   Parent Loop BB24_5 Depth=1
                                        ;     Parent Loop BB24_14 Depth=2
                                        ;       Parent Loop BB24_17 Depth=3
                                        ; =>      This Loop Header: Depth=4
                                        ;           Child Loop BB24_28 Depth 5
	s_wait_alu 0xfffe
	s_cmp_eq_u32 s18, 0
	s_cbranch_scc1 .LBB24_24
; %bb.27:                               ;   in Loop: Header=BB24_26 Depth=4
	s_mov_b64 s[20:21], s[18:19]
	s_mov_b64 s[22:23], 0
	s_mov_b32 s21, s42
.LBB24_28:                              ;   Parent Loop BB24_5 Depth=1
                                        ;     Parent Loop BB24_14 Depth=2
                                        ;       Parent Loop BB24_17 Depth=3
                                        ;         Parent Loop BB24_26 Depth=4
                                        ; =>        This Inner Loop Header: Depth=5
	s_wait_alu 0xfffe
	v_mov_b32_e32 v70, s21
	s_mov_b32 m0, s22
	s_add_nc_u64 s[22:23], s[22:23], 1
	v_movrels_b32_e32 v71, v34
	s_mov_b32 m0, s18
	ds_load_b32 v70, v70
	v_movrels_b32_e32 v80, v34
	s_add_co_i32 s21, s21, -4
	s_wait_alu 0xfffe
	s_cmp_eq_u32 s18, s22
	s_wait_dscnt 0x0
	v_fma_f32 v70, -v71, v70, v80
	s_delay_alu instid0(VALU_DEP_1)
	v_movreld_b32_e32 v34, v70
	s_cbranch_scc0 .LBB24_28
; %bb.29:                               ;   in Loop: Header=BB24_26 Depth=4
	s_sub_co_i32 s22, s16, s18
	s_wait_alu 0xfffe
	s_ashr_i32 s23, s22, 31
	s_wait_alu 0xfffe
	s_mov_b64 s[24:25], s[22:23]
	s_branch .LBB24_25
.LBB24_30:                              ;   in Loop: Header=BB24_14 Depth=2
	s_cmp_gt_i32 s16, -1
	s_cselect_b32 s18, -1, 0
	s_add_co_i32 s17, s14, 1
	s_cmp_lt_u32 s14, 2
	s_cselect_b32 s14, -1, 0
	s_wait_alu 0xfffe
	s_and_b32 s14, s18, s14
	s_delay_alu instid0(SALU_CYCLE_1)
	s_and_b32 vcc_lo, exec_lo, s14
	s_wait_alu 0xfffe
	s_cbranch_vccz .LBB24_32
; %bb.31:                               ;   in Loop: Header=BB24_14 Depth=2
	s_mov_b32 s14, s17
	s_branch .LBB24_14
.LBB24_32:                              ;   in Loop: Header=BB24_5 Depth=1
	s_mov_b32 s14, 0
.LBB24_33:                              ;   in Loop: Header=BB24_5 Depth=1
	s_delay_alu instid0(SALU_CYCLE_1)
	s_and_b32 vcc_lo, exec_lo, s14
	s_wait_alu 0xfffe
	s_cbranch_vccz .LBB24_3
; %bb.34:                               ;   in Loop: Header=BB24_5 Depth=1
	v_add_co_u32 v38, vcc_lo, v68, v73
	s_wait_alu 0xfffd
	v_add_co_ci_u32_e64 v39, null, v69, v74, vcc_lo
	s_mov_b32 s16, 0
	s_mov_b32 s18, 0
.LBB24_35:                              ;   Parent Loop BB24_5 Depth=1
                                        ; =>  This Loop Header: Depth=2
                                        ;       Child Loop BB24_38 Depth 3
                                        ;         Child Loop BB24_39 Depth 4
                                        ;         Child Loop BB24_42 Depth 4
                                        ;           Child Loop BB24_43 Depth 5
                                        ;         Child Loop BB24_48 Depth 4
                                        ;           Child Loop BB24_50 Depth 5
	s_mov_b32 s19, s15
	s_getpc_b64 s[20:21]
	s_wait_alu 0xfffe
	s_sext_i32_i16 s21, s21
	s_add_co_u32 s20, s20, __const._ZL30rocblas_trsm_small_left_deviceILi20ELi20ELb1EffPKPKfPKPfEv13rocblas_fill_18rocblas_operation_17rocblas_diagonal_iiT3_T4_lilT5_lili.step_sizes@rel32@lo+12
	s_wait_alu 0xfffe
	s_add_co_ci_u32 s21, s21, __const._ZL30rocblas_trsm_small_left_deviceILi20ELi20ELb1EffPKPKfPKPfEv13rocblas_fill_18rocblas_operation_17rocblas_diagonal_iiT3_T4_lilT5_lili.step_sizes@rel32@hi+24
	s_lshl_b64 s[22:23], s[18:19], 2
	s_wait_alu 0xfffe
	s_add_nc_u64 s[20:21], s[20:21], s[22:23]
	s_load_b32 s20, s[20:21], 0x0
	s_wait_kmcnt 0x0
	s_add_co_i32 s19, s20, -1
	s_wait_alu 0xfffe
	s_add_co_i32 s14, s19, s16
	s_delay_alu instid0(SALU_CYCLE_1)
	s_cmp_ge_i32 s14, s30
	s_cbranch_scc1 .LBB24_51
; %bb.36:                               ;   in Loop: Header=BB24_35 Depth=2
	s_ashr_i32 s17, s16, 31
	s_ashr_i32 s21, s20, 31
	s_lshl_b64 s[22:23], s[16:17], 2
	s_max_i32 s37, s20, 1
	s_wait_alu 0xfffe
	v_add_co_u32 v34, vcc_lo, v38, s22
	s_wait_alu 0xfffd
	v_add_co_ci_u32_e64 v35, null, s23, v39, vcc_lo
	s_lshl_b64 s[22:23], s[20:21], 2
	s_lshl_b32 s17, s16, 2
	s_lshl_b32 s21, s20, 2
	s_mul_i32 s38, s16, 0x54
	s_mul_i32 s39, s20, 0x54
	s_branch .LBB24_38
.LBB24_37:                              ;   in Loop: Header=BB24_38 Depth=3
	v_add_co_u32 v34, vcc_lo, v34, s22
	s_add_co_i32 s16, s16, s20
	s_wait_alu 0xfffd
	v_add_co_ci_u32_e64 v35, null, s23, v35, vcc_lo
	s_add_co_i32 s14, s19, s16
	s_add_co_i32 s17, s17, s21
	;; [unrolled: 1-line block ×3, first 2 shown]
	s_cmp_ge_i32 s14, s30
	s_cbranch_scc1 .LBB24_51
.LBB24_38:                              ;   Parent Loop BB24_5 Depth=1
                                        ;     Parent Loop BB24_35 Depth=2
                                        ; =>    This Loop Header: Depth=3
                                        ;         Child Loop BB24_39 Depth 4
                                        ;         Child Loop BB24_42 Depth 4
                                        ;           Child Loop BB24_43 Depth 5
                                        ;         Child Loop BB24_48 Depth 4
                                        ;           Child Loop BB24_50 Depth 5
	v_dual_mov_b32 v37, v35 :: v_dual_mov_b32 v36, v34
	s_mov_b64 s[24:25], 0
.LBB24_39:                              ;   Parent Loop BB24_5 Depth=1
                                        ;     Parent Loop BB24_35 Depth=2
                                        ;       Parent Loop BB24_38 Depth=3
                                        ; =>      This Inner Loop Header: Depth=4
	flat_load_b32 v40, v[36:37]
	v_add_co_u32 v36, vcc_lo, v36, 4
	s_wait_alu 0xfffd
	v_add_co_ci_u32_e64 v37, null, 0, v37, vcc_lo
	s_wait_alu 0xfffe
	s_mov_b32 m0, s24
	s_add_nc_u64 s[24:25], s[24:25], 1
	s_wait_alu 0xfffe
	s_cmp_eq_u32 s37, s24
	s_wait_loadcnt_dscnt 0x0
	v_mul_f32_e32 v40, s29, v40
	s_delay_alu instid0(VALU_DEP_1)
	v_movreld_b32_e32 v2, v40
	s_cbranch_scc0 .LBB24_39
; %bb.40:                               ;   in Loop: Header=BB24_38 Depth=3
	s_cmp_lt_i32 s16, 1
	s_cbranch_scc1 .LBB24_45
; %bb.41:                               ;   in Loop: Header=BB24_38 Depth=3
	s_mov_b32 s14, 0
	s_mov_b32 s26, s17
.LBB24_42:                              ;   Parent Loop BB24_5 Depth=1
                                        ;     Parent Loop BB24_35 Depth=2
                                        ;       Parent Loop BB24_38 Depth=3
                                        ; =>      This Loop Header: Depth=4
                                        ;           Child Loop BB24_43 Depth 5
	s_lshl_b64 s[24:25], s[14:15], 2
	s_wait_alu 0xfffe
	s_mov_b32 s27, s26
	v_add_co_u32 v36, vcc_lo, v76, s24
	s_wait_alu 0xfffd
	v_add_co_ci_u32_e64 v37, null, s25, v77, vcc_lo
	s_mov_b64 s[24:25], 0
	flat_load_b32 v36, v[36:37]
.LBB24_43:                              ;   Parent Loop BB24_5 Depth=1
                                        ;     Parent Loop BB24_35 Depth=2
                                        ;       Parent Loop BB24_38 Depth=3
                                        ;         Parent Loop BB24_42 Depth=4
                                        ; =>        This Inner Loop Header: Depth=5
	s_wait_alu 0xfffe
	v_mov_b32_e32 v37, s27
	s_mov_b32 m0, s24
	s_add_nc_u64 s[24:25], s[24:25], 1
	v_movrels_b32_e32 v40, v2
	s_add_co_i32 s27, s27, 4
	ds_load_b32 v37, v37
	s_wait_alu 0xfffe
	s_cmp_eq_u32 s37, s24
	s_wait_loadcnt_dscnt 0x0
	v_fma_f32 v37, -v36, v37, v40
	s_delay_alu instid0(VALU_DEP_1)
	v_movreld_b32_e32 v2, v37
	s_cbranch_scc0 .LBB24_43
; %bb.44:                               ;   in Loop: Header=BB24_42 Depth=4
	s_add_co_i32 s14, s14, 1
	s_addk_co_i32 s26, 0x50
	s_cmp_eq_u32 s14, s16
	s_cbranch_scc0 .LBB24_42
.LBB24_45:                              ;   in Loop: Header=BB24_38 Depth=3
	s_mov_b64 s[24:25], 0
	s_mov_b32 s14, s38
	s_branch .LBB24_48
.LBB24_46:                              ;   in Loop: Header=BB24_48 Depth=4
	s_mov_b64 s[26:27], s[24:25]
.LBB24_47:                              ;   in Loop: Header=BB24_48 Depth=4
	s_wait_alu 0xfffe
	s_mov_b32 m0, s26
	s_add_co_i32 s26, s24, s16
	v_movrels_b32_e32 v37, v2
	s_wait_alu 0xfffe
	s_mul_i32 s27, s26, 0x54
	s_add_nc_u64 s[24:25], s[24:25], 1
	s_wait_alu 0xfffe
	v_mov_b32_e32 v36, s27
	s_ashr_i32 s27, s26, 31
	s_add_co_i32 s14, s14, 4
	s_wait_alu 0xfffe
	s_lshl_b64 s[26:27], s[26:27], 2
	s_cmp_eq_u32 s24, s37
	ds_load_b32 v36, v36
	s_wait_dscnt 0x0
	v_mul_f32_e32 v40, v37, v36
	s_wait_alu 0xfffe
	v_add_co_u32 v36, vcc_lo, v76, s26
	s_wait_alu 0xfffd
	v_add_co_ci_u32_e64 v37, null, s27, v77, vcc_lo
	v_movreld_b32_e32 v2, v40
	flat_store_b32 v[36:37], v40
	s_cbranch_scc1 .LBB24_37
.LBB24_48:                              ;   Parent Loop BB24_5 Depth=1
                                        ;     Parent Loop BB24_35 Depth=2
                                        ;       Parent Loop BB24_38 Depth=3
                                        ; =>      This Loop Header: Depth=4
                                        ;           Child Loop BB24_50 Depth 5
	s_mov_b64 s[26:27], 0
	s_wait_alu 0xfffe
	s_cmp_eq_u32 s24, 0
	s_cbranch_scc1 .LBB24_47
; %bb.49:                               ;   in Loop: Header=BB24_48 Depth=4
	s_mov_b32 s40, s14
.LBB24_50:                              ;   Parent Loop BB24_5 Depth=1
                                        ;     Parent Loop BB24_35 Depth=2
                                        ;       Parent Loop BB24_38 Depth=3
                                        ;         Parent Loop BB24_48 Depth=4
                                        ; =>        This Inner Loop Header: Depth=5
	s_wait_alu 0xfffe
	v_mov_b32_e32 v36, s40
	s_mov_b32 m0, s26
	s_add_nc_u64 s[26:27], s[26:27], 1
	v_movrels_b32_e32 v37, v2
	s_mov_b32 m0, s24
	ds_load_b32 v36, v36
	v_movrels_b32_e32 v40, v2
	s_addk_co_i32 s40, 0x50
	s_wait_alu 0xfffe
	s_cmp_eq_u32 s24, s26
	s_wait_dscnt 0x0
	v_fma_f32 v36, -v37, v36, v40
	s_delay_alu instid0(VALU_DEP_1)
	v_movreld_b32_e32 v2, v36
	s_cbranch_scc0 .LBB24_50
	s_branch .LBB24_46
.LBB24_51:                              ;   in Loop: Header=BB24_35 Depth=2
	s_cmp_lt_i32 s16, s30
	s_cselect_b32 s17, -1, 0
	s_add_co_i32 s14, s18, 1
	s_cmp_lt_u32 s18, 2
	s_cselect_b32 s18, -1, 0
	s_wait_alu 0xfffe
	s_and_b32 s17, s17, s18
	s_delay_alu instid0(SALU_CYCLE_1)
	s_and_not1_b32 vcc_lo, exec_lo, s17
	s_wait_alu 0xfffe
	s_cbranch_vccnz .LBB24_2
; %bb.52:                               ;   in Loop: Header=BB24_35 Depth=2
	s_mov_b32 s18, s14
	s_branch .LBB24_35
.LBB24_53:
	s_endpgm
	.section	.rodata,"a",@progbits
	.p2align	6, 0x0
	.amdhsa_kernel _ZL30rocblas_trsm_small_left_deviceILi20ELi20ELb1EffPKPKfPKPfEv13rocblas_fill_18rocblas_operation_17rocblas_diagonal_iiT3_T4_lilT5_lili
		.amdhsa_group_segment_fixed_size 1600
		.amdhsa_private_segment_fixed_size 0
		.amdhsa_kernarg_size 352
		.amdhsa_user_sgpr_count 2
		.amdhsa_user_sgpr_dispatch_ptr 0
		.amdhsa_user_sgpr_queue_ptr 0
		.amdhsa_user_sgpr_kernarg_segment_ptr 1
		.amdhsa_user_sgpr_dispatch_id 0
		.amdhsa_user_sgpr_private_segment_size 0
		.amdhsa_wavefront_size32 1
		.amdhsa_uses_dynamic_stack 0
		.amdhsa_enable_private_segment 0
		.amdhsa_system_sgpr_workgroup_id_x 1
		.amdhsa_system_sgpr_workgroup_id_y 0
		.amdhsa_system_sgpr_workgroup_id_z 1
		.amdhsa_system_sgpr_workgroup_info 0
		.amdhsa_system_vgpr_workitem_id 0
		.amdhsa_next_free_vgpr 81
		.amdhsa_next_free_sgpr 43
		.amdhsa_reserve_vcc 1
		.amdhsa_float_round_mode_32 0
		.amdhsa_float_round_mode_16_64 0
		.amdhsa_float_denorm_mode_32 3
		.amdhsa_float_denorm_mode_16_64 3
		.amdhsa_fp16_overflow 0
		.amdhsa_workgroup_processor_mode 1
		.amdhsa_memory_ordered 1
		.amdhsa_forward_progress 1
		.amdhsa_inst_pref_size 22
		.amdhsa_round_robin_scheduling 0
		.amdhsa_exception_fp_ieee_invalid_op 0
		.amdhsa_exception_fp_denorm_src 0
		.amdhsa_exception_fp_ieee_div_zero 0
		.amdhsa_exception_fp_ieee_overflow 0
		.amdhsa_exception_fp_ieee_underflow 0
		.amdhsa_exception_fp_ieee_inexact 0
		.amdhsa_exception_int_div_zero 0
	.end_amdhsa_kernel
	.section	.text._ZL30rocblas_trsm_small_left_deviceILi20ELi20ELb1EffPKPKfPKPfEv13rocblas_fill_18rocblas_operation_17rocblas_diagonal_iiT3_T4_lilT5_lili,"axG",@progbits,_ZL30rocblas_trsm_small_left_deviceILi20ELi20ELb1EffPKPKfPKPfEv13rocblas_fill_18rocblas_operation_17rocblas_diagonal_iiT3_T4_lilT5_lili,comdat
.Lfunc_end24:
	.size	_ZL30rocblas_trsm_small_left_deviceILi20ELi20ELb1EffPKPKfPKPfEv13rocblas_fill_18rocblas_operation_17rocblas_diagonal_iiT3_T4_lilT5_lili, .Lfunc_end24-_ZL30rocblas_trsm_small_left_deviceILi20ELi20ELb1EffPKPKfPKPfEv13rocblas_fill_18rocblas_operation_17rocblas_diagonal_iiT3_T4_lilT5_lili
                                        ; -- End function
	.set _ZL30rocblas_trsm_small_left_deviceILi20ELi20ELb1EffPKPKfPKPfEv13rocblas_fill_18rocblas_operation_17rocblas_diagonal_iiT3_T4_lilT5_lili.num_vgpr, 81
	.set _ZL30rocblas_trsm_small_left_deviceILi20ELi20ELb1EffPKPKfPKPfEv13rocblas_fill_18rocblas_operation_17rocblas_diagonal_iiT3_T4_lilT5_lili.num_agpr, 0
	.set _ZL30rocblas_trsm_small_left_deviceILi20ELi20ELb1EffPKPKfPKPfEv13rocblas_fill_18rocblas_operation_17rocblas_diagonal_iiT3_T4_lilT5_lili.numbered_sgpr, 43
	.set _ZL30rocblas_trsm_small_left_deviceILi20ELi20ELb1EffPKPKfPKPfEv13rocblas_fill_18rocblas_operation_17rocblas_diagonal_iiT3_T4_lilT5_lili.num_named_barrier, 0
	.set _ZL30rocblas_trsm_small_left_deviceILi20ELi20ELb1EffPKPKfPKPfEv13rocblas_fill_18rocblas_operation_17rocblas_diagonal_iiT3_T4_lilT5_lili.private_seg_size, 0
	.set _ZL30rocblas_trsm_small_left_deviceILi20ELi20ELb1EffPKPKfPKPfEv13rocblas_fill_18rocblas_operation_17rocblas_diagonal_iiT3_T4_lilT5_lili.uses_vcc, 1
	.set _ZL30rocblas_trsm_small_left_deviceILi20ELi20ELb1EffPKPKfPKPfEv13rocblas_fill_18rocblas_operation_17rocblas_diagonal_iiT3_T4_lilT5_lili.uses_flat_scratch, 0
	.set _ZL30rocblas_trsm_small_left_deviceILi20ELi20ELb1EffPKPKfPKPfEv13rocblas_fill_18rocblas_operation_17rocblas_diagonal_iiT3_T4_lilT5_lili.has_dyn_sized_stack, 0
	.set _ZL30rocblas_trsm_small_left_deviceILi20ELi20ELb1EffPKPKfPKPfEv13rocblas_fill_18rocblas_operation_17rocblas_diagonal_iiT3_T4_lilT5_lili.has_recursion, 0
	.set _ZL30rocblas_trsm_small_left_deviceILi20ELi20ELb1EffPKPKfPKPfEv13rocblas_fill_18rocblas_operation_17rocblas_diagonal_iiT3_T4_lilT5_lili.has_indirect_call, 0
	.section	.AMDGPU.csdata,"",@progbits
; Kernel info:
; codeLenInByte = 2808
; TotalNumSgprs: 45
; NumVgprs: 81
; ScratchSize: 0
; MemoryBound: 0
; FloatMode: 240
; IeeeMode: 1
; LDSByteSize: 1600 bytes/workgroup (compile time only)
; SGPRBlocks: 0
; VGPRBlocks: 10
; NumSGPRsForWavesPerEU: 45
; NumVGPRsForWavesPerEU: 81
; Occupancy: 16
; WaveLimiterHint : 1
; COMPUTE_PGM_RSRC2:SCRATCH_EN: 0
; COMPUTE_PGM_RSRC2:USER_SGPR: 2
; COMPUTE_PGM_RSRC2:TRAP_HANDLER: 0
; COMPUTE_PGM_RSRC2:TGID_X_EN: 1
; COMPUTE_PGM_RSRC2:TGID_Y_EN: 0
; COMPUTE_PGM_RSRC2:TGID_Z_EN: 1
; COMPUTE_PGM_RSRC2:TIDIG_COMP_CNT: 0
	.section	.text._ZL31rocblas_trsm_small_right_deviceIffPKPKfPKPfLi20EEv13rocblas_fill_18rocblas_operation_17rocblas_diagonal_iiT0_T1_lilT2_lili,"axG",@progbits,_ZL31rocblas_trsm_small_right_deviceIffPKPKfPKPfLi20EEv13rocblas_fill_18rocblas_operation_17rocblas_diagonal_iiT0_T1_lilT2_lili,comdat
	.globl	_ZL31rocblas_trsm_small_right_deviceIffPKPKfPKPfLi20EEv13rocblas_fill_18rocblas_operation_17rocblas_diagonal_iiT0_T1_lilT2_lili ; -- Begin function _ZL31rocblas_trsm_small_right_deviceIffPKPKfPKPfLi20EEv13rocblas_fill_18rocblas_operation_17rocblas_diagonal_iiT0_T1_lilT2_lili
	.p2align	8
	.type	_ZL31rocblas_trsm_small_right_deviceIffPKPKfPKPfLi20EEv13rocblas_fill_18rocblas_operation_17rocblas_diagonal_iiT0_T1_lilT2_lili,@function
_ZL31rocblas_trsm_small_right_deviceIffPKPKfPKPfLi20EEv13rocblas_fill_18rocblas_operation_17rocblas_diagonal_iiT0_T1_lilT2_lili: ; @_ZL31rocblas_trsm_small_right_deviceIffPKPKfPKPfLi20EEv13rocblas_fill_18rocblas_operation_17rocblas_diagonal_iiT0_T1_lilT2_lili
; %bb.0:
	s_load_b32 s22, s[0:1], 0x58
	s_lshr_b32 s2, ttmp7, 16
	s_wait_kmcnt 0x0
	s_cmp_ge_u32 s2, s22
	s_cbranch_scc1 .LBB25_82
; %bb.1:
	s_clause 0x6
	s_load_b32 s20, s[0:1], 0x28
	s_load_b32 s30, s[0:1], 0x48
	s_load_b128 s[16:19], s[0:1], 0x0
	s_load_b64 s[12:13], s[0:1], 0x10
	s_load_b32 s3, s[0:1], 0x60
	s_load_b128 s[4:7], s[0:1], 0x18
	s_load_b128 s[8:11], s[0:1], 0x38
	s_mul_i32 s0, ttmp9, 0xffffffec
	v_dual_mov_b32 v7, 0 :: v_dual_lshlrev_b32 v6, 2, v0
	v_mul_u32_u24_e32 v2, 0x50, v0
	v_mov_b32_e32 v11, 1.0
	s_mov_b32 s14, ttmp9
	s_delay_alu instid0(VALU_DEP_3) | instskip(NEXT) | instid1(VALU_DEP_3)
	v_add_nc_u32_e32 v1, 0x640, v6
	v_add_nc_u32_e32 v10, v6, v2
	s_wait_kmcnt 0x0
	s_ashr_i32 s21, s20, 31
	s_ashr_i32 s31, s30, 31
	s_cmp_lg_u32 s16, 0x7a
	s_cselect_b32 s25, -1, 0
	s_min_i32 s1, s12, 20
	s_add_co_i32 s3, s3, -1
	s_add_co_i32 s0, s19, s0
	s_add_co_i32 s23, s1, -1
	s_cmp_ge_u32 ttmp9, s3
	s_mul_i32 s33, s1, 0x54
	s_cselect_b32 s19, s0, 20
	s_ashr_i32 s15, ttmp9, 31
	s_cmp_eq_u32 s18, 0x84
	v_cmp_gt_i32_e32 vcc_lo, s19, v0
	s_cselect_b32 s24, -1, 0
	s_cmp_gt_i32 s12, 0
	v_cmp_gt_i32_e64 s0, s1, v0
	s_cselect_b32 s18, -1, 0
	s_cmp_lg_u32 s17, 0x6f
	v_lshlrev_b32_e32 v0, 2, v0
	s_cselect_b32 s17, -1, 0
	s_cmp_lg_u32 s16, 0x79
	s_mov_b32 s3, 0
	s_cselect_b32 s16, -1, 0
	s_or_b32 s25, s25, s17
	s_or_b32 s26, s16, s17
	s_cmp_gt_i32 s12, 3
	v_cndmask_b32_e64 v8, 0, 1, s16
	s_cselect_b32 s27, -1, 0
	s_wait_alu 0xfffe
	s_and_b32 s28, vcc_lo, s18
	s_lshl_b64 s[18:19], s[30:31], 2
	s_mul_i32 s31, s1, 0x50
	s_lshl_b32 s35, s1, 2
	v_add3_u32 v9, s31, v6, 0x5f0
	s_mul_u64 s[14:15], s[14:15], 0x50
	s_lshl_b64 s[16:17], s[20:21], 2
	s_add_co_i32 s29, s33, 0xffffffa0
	s_add_co_i32 s30, s31, 0xffffffb0
	s_addk_co_i32 s31, 0xffac
	s_addk_co_i32 s33, 0xfebc
	s_add_co_i32 s34, s35, -4
	s_addk_co_i32 s35, 0xffac
	s_lshl_b64 s[6:7], s[6:7], 2
	s_lshl_b64 s[10:11], s[10:11], 2
	s_branch .LBB25_3
.LBB25_2:                               ;   in Loop: Header=BB25_3 Depth=1
	s_wait_alu 0xfffe
	s_or_b32 exec_lo, exec_lo, s20
	s_add_co_i32 s2, s2, 0x10000
	s_delay_alu instid0(SALU_CYCLE_1)
	s_cmp_lt_u32 s2, s22
	s_cbranch_scc0 .LBB25_82
.LBB25_3:                               ; =>This Loop Header: Depth=1
                                        ;     Child Loop BB25_5 Depth 2
                                        ;     Child Loop BB25_10 Depth 2
	;; [unrolled: 1-line block ×3, first 2 shown]
                                        ;       Child Loop BB25_17 Depth 3
                                        ;     Child Loop BB25_23 Depth 2
                                        ;       Child Loop BB25_24 Depth 3
                                        ;     Child Loop BB25_28 Depth 2
	;; [unrolled: 2-line block ×3, first 2 shown]
                                        ;     Child Loop BB25_42 Depth 2
                                        ;       Child Loop BB25_43 Depth 3
                                        ;       Child Loop BB25_45 Depth 3
                                        ;     Child Loop BB25_49 Depth 2
                                        ;       Child Loop BB25_50 Depth 3
                                        ;     Child Loop BB25_57 Depth 2
                                        ;     Child Loop BB25_62 Depth 2
                                        ;       Child Loop BB25_63 Depth 3
                                        ;       Child Loop BB25_65 Depth 3
                                        ;     Child Loop BB25_70 Depth 2
                                        ;       Child Loop BB25_71 Depth 3
                                        ;     Child Loop BB25_77 Depth 2
	;; [unrolled: 2-line block ×3, first 2 shown]
	s_lshl_b64 s[20:21], s[2:3], 3
	s_wait_alu 0xfffe
	s_add_nc_u64 s[36:37], s[8:9], s[20:21]
	global_load_b64 v[2:3], v7, s[36:37]
	s_and_saveexec_b32 s36, s0
	s_cbranch_execz .LBB25_8
; %bb.4:                                ;   in Loop: Header=BB25_3 Depth=1
	s_add_nc_u64 s[20:21], s[4:5], s[20:21]
	v_mov_b32_e32 v12, v6
	global_load_b64 v[4:5], v7, s[20:21]
	s_mov_b32 s20, s1
	s_wait_loadcnt 0x0
	v_add_co_u32 v4, vcc_lo, v4, s6
	s_wait_alu 0xfffd
	v_add_co_ci_u32_e64 v5, null, s7, v5, vcc_lo
	s_delay_alu instid0(VALU_DEP_2) | instskip(SKIP_1) | instid1(VALU_DEP_2)
	v_add_co_u32 v4, vcc_lo, v4, v0
	s_wait_alu 0xfffd
	v_add_co_ci_u32_e64 v5, null, 0, v5, vcc_lo
.LBB25_5:                               ;   Parent Loop BB25_3 Depth=1
                                        ; =>  This Inner Loop Header: Depth=2
	flat_load_b32 v13, v[4:5]
	s_wait_alu 0xfffe
	v_add_co_u32 v4, vcc_lo, v4, s16
	s_wait_alu 0xfffd
	v_add_co_ci_u32_e64 v5, null, s17, v5, vcc_lo
	s_add_co_i32 s20, s20, -1
	s_wait_alu 0xfffe
	s_cmp_eq_u32 s20, 0
	s_wait_loadcnt_dscnt 0x0
	ds_store_b32 v12, v13
	v_add_nc_u32_e32 v12, 0x50, v12
	s_cbranch_scc0 .LBB25_5
; %bb.6:                                ;   in Loop: Header=BB25_3 Depth=1
	s_and_b32 vcc_lo, exec_lo, s24
	s_wait_alu 0xfffe
	s_cbranch_vccz .LBB25_8
; %bb.7:                                ;   in Loop: Header=BB25_3 Depth=1
	ds_store_b32 v10, v11
.LBB25_8:                               ;   in Loop: Header=BB25_3 Depth=1
	s_wait_alu 0xfffe
	s_or_b32 exec_lo, exec_lo, s36
	s_wait_loadcnt 0x0
	v_add_co_u32 v2, vcc_lo, v2, s10
	s_wait_alu 0xfffd
	v_add_co_ci_u32_e64 v3, null, s11, v3, vcc_lo
	s_delay_alu instid0(VALU_DEP_2) | instskip(SKIP_1) | instid1(VALU_DEP_2)
	v_add_co_u32 v12, vcc_lo, v2, s14
	s_wait_alu 0xfffd
	v_add_co_ci_u32_e64 v13, null, s15, v3, vcc_lo
	s_and_saveexec_b32 s20, s28
	s_cbranch_execz .LBB25_11
; %bb.9:                                ;   in Loop: Header=BB25_3 Depth=1
	v_add_co_u32 v2, vcc_lo, v12, v0
	s_wait_alu 0xfffd
	v_add_co_ci_u32_e64 v3, null, 0, v13, vcc_lo
	v_mov_b32_e32 v4, v1
	s_mov_b32 s21, s12
.LBB25_10:                              ;   Parent Loop BB25_3 Depth=1
                                        ; =>  This Inner Loop Header: Depth=2
	flat_load_b32 v5, v[2:3]
	s_wait_alu 0xfffe
	v_add_co_u32 v2, vcc_lo, v2, s18
	s_wait_alu 0xfffd
	v_add_co_ci_u32_e64 v3, null, s19, v3, vcc_lo
	s_add_co_i32 s21, s21, -1
	s_wait_alu 0xfffe
	s_cmp_lg_u32 s21, 0
	s_wait_loadcnt_dscnt 0x0
	v_mul_f32_e32 v5, s13, v5
	ds_store_b32 v4, v5
	v_add_nc_u32_e32 v4, 0x50, v4
	s_cbranch_scc1 .LBB25_10
.LBB25_11:                              ;   in Loop: Header=BB25_3 Depth=1
	s_wait_alu 0xfffe
	s_or_b32 exec_lo, exec_lo, s20
	s_delay_alu instid0(SALU_CYCLE_1)
	s_and_b32 vcc_lo, exec_lo, s26
	s_mov_b32 s20, -1
	s_wait_dscnt 0x0
	; wave barrier
	global_inv scope:SCOPE_SE
	s_wait_alu 0xfffe
	s_cbranch_vccz .LBB25_67
; %bb.12:                               ;   in Loop: Header=BB25_3 Depth=1
	s_and_b32 vcc_lo, exec_lo, s25
	s_wait_alu 0xfffe
	s_cbranch_vccz .LBB25_47
; %bb.13:                               ;   in Loop: Header=BB25_3 Depth=1
	v_cmp_ne_u32_e32 vcc_lo, 1, v8
	s_cbranch_vccnz .LBB25_26
; %bb.14:                               ;   in Loop: Header=BB25_3 Depth=1
	s_and_not1_b32 vcc_lo, exec_lo, s27
	s_mov_b32 s36, 0
	s_wait_alu 0xfffe
	s_cbranch_vccnz .LBB25_20
; %bb.15:                               ;   in Loop: Header=BB25_3 Depth=1
	s_mov_b32 s20, 0
	s_mov_b32 s21, 0
.LBB25_16:                              ;   Parent Loop BB25_3 Depth=1
                                        ; =>  This Loop Header: Depth=2
                                        ;       Child Loop BB25_17 Depth 3
	s_wait_alu 0xfffe
	v_mad_co_u64_u32 v[2:3], null, 0x50, s21, v[1:2]
	s_or_b32 s36, s21, 3
	s_cmp_eq_u32 s21, 0
	s_wait_alu 0xfffe
	s_mulk_i32 s36, 0x50
	s_wait_alu 0xfffe
	v_dual_mov_b32 v16, v1 :: v_dual_add_nc_u32 v5, s36, v1
	s_mov_b32 s36, s20
	ds_load_2addr_b32 v[3:4], v2 offset1:20
	ds_load_b32 v15, v2 offset:160
	ds_load_b32 v14, v5
	s_mov_b32 s37, s21
	s_cbranch_scc1 .LBB25_18
.LBB25_17:                              ;   Parent Loop BB25_3 Depth=1
                                        ;     Parent Loop BB25_16 Depth=2
                                        ; =>    This Inner Loop Header: Depth=3
	s_wait_alu 0xfffe
	v_mov_b32_e32 v17, s36
	s_add_co_i32 s37, s37, -1
	s_addk_co_i32 s36, 0x50
	s_wait_alu 0xfffe
	s_cmp_eq_u32 s37, 0
	ds_load_b32 v21, v16
	ds_load_b128 v[17:20], v17
	v_add_nc_u32_e32 v16, 0x50, v16
	s_wait_dscnt 0x0
	v_fma_f32 v3, -v21, v17, v3
	v_fma_f32 v4, -v21, v18, v4
	;; [unrolled: 1-line block ×4, first 2 shown]
	s_cbranch_scc0 .LBB25_17
.LBB25_18:                              ;   in Loop: Header=BB25_16 Depth=2
	s_lshl_b32 s36, s21, 2
	s_mul_i32 s37, s21, 0x50
	s_wait_alu 0xfffe
	s_or_b32 s38, s36, 4
	s_add_co_i32 s37, s36, s37
	s_add_co_i32 s20, s20, 16
	s_wait_alu 0xfffe
	v_mov_b32_e32 v22, s37
	s_addk_co_i32 s37, 0x54
	ds_load_b128 v[16:19], v22
	ds_load_2addr_b32 v[20:21], v22 offset0:21 offset1:22
	s_wait_alu 0xfffe
	s_sub_co_i32 s37, s37, s38
	s_wait_alu 0xfffe
	s_add_co_i32 s36, s37, s36
	s_wait_dscnt 0x1
	v_div_scale_f32 v23, null, v16, v16, v3
	v_div_scale_f32 v26, vcc_lo, v3, v16, v3
	s_delay_alu instid0(VALU_DEP_2) | instskip(NEXT) | instid1(TRANS32_DEP_1)
	v_rcp_f32_e32 v24, v23
	v_fma_f32 v25, -v23, v24, 1.0
	s_delay_alu instid0(VALU_DEP_1) | instskip(NEXT) | instid1(VALU_DEP_1)
	v_fmac_f32_e32 v24, v25, v24
	v_mul_f32_e32 v25, v26, v24
	s_delay_alu instid0(VALU_DEP_1) | instskip(NEXT) | instid1(VALU_DEP_1)
	v_fma_f32 v27, -v23, v25, v26
	v_fmac_f32_e32 v25, v27, v24
	s_delay_alu instid0(VALU_DEP_1) | instskip(SKIP_1) | instid1(VALU_DEP_1)
	v_fma_f32 v23, -v23, v25, v26
	s_wait_alu 0xfffd
	v_div_fmas_f32 v23, v23, v24, v25
	s_delay_alu instid0(VALU_DEP_1) | instskip(NEXT) | instid1(VALU_DEP_1)
	v_div_fixup_f32 v16, v23, v16, v3
	v_fma_f32 v17, -v16, v17, v4
	v_fma_f32 v15, -v16, v18, v15
	;; [unrolled: 1-line block ×3, first 2 shown]
	ds_load_b32 v18, v22 offset:252
	s_wait_dscnt 0x1
	v_div_scale_f32 v23, null, v20, v20, v17
	v_div_scale_f32 v25, vcc_lo, v17, v20, v17
	s_delay_alu instid0(VALU_DEP_2) | instskip(NEXT) | instid1(TRANS32_DEP_1)
	v_rcp_f32_e32 v24, v23
	v_fma_f32 v3, -v23, v24, 1.0
	s_delay_alu instid0(VALU_DEP_1) | instskip(NEXT) | instid1(VALU_DEP_1)
	v_fmac_f32_e32 v24, v3, v24
	v_mul_f32_e32 v26, v25, v24
	s_delay_alu instid0(VALU_DEP_1) | instskip(NEXT) | instid1(VALU_DEP_1)
	v_fma_f32 v3, -v23, v26, v25
	v_fmac_f32_e32 v26, v3, v24
	ds_load_b64 v[3:4], v22 offset:168
	v_fma_f32 v23, -v23, v26, v25
	s_wait_alu 0xfffd
	s_delay_alu instid0(VALU_DEP_1) | instskip(NEXT) | instid1(VALU_DEP_1)
	v_div_fmas_f32 v23, v23, v24, v26
	v_div_fixup_f32 v17, v23, v20, v17
	s_delay_alu instid0(VALU_DEP_1) | instskip(SKIP_4) | instid1(VALU_DEP_2)
	v_fma_f32 v15, -v17, v21, v15
	ds_store_2addr_b32 v2, v16, v17 offset1:20
	s_wait_dscnt 0x1
	v_div_scale_f32 v20, null, v3, v3, v15
	v_div_scale_f32 v23, vcc_lo, v15, v3, v15
	v_rcp_f32_e32 v21, v20
	s_delay_alu instid0(TRANS32_DEP_1) | instskip(SKIP_1) | instid1(VALU_DEP_1)
	v_fma_f32 v22, -v20, v21, 1.0
	s_wait_alu 0xfffe
	v_dual_fmac_f32 v21, v22, v21 :: v_dual_mov_b32 v22, s36
	s_add_co_i32 s36, s21, 4
	s_add_co_i32 s21, s21, 7
	s_delay_alu instid0(VALU_DEP_1) | instskip(SKIP_4) | instid1(VALU_DEP_1)
	v_mul_f32_e32 v24, v23, v21
	ds_load_b32 v22, v22 offset:12
	s_wait_alu 0xfffe
	s_cmp_ge_i32 s21, s1
	v_fma_f32 v25, -v20, v24, v23
	v_fmac_f32_e32 v24, v25, v21
	s_delay_alu instid0(VALU_DEP_1) | instskip(SKIP_1) | instid1(VALU_DEP_1)
	v_fma_f32 v20, -v20, v24, v23
	s_wait_alu 0xfffd
	v_div_fmas_f32 v19, v20, v21, v24
	s_wait_dscnt 0x0
	v_fma_f32 v14, -v17, v22, v14
	s_delay_alu instid0(VALU_DEP_2) | instskip(NEXT) | instid1(VALU_DEP_1)
	v_div_fixup_f32 v3, v19, v3, v15
	v_fma_f32 v4, -v3, v4, v14
	s_delay_alu instid0(VALU_DEP_1) | instskip(SKIP_1) | instid1(VALU_DEP_2)
	v_div_scale_f32 v14, null, v18, v18, v4
	v_div_scale_f32 v20, vcc_lo, v4, v18, v4
	v_rcp_f32_e32 v15, v14
	s_delay_alu instid0(TRANS32_DEP_1) | instskip(NEXT) | instid1(VALU_DEP_1)
	v_fma_f32 v19, -v14, v15, 1.0
	v_fmac_f32_e32 v15, v19, v15
	s_delay_alu instid0(VALU_DEP_1) | instskip(NEXT) | instid1(VALU_DEP_1)
	v_mul_f32_e32 v19, v20, v15
	v_fma_f32 v21, -v14, v19, v20
	s_delay_alu instid0(VALU_DEP_1) | instskip(NEXT) | instid1(VALU_DEP_1)
	v_fmac_f32_e32 v19, v21, v15
	v_fma_f32 v14, -v14, v19, v20
	s_wait_alu 0xfffd
	s_delay_alu instid0(VALU_DEP_1) | instskip(NEXT) | instid1(VALU_DEP_1)
	v_div_fmas_f32 v14, v14, v15, v19
	v_div_fixup_f32 v4, v14, v18, v4
	ds_store_b32 v2, v3 offset:160
	ds_store_b32 v5, v4
	s_cbranch_scc1 .LBB25_20
; %bb.19:                               ;   in Loop: Header=BB25_16 Depth=2
	s_mov_b32 s21, s36
	s_branch .LBB25_16
.LBB25_20:                              ;   in Loop: Header=BB25_3 Depth=1
	s_cmp_ge_i32 s36, s1
	s_cbranch_scc1 .LBB25_25
; %bb.21:                               ;   in Loop: Header=BB25_3 Depth=1
	s_lshl_b32 s20, s36, 2
	s_branch .LBB25_23
.LBB25_22:                              ;   in Loop: Header=BB25_23 Depth=2
	s_lshl_b32 s37, s36, 2
	s_add_co_i32 s36, s36, 1
	s_wait_alu 0xfffe
	s_add_co_i32 s21, s37, s21
	s_add_co_i32 s20, s20, 4
	s_wait_alu 0xfffe
	v_mov_b32_e32 v4, s21
	s_cmp_ge_i32 s36, s1
	ds_load_b32 v4, v4
	s_wait_dscnt 0x0
	v_div_scale_f32 v5, null, v4, v4, v3
	s_delay_alu instid0(VALU_DEP_1) | instskip(NEXT) | instid1(TRANS32_DEP_1)
	v_rcp_f32_e32 v14, v5
	v_fma_f32 v15, -v5, v14, 1.0
	s_delay_alu instid0(VALU_DEP_1) | instskip(SKIP_1) | instid1(VALU_DEP_1)
	v_fmac_f32_e32 v14, v15, v14
	v_div_scale_f32 v15, vcc_lo, v3, v4, v3
	v_mul_f32_e32 v16, v15, v14
	s_delay_alu instid0(VALU_DEP_1) | instskip(NEXT) | instid1(VALU_DEP_1)
	v_fma_f32 v17, -v5, v16, v15
	v_fmac_f32_e32 v16, v17, v14
	s_delay_alu instid0(VALU_DEP_1) | instskip(SKIP_1) | instid1(VALU_DEP_1)
	v_fma_f32 v5, -v5, v16, v15
	s_wait_alu 0xfffd
	v_div_fmas_f32 v5, v5, v14, v16
	s_delay_alu instid0(VALU_DEP_1)
	v_div_fixup_f32 v3, v5, v4, v3
	ds_store_b32 v2, v3
	s_cbranch_scc1 .LBB25_25
.LBB25_23:                              ;   Parent Loop BB25_3 Depth=1
                                        ; =>  This Loop Header: Depth=2
                                        ;       Child Loop BB25_24 Depth 3
	s_mul_i32 s21, s36, 0x50
	v_mov_b32_e32 v4, v1
	s_wait_alu 0xfffe
	v_add_nc_u32_e32 v2, s21, v1
	s_cmp_eq_u32 s36, 0
	s_mov_b32 s37, s20
	s_mov_b32 s38, s36
	ds_load_b32 v3, v2
	s_cbranch_scc1 .LBB25_22
.LBB25_24:                              ;   Parent Loop BB25_3 Depth=1
                                        ;     Parent Loop BB25_23 Depth=2
                                        ; =>    This Inner Loop Header: Depth=3
	s_wait_alu 0xfffe
	v_mov_b32_e32 v5, s37
	s_add_co_i32 s38, s38, -1
	s_addk_co_i32 s37, 0x50
	s_wait_alu 0xfffe
	s_cmp_eq_u32 s38, 0
	ds_load_b32 v14, v4
	ds_load_b32 v5, v5
	v_add_nc_u32_e32 v4, 0x50, v4
	s_wait_dscnt 0x0
	v_fma_f32 v3, -v14, v5, v3
	s_cbranch_scc0 .LBB25_24
	s_branch .LBB25_22
.LBB25_25:                              ;   in Loop: Header=BB25_3 Depth=1
	s_mov_b32 s20, 0
.LBB25_26:                              ;   in Loop: Header=BB25_3 Depth=1
	s_wait_alu 0xfffe
	s_and_b32 vcc_lo, exec_lo, s20
	s_wait_alu 0xfffe
	s_cbranch_vccz .LBB25_46
; %bb.27:                               ;   in Loop: Header=BB25_3 Depth=1
	s_mov_b32 s36, s23
	s_and_not1_b32 vcc_lo, exec_lo, s27
	s_mov_b32 s20, s29
	s_mov_b32 s21, s23
	s_wait_alu 0xfffe
	s_cbranch_vccnz .LBB25_33
.LBB25_28:                              ;   Parent Loop BB25_3 Depth=1
                                        ; =>  This Loop Header: Depth=2
                                        ;       Child Loop BB25_29 Depth 3
	s_wait_alu 0xfffe
	s_mul_i32 s37, s21, 0x50
	s_mov_b32 s38, s20
	s_wait_alu 0xfffe
	v_add_nc_u32_e32 v2, s37, v1
	s_add_co_i32 s36, s37, 0xffffff10
	s_cmp_le_i32 s23, s21
	s_wait_alu 0xfffe
	v_add_nc_u32_e32 v5, s36, v1
	s_mov_b32 s39, s23
	v_dual_mov_b32 v18, v9 :: v_dual_add_nc_u32 v3, 0xffffffb0, v2
	v_add_nc_u32_e32 v4, 0xffffff60, v2
	ds_load_b32 v17, v2
	ds_load_b32 v16, v3
	;; [unrolled: 1-line block ×4, first 2 shown]
	s_cbranch_scc1 .LBB25_30
.LBB25_29:                              ;   Parent Loop BB25_3 Depth=1
                                        ;     Parent Loop BB25_28 Depth=2
                                        ; =>    This Inner Loop Header: Depth=3
	v_mov_b32_e32 v21, s38
	s_wait_alu 0xfffe
	s_add_co_i32 s39, s39, -1
	s_addk_co_i32 s38, 0xffb0
	s_wait_alu 0xfffe
	s_cmp_le_i32 s39, s21
	ds_load_b32 v23, v18
	ds_load_2addr_b32 v[19:20], v21 offset0:2 offset1:3
	ds_load_2addr_b32 v[21:22], v21 offset1:1
	v_add_nc_u32_e32 v18, 0xffffffb0, v18
	s_wait_dscnt 0x1
	v_fma_f32 v17, -v23, v20, v17
	v_fma_f32 v16, -v23, v19, v16
	s_wait_dscnt 0x0
	v_fma_f32 v15, -v23, v22, v15
	v_fma_f32 v14, -v23, v21, v14
	s_cbranch_scc0 .LBB25_29
.LBB25_30:                              ;   in Loop: Header=BB25_28 Depth=2
	s_add_co_i32 s38, s21, -3
; %bb.31:                               ;   in Loop: Header=BB25_28 Depth=2
	s_lshl_b32 s39, s21, 2
	s_wait_alu 0xfffe
	s_lshl_b32 s38, s38, 2
	s_add_co_i32 s40, s39, s37
	s_wait_alu 0xfffe
	s_add_co_i32 s37, s37, s38
	s_add_co_i32 s41, s40, -4
	s_add_co_i32 s38, s40, 0xffffffac
	s_add_co_i32 s40, s40, -12
	s_wait_alu 0xfffe
	v_dual_mov_b32 v18, s41 :: v_dual_mov_b32 v21, s40
	s_add_co_i32 s41, s37, 0xffffffb0
	s_addk_co_i32 s37, 0xff60
	s_add_co_i32 s36, s39, s36
	ds_load_2addr_b32 v[18:19], v18 offset1:1
	s_wait_alu 0xfffe
	s_add_co_i32 s36, s36, -12
	s_add_co_i32 s20, s20, -16
	s_wait_dscnt 0x0
	v_div_scale_f32 v25, null, v19, v19, v17
	v_div_scale_f32 v28, vcc_lo, v17, v19, v17
	s_delay_alu instid0(VALU_DEP_2) | instskip(NEXT) | instid1(TRANS32_DEP_1)
	v_rcp_f32_e32 v26, v25
	v_fma_f32 v27, -v25, v26, 1.0
	s_delay_alu instid0(VALU_DEP_1) | instskip(NEXT) | instid1(VALU_DEP_1)
	v_fmac_f32_e32 v26, v27, v26
	v_dual_mov_b32 v20, s38 :: v_dual_mul_f32 v27, v28, v26
	s_delay_alu instid0(VALU_DEP_1) | instskip(NEXT) | instid1(VALU_DEP_1)
	v_fma_f32 v29, -v25, v27, v28
	v_dual_mov_b32 v22, s41 :: v_dual_fmac_f32 v27, v29, v26
	ds_load_b32 v24, v20
	ds_load_2addr_b32 v[20:21], v21 offset1:1
	ds_load_2addr_b32 v[22:23], v22 offset1:1
	v_fma_f32 v25, -v25, v27, v28
	s_wait_alu 0xfffd
	s_delay_alu instid0(VALU_DEP_1) | instskip(NEXT) | instid1(VALU_DEP_1)
	v_div_fmas_f32 v25, v25, v26, v27
	v_div_fixup_f32 v19, v25, v19, v17
	v_mov_b32_e32 v17, s37
	s_delay_alu instid0(VALU_DEP_2)
	v_fma_f32 v18, -v19, v18, v16
	s_wait_dscnt 0x1
	v_fma_f32 v15, -v19, v21, v15
	v_fma_f32 v14, -v19, v20, v14
	s_wait_alu 0xfffe
	v_mov_b32_e32 v21, s36
	s_add_co_i32 s36, s21, -4
	v_div_scale_f32 v25, null, v24, v24, v18
	v_div_scale_f32 v27, vcc_lo, v18, v24, v18
	s_cmp_lt_i32 s21, 7
	v_rcp_f32_e32 v26, v25
	ds_load_b32 v21, v21
	v_fma_f32 v16, -v25, v26, 1.0
	s_delay_alu instid0(VALU_DEP_1) | instskip(NEXT) | instid1(VALU_DEP_1)
	v_fmac_f32_e32 v26, v16, v26
	v_mul_f32_e32 v28, v27, v26
	s_delay_alu instid0(VALU_DEP_1) | instskip(NEXT) | instid1(VALU_DEP_1)
	v_fma_f32 v16, -v25, v28, v27
	v_fmac_f32_e32 v28, v16, v26
	ds_load_2addr_b32 v[16:17], v17 offset1:1
	v_fma_f32 v25, -v25, v28, v27
	s_wait_alu 0xfffd
	s_delay_alu instid0(VALU_DEP_1) | instskip(NEXT) | instid1(VALU_DEP_1)
	v_div_fmas_f32 v25, v25, v26, v28
	v_div_fixup_f32 v18, v25, v24, v18
	s_wait_dscnt 0x2
	s_delay_alu instid0(VALU_DEP_1) | instskip(SKIP_2) | instid1(VALU_DEP_2)
	v_fma_f32 v15, -v18, v23, v15
	v_fma_f32 v14, -v18, v22, v14
	s_wait_dscnt 0x0
	v_div_scale_f32 v23, null, v17, v17, v15
	v_div_scale_f32 v26, vcc_lo, v15, v17, v15
	s_delay_alu instid0(VALU_DEP_2) | instskip(NEXT) | instid1(TRANS32_DEP_1)
	v_rcp_f32_e32 v24, v23
	v_fma_f32 v25, -v23, v24, 1.0
	s_delay_alu instid0(VALU_DEP_1) | instskip(NEXT) | instid1(VALU_DEP_1)
	v_fmac_f32_e32 v24, v25, v24
	v_mul_f32_e32 v25, v26, v24
	s_delay_alu instid0(VALU_DEP_1) | instskip(NEXT) | instid1(VALU_DEP_1)
	v_fma_f32 v27, -v23, v25, v26
	v_fmac_f32_e32 v25, v27, v24
	s_delay_alu instid0(VALU_DEP_1) | instskip(SKIP_1) | instid1(VALU_DEP_1)
	v_fma_f32 v23, -v23, v25, v26
	s_wait_alu 0xfffd
	v_div_fmas_f32 v20, v23, v24, v25
	s_delay_alu instid0(VALU_DEP_1) | instskip(NEXT) | instid1(VALU_DEP_1)
	v_div_fixup_f32 v15, v20, v17, v15
	v_fma_f32 v14, -v15, v16, v14
	s_delay_alu instid0(VALU_DEP_1) | instskip(SKIP_1) | instid1(VALU_DEP_2)
	v_div_scale_f32 v16, null, v21, v21, v14
	v_div_scale_f32 v22, vcc_lo, v14, v21, v14
	v_rcp_f32_e32 v17, v16
	s_delay_alu instid0(TRANS32_DEP_1) | instskip(NEXT) | instid1(VALU_DEP_1)
	v_fma_f32 v20, -v16, v17, 1.0
	v_fmac_f32_e32 v17, v20, v17
	s_delay_alu instid0(VALU_DEP_1) | instskip(NEXT) | instid1(VALU_DEP_1)
	v_mul_f32_e32 v20, v22, v17
	v_fma_f32 v23, -v16, v20, v22
	s_delay_alu instid0(VALU_DEP_1) | instskip(NEXT) | instid1(VALU_DEP_1)
	v_fmac_f32_e32 v20, v23, v17
	v_fma_f32 v16, -v16, v20, v22
	s_wait_alu 0xfffd
	s_delay_alu instid0(VALU_DEP_1) | instskip(NEXT) | instid1(VALU_DEP_1)
	v_div_fmas_f32 v16, v16, v17, v20
	v_div_fixup_f32 v14, v16, v21, v14
	ds_store_b32 v2, v19
	ds_store_b32 v3, v18
	;; [unrolled: 1-line block ×4, first 2 shown]
	s_cbranch_scc1 .LBB25_33
; %bb.32:                               ;   in Loop: Header=BB25_28 Depth=2
	s_wait_alu 0xfffe
	s_mov_b32 s21, s36
	s_branch .LBB25_28
.LBB25_33:                              ;   in Loop: Header=BB25_3 Depth=1
	s_wait_alu 0xfffe
	s_cmp_lt_i32 s36, 0
	s_cbranch_scc1 .LBB25_46
; %bb.34:                               ;   in Loop: Header=BB25_3 Depth=1
	s_bitcmp1_b32 s36, 0
	s_cselect_b32 s20, -1, 0
	s_wait_alu 0xfffe
	s_and_b32 vcc_lo, exec_lo, s20
	s_mov_b32 s20, s36
	s_wait_alu 0xfffe
	s_cbranch_vccnz .LBB25_39
; %bb.35:                               ;   in Loop: Header=BB25_3 Depth=1
	s_mul_i32 s20, s36, 0x50
	s_cmp_le_i32 s23, s36
	s_wait_alu 0xfffe
	v_add_nc_u32_e32 v2, s20, v1
	ds_load_b32 v3, v2
	s_cbranch_scc1 .LBB25_38
; %bb.36:                               ;   in Loop: Header=BB25_3 Depth=1
	v_mov_b32_e32 v4, v9
	s_lshl_b32 s21, s36, 2
	s_mov_b32 s37, s23
	s_wait_alu 0xfffe
	s_add_co_i32 s21, s30, s21
.LBB25_37:                              ;   Parent Loop BB25_3 Depth=1
                                        ; =>  This Inner Loop Header: Depth=2
	s_wait_alu 0xfffe
	v_mov_b32_e32 v5, s21
	s_add_co_i32 s37, s37, -1
	s_addk_co_i32 s21, 0xffb0
	s_wait_alu 0xfffe
	s_cmp_gt_i32 s37, s36
	ds_load_b32 v14, v4
	ds_load_b32 v5, v5
	v_add_nc_u32_e32 v4, 0xffffffb0, v4
	s_wait_dscnt 0x0
	v_fma_f32 v3, -v14, v5, v3
	s_cbranch_scc1 .LBB25_37
.LBB25_38:                              ;   in Loop: Header=BB25_3 Depth=1
	s_lshl_b32 s21, s36, 2
	s_wait_alu 0xfffe
	s_add_co_i32 s20, s21, s20
	s_wait_alu 0xfffe
	v_mov_b32_e32 v4, s20
	s_add_co_i32 s20, s36, -1
	ds_load_b32 v4, v4
	s_wait_dscnt 0x0
	v_div_scale_f32 v5, null, v4, v4, v3
	s_delay_alu instid0(VALU_DEP_1) | instskip(NEXT) | instid1(TRANS32_DEP_1)
	v_rcp_f32_e32 v14, v5
	v_fma_f32 v15, -v5, v14, 1.0
	s_delay_alu instid0(VALU_DEP_1) | instskip(SKIP_1) | instid1(VALU_DEP_1)
	v_fmac_f32_e32 v14, v15, v14
	v_div_scale_f32 v15, vcc_lo, v3, v4, v3
	v_mul_f32_e32 v16, v15, v14
	s_delay_alu instid0(VALU_DEP_1) | instskip(NEXT) | instid1(VALU_DEP_1)
	v_fma_f32 v17, -v5, v16, v15
	v_fmac_f32_e32 v16, v17, v14
	s_delay_alu instid0(VALU_DEP_1) | instskip(SKIP_1) | instid1(VALU_DEP_1)
	v_fma_f32 v5, -v5, v16, v15
	s_wait_alu 0xfffd
	v_div_fmas_f32 v5, v5, v14, v16
	s_delay_alu instid0(VALU_DEP_1)
	v_div_fixup_f32 v3, v5, v4, v3
	ds_store_b32 v2, v3
.LBB25_39:                              ;   in Loop: Header=BB25_3 Depth=1
	s_cmp_eq_u32 s36, 0
	s_cbranch_scc1 .LBB25_46
; %bb.40:                               ;   in Loop: Header=BB25_3 Depth=1
	s_wait_alu 0xfffe
	s_lshl_b32 s36, s20, 2
	s_wait_alu 0xfffe
	s_add_co_i32 s21, s30, s36
	s_add_co_i32 s36, s31, s36
	s_branch .LBB25_42
.LBB25_41:                              ;   in Loop: Header=BB25_42 Depth=2
	s_addk_co_i32 s37, 0xffac
	s_add_co_i32 s21, s21, -8
	s_wait_alu 0xfffe
	v_mov_b32_e32 v2, s37
	s_add_co_i32 s37, s20, -2
	s_add_co_i32 s36, s36, -8
	s_cmp_lt_i32 s20, 2
	s_wait_alu 0xfffe
	s_mov_b32 s20, s37
	ds_load_b32 v2, v2
	s_wait_dscnt 0x0
	v_div_scale_f32 v4, null, v2, v2, v5
	v_div_scale_f32 v16, vcc_lo, v5, v2, v5
	s_delay_alu instid0(VALU_DEP_2) | instskip(NEXT) | instid1(TRANS32_DEP_1)
	v_rcp_f32_e32 v14, v4
	v_fma_f32 v15, -v4, v14, 1.0
	s_delay_alu instid0(VALU_DEP_1) | instskip(NEXT) | instid1(VALU_DEP_1)
	v_fmac_f32_e32 v14, v15, v14
	v_mul_f32_e32 v15, v16, v14
	s_delay_alu instid0(VALU_DEP_1) | instskip(NEXT) | instid1(VALU_DEP_1)
	v_fma_f32 v17, -v4, v15, v16
	v_fmac_f32_e32 v15, v17, v14
	s_delay_alu instid0(VALU_DEP_1) | instskip(SKIP_1) | instid1(VALU_DEP_1)
	v_fma_f32 v4, -v4, v15, v16
	s_wait_alu 0xfffd
	v_div_fmas_f32 v4, v4, v14, v15
	s_delay_alu instid0(VALU_DEP_1)
	v_div_fixup_f32 v2, v4, v2, v5
	ds_store_b32 v3, v2
	s_cbranch_scc1 .LBB25_46
.LBB25_42:                              ;   Parent Loop BB25_3 Depth=1
                                        ; =>  This Loop Header: Depth=2
                                        ;       Child Loop BB25_43 Depth 3
                                        ;       Child Loop BB25_45 Depth 3
	s_wait_alu 0xfffe
	s_mul_i32 s38, s20, 0x50
	s_cmp_le_i32 s23, s20
	s_wait_alu 0xfffe
	v_dual_mov_b32 v3, v9 :: v_dual_add_nc_u32 v2, s38, v1
	s_mov_b32 s37, s21
	s_mov_b32 s39, s23
	ds_load_b32 v4, v2
	s_cbranch_scc1 .LBB25_44
.LBB25_43:                              ;   Parent Loop BB25_3 Depth=1
                                        ;     Parent Loop BB25_42 Depth=2
                                        ; =>    This Inner Loop Header: Depth=3
	s_wait_alu 0xfffe
	v_mov_b32_e32 v5, s37
	s_add_co_i32 s39, s39, -1
	s_addk_co_i32 s37, 0xffb0
	s_wait_alu 0xfffe
	s_cmp_le_i32 s39, s20
	ds_load_b32 v14, v3
	ds_load_b32 v5, v5
	v_add_nc_u32_e32 v3, 0xffffffb0, v3
	s_wait_dscnt 0x0
	v_fma_f32 v4, -v14, v5, v4
	s_cbranch_scc0 .LBB25_43
.LBB25_44:                              ;   in Loop: Header=BB25_42 Depth=2
	s_lshl_b32 s37, s20, 2
	s_mov_b32 s39, s1
	s_wait_alu 0xfffe
	s_add_co_i32 s37, s37, s38
	s_addk_co_i32 s38, 0xffb0
	s_wait_alu 0xfffe
	v_mov_b32_e32 v3, s37
	s_cmp_le_i32 s1, s20
	ds_load_b32 v14, v3
	s_wait_dscnt 0x0
	v_div_scale_f32 v15, null, v14, v14, v4
	s_delay_alu instid0(VALU_DEP_1) | instskip(NEXT) | instid1(TRANS32_DEP_1)
	v_rcp_f32_e32 v16, v15
	v_fma_f32 v17, -v15, v16, 1.0
	s_delay_alu instid0(VALU_DEP_1) | instskip(SKIP_3) | instid1(VALU_DEP_2)
	v_fmac_f32_e32 v16, v17, v16
	v_div_scale_f32 v17, vcc_lo, v4, v14, v4
	v_add_nc_u32_e32 v3, s38, v1
	s_mov_b32 s38, s36
	v_mul_f32_e32 v18, v17, v16
	ds_load_b32 v5, v3
	v_fma_f32 v19, -v15, v18, v17
	s_delay_alu instid0(VALU_DEP_1) | instskip(NEXT) | instid1(VALU_DEP_1)
	v_fmac_f32_e32 v18, v19, v16
	v_fma_f32 v15, -v15, v18, v17
	s_wait_alu 0xfffd
	s_delay_alu instid0(VALU_DEP_1) | instskip(NEXT) | instid1(VALU_DEP_1)
	v_div_fmas_f32 v15, v15, v16, v18
	v_div_fixup_f32 v14, v15, v14, v4
	v_mov_b32_e32 v4, v9
	ds_store_b32 v2, v14
	s_cbranch_scc1 .LBB25_41
.LBB25_45:                              ;   Parent Loop BB25_3 Depth=1
                                        ;     Parent Loop BB25_42 Depth=2
                                        ; =>    This Inner Loop Header: Depth=3
	s_wait_alu 0xfffe
	v_mov_b32_e32 v2, s38
	s_add_co_i32 s39, s39, -1
	s_addk_co_i32 s38, 0xffb0
	s_wait_alu 0xfffe
	s_cmp_gt_i32 s39, s20
	ds_load_b32 v14, v4
	ds_load_b32 v2, v2
	v_add_nc_u32_e32 v4, 0xffffffb0, v4
	s_wait_dscnt 0x0
	v_fma_f32 v5, -v14, v2, v5
	s_cbranch_scc1 .LBB25_45
	s_branch .LBB25_41
.LBB25_46:                              ;   in Loop: Header=BB25_3 Depth=1
	s_mov_b32 s20, 0
.LBB25_47:                              ;   in Loop: Header=BB25_3 Depth=1
	s_wait_alu 0xfffe
	s_and_not1_b32 vcc_lo, exec_lo, s20
	s_wait_alu 0xfffe
	s_cbranch_vccnz .LBB25_66
; %bb.48:                               ;   in Loop: Header=BB25_3 Depth=1
	s_mov_b32 s36, s23
	s_and_not1_b32 vcc_lo, exec_lo, s27
	s_mov_b32 s20, s33
	s_mov_b32 s21, s23
	s_wait_alu 0xfffe
	s_cbranch_vccnz .LBB25_53
.LBB25_49:                              ;   Parent Loop BB25_3 Depth=1
                                        ; =>  This Loop Header: Depth=2
                                        ;       Child Loop BB25_50 Depth 3
	s_wait_alu 0xfffe
	s_mul_i32 s36, s21, 20
	s_cmp_le_i32 s23, s21
	s_wait_alu 0xfffe
	v_lshl_add_u32 v2, s36, 2, v1
	s_mov_b32 s37, s20
	s_mov_b32 s38, s23
	s_delay_alu instid0(VALU_DEP_1)
	v_dual_mov_b32 v18, v9 :: v_dual_add_nc_u32 v3, 0xffffffb0, v2
	v_add_nc_u32_e32 v4, 0xffffff60, v2
	v_add_nc_u32_e32 v5, 0xffffff10, v2
	ds_load_b32 v17, v2
	ds_load_b32 v16, v3
	;; [unrolled: 1-line block ×4, first 2 shown]
	s_cbranch_scc1 .LBB25_51
.LBB25_50:                              ;   Parent Loop BB25_3 Depth=1
                                        ;     Parent Loop BB25_49 Depth=2
                                        ; =>    This Inner Loop Header: Depth=3
	s_wait_alu 0xfffe
	v_mov_b32_e32 v21, s37
	s_add_co_i32 s38, s38, -1
	s_add_co_i32 s37, s37, -4
	s_wait_alu 0xfffe
	s_cmp_le_i32 s38, s21
	ds_load_b32 v23, v18
	ds_load_2addr_b32 v[19:20], v21 offset0:40 offset1:60
	ds_load_2addr_b32 v[21:22], v21 offset1:20
	v_add_nc_u32_e32 v18, 0xffffffb0, v18
	s_wait_dscnt 0x1
	v_fma_f32 v17, -v23, v20, v17
	v_fma_f32 v16, -v23, v19, v16
	s_wait_dscnt 0x0
	v_fma_f32 v15, -v23, v22, v15
	v_fma_f32 v14, -v23, v21, v14
	s_cbranch_scc0 .LBB25_50
.LBB25_51:                              ;   in Loop: Header=BB25_49 Depth=2
	s_mul_i32 s37, s21, 0x54
	s_lshl_b32 s36, s36, 2
	s_wait_alu 0xfffe
	v_mov_b32_e32 v18, s37
	s_lshl_b32 s37, s21, 2
	s_addk_co_i32 s20, 0xfec0
	s_wait_alu 0xfffe
	s_add_co_i32 s36, s36, s37
	s_wait_alu 0xfffe
	s_add_co_i32 s39, s36, 0xffffff58
	s_add_co_i32 s37, s36, 0xffffffac
	s_wait_alu 0xfffe
	v_mov_b32_e32 v21, s39
	ds_load_b32 v22, v18
	s_add_co_i32 s38, s36, 0xffffff60
	s_wait_alu 0xfffe
	v_mov_b32_e32 v20, s38
	s_wait_dscnt 0x0
	v_div_scale_f32 v24, null, v22, v22, v17
	v_div_scale_f32 v27, vcc_lo, v17, v22, v17
	s_delay_alu instid0(VALU_DEP_2) | instskip(NEXT) | instid1(TRANS32_DEP_1)
	v_rcp_f32_e32 v25, v24
	v_fma_f32 v26, -v24, v25, 1.0
	v_mov_b32_e32 v18, s37
	s_add_co_i32 s37, s36, 0xffffff0c
	s_addk_co_i32 s36, 0xff04
	s_delay_alu instid0(VALU_DEP_2) | instskip(SKIP_4) | instid1(VALU_DEP_1)
	v_fmac_f32_e32 v25, v26, v25
	ds_load_2addr_b32 v[18:19], v18 offset1:1
	ds_load_b32 v23, v20
	ds_load_2addr_b32 v[20:21], v21 offset1:1
	v_mul_f32_e32 v26, v27, v25
	v_fma_f32 v28, -v24, v26, v27
	s_delay_alu instid0(VALU_DEP_1) | instskip(NEXT) | instid1(VALU_DEP_1)
	v_fmac_f32_e32 v26, v28, v25
	v_fma_f32 v24, -v24, v26, v27
	s_wait_alu 0xfffd
	s_delay_alu instid0(VALU_DEP_1) | instskip(NEXT) | instid1(VALU_DEP_1)
	v_div_fmas_f32 v24, v24, v25, v26
	v_div_fixup_f32 v22, v24, v22, v17
	s_wait_dscnt 0x2
	s_delay_alu instid0(VALU_DEP_1) | instskip(SKIP_2) | instid1(VALU_DEP_2)
	v_fma_f32 v16, -v22, v19, v16
	s_wait_dscnt 0x1
	v_fma_f32 v15, -v22, v23, v15
	v_div_scale_f32 v17, null, v18, v18, v16
	v_div_scale_f32 v25, vcc_lo, v16, v18, v16
	s_delay_alu instid0(VALU_DEP_2) | instskip(NEXT) | instid1(TRANS32_DEP_1)
	v_rcp_f32_e32 v19, v17
	v_fma_f32 v24, -v17, v19, 1.0
	s_delay_alu instid0(VALU_DEP_1) | instskip(NEXT) | instid1(VALU_DEP_1)
	v_fmac_f32_e32 v19, v24, v19
	v_mul_f32_e32 v24, v25, v19
	s_delay_alu instid0(VALU_DEP_1) | instskip(NEXT) | instid1(VALU_DEP_1)
	v_fma_f32 v26, -v17, v24, v25
	v_fmac_f32_e32 v24, v26, v19
	s_delay_alu instid0(VALU_DEP_1) | instskip(SKIP_1) | instid1(VALU_DEP_1)
	v_fma_f32 v17, -v17, v24, v25
	s_wait_alu 0xfffd
	v_div_fmas_f32 v17, v17, v19, v24
	s_delay_alu instid0(VALU_DEP_1)
	v_div_fixup_f32 v19, v17, v18, v16
	s_wait_alu 0xfffe
	v_dual_mov_b32 v16, s37 :: v_dual_mov_b32 v17, s36
	s_add_co_i32 s36, s21, -4
	s_cmp_lt_i32 s21, 7
	s_wait_dscnt 0x0
	v_fma_f32 v21, -v19, v21, v15
	ds_load_2addr_b32 v[17:18], v17 offset1:1
	v_div_scale_f32 v23, null, v20, v20, v21
	v_div_scale_f32 v25, vcc_lo, v21, v20, v21
	s_delay_alu instid0(VALU_DEP_2) | instskip(NEXT) | instid1(TRANS32_DEP_1)
	v_rcp_f32_e32 v24, v23
	v_fma_f32 v15, -v23, v24, 1.0
	s_delay_alu instid0(VALU_DEP_1) | instskip(SKIP_2) | instid1(VALU_DEP_1)
	v_fmac_f32_e32 v24, v15, v24
	ds_load_2addr_b32 v[15:16], v16 offset1:1
	v_mul_f32_e32 v26, v25, v24
	v_fma_f32 v27, -v23, v26, v25
	s_delay_alu instid0(VALU_DEP_1) | instskip(NEXT) | instid1(VALU_DEP_1)
	v_fmac_f32_e32 v26, v27, v24
	v_fma_f32 v23, -v23, v26, v25
	s_wait_dscnt 0x0
	v_fma_f32 v14, -v22, v16, v14
	s_wait_alu 0xfffd
	s_delay_alu instid0(VALU_DEP_2) | instskip(NEXT) | instid1(VALU_DEP_2)
	v_div_fmas_f32 v16, v23, v24, v26
	v_fma_f32 v14, -v19, v15, v14
	s_delay_alu instid0(VALU_DEP_2) | instskip(NEXT) | instid1(VALU_DEP_1)
	v_div_fixup_f32 v15, v16, v20, v21
	v_fma_f32 v14, -v15, v18, v14
	s_delay_alu instid0(VALU_DEP_1) | instskip(SKIP_1) | instid1(VALU_DEP_2)
	v_div_scale_f32 v16, null, v17, v17, v14
	v_div_scale_f32 v21, vcc_lo, v14, v17, v14
	v_rcp_f32_e32 v18, v16
	s_delay_alu instid0(TRANS32_DEP_1) | instskip(NEXT) | instid1(VALU_DEP_1)
	v_fma_f32 v20, -v16, v18, 1.0
	v_fmac_f32_e32 v18, v20, v18
	s_delay_alu instid0(VALU_DEP_1) | instskip(NEXT) | instid1(VALU_DEP_1)
	v_mul_f32_e32 v20, v21, v18
	v_fma_f32 v23, -v16, v20, v21
	s_delay_alu instid0(VALU_DEP_1) | instskip(NEXT) | instid1(VALU_DEP_1)
	v_fmac_f32_e32 v20, v23, v18
	v_fma_f32 v16, -v16, v20, v21
	s_wait_alu 0xfffd
	s_delay_alu instid0(VALU_DEP_1) | instskip(NEXT) | instid1(VALU_DEP_1)
	v_div_fmas_f32 v16, v16, v18, v20
	v_div_fixup_f32 v14, v16, v17, v14
	ds_store_b32 v2, v22
	ds_store_b32 v3, v19
	;; [unrolled: 1-line block ×4, first 2 shown]
	s_cbranch_scc1 .LBB25_53
; %bb.52:                               ;   in Loop: Header=BB25_49 Depth=2
	s_wait_alu 0xfffe
	s_mov_b32 s21, s36
	s_branch .LBB25_49
.LBB25_53:                              ;   in Loop: Header=BB25_3 Depth=1
	s_wait_alu 0xfffe
	s_cmp_lt_i32 s36, 0
	s_cbranch_scc1 .LBB25_66
; %bb.54:                               ;   in Loop: Header=BB25_3 Depth=1
	s_bitcmp1_b32 s36, 0
	s_cselect_b32 s20, -1, 0
	s_wait_alu 0xfffe
	s_and_b32 vcc_lo, exec_lo, s20
	s_mov_b32 s20, s36
	s_wait_alu 0xfffe
	s_cbranch_vccnz .LBB25_59
; %bb.55:                               ;   in Loop: Header=BB25_3 Depth=1
	v_mad_co_u64_u32 v[2:3], null, 0x50, s36, v[1:2]
	s_cmp_le_i32 s23, s36
	ds_load_b32 v3, v2
	s_cbranch_scc1 .LBB25_58
; %bb.56:                               ;   in Loop: Header=BB25_3 Depth=1
	v_mov_b32_e32 v4, v9
	s_mul_i32 s20, s36, 0x50
	s_mov_b32 s21, s23
	s_wait_alu 0xfffe
	s_add_co_i32 s20, s34, s20
.LBB25_57:                              ;   Parent Loop BB25_3 Depth=1
                                        ; =>  This Inner Loop Header: Depth=2
	s_wait_alu 0xfffe
	v_mov_b32_e32 v5, s20
	s_add_co_i32 s21, s21, -1
	s_add_co_i32 s20, s20, -4
	s_wait_alu 0xfffe
	s_cmp_gt_u32 s21, s36
	ds_load_b32 v14, v4
	ds_load_b32 v5, v5
	v_add_nc_u32_e32 v4, 0xffffffb0, v4
	s_wait_dscnt 0x0
	v_fma_f32 v3, -v14, v5, v3
	s_cbranch_scc1 .LBB25_57
.LBB25_58:                              ;   in Loop: Header=BB25_3 Depth=1
	s_mul_i32 s20, s36, 0x54
	s_wait_alu 0xfffe
	v_mov_b32_e32 v4, s20
	s_add_co_i32 s20, s36, -1
	ds_load_b32 v4, v4
	s_wait_dscnt 0x0
	v_div_scale_f32 v5, null, v4, v4, v3
	s_delay_alu instid0(VALU_DEP_1) | instskip(NEXT) | instid1(TRANS32_DEP_1)
	v_rcp_f32_e32 v14, v5
	v_fma_f32 v15, -v5, v14, 1.0
	s_delay_alu instid0(VALU_DEP_1) | instskip(SKIP_1) | instid1(VALU_DEP_1)
	v_fmac_f32_e32 v14, v15, v14
	v_div_scale_f32 v15, vcc_lo, v3, v4, v3
	v_mul_f32_e32 v16, v15, v14
	s_delay_alu instid0(VALU_DEP_1) | instskip(NEXT) | instid1(VALU_DEP_1)
	v_fma_f32 v17, -v5, v16, v15
	v_fmac_f32_e32 v16, v17, v14
	s_delay_alu instid0(VALU_DEP_1) | instskip(SKIP_1) | instid1(VALU_DEP_1)
	v_fma_f32 v5, -v5, v16, v15
	s_wait_alu 0xfffd
	v_div_fmas_f32 v5, v5, v14, v16
	s_delay_alu instid0(VALU_DEP_1)
	v_div_fixup_f32 v3, v5, v4, v3
	ds_store_b32 v2, v3
.LBB25_59:                              ;   in Loop: Header=BB25_3 Depth=1
	s_cmp_eq_u32 s36, 0
	s_cbranch_scc1 .LBB25_66
; %bb.60:                               ;   in Loop: Header=BB25_3 Depth=1
	s_wait_alu 0xfffe
	s_mul_i32 s36, s20, 0x50
	s_wait_alu 0xfffe
	s_add_co_i32 s21, s34, s36
	s_add_co_i32 s36, s35, s36
	s_branch .LBB25_62
.LBB25_61:                              ;   in Loop: Header=BB25_62 Depth=2
	s_addk_co_i32 s37, 0xffac
	s_add_co_i32 s20, s20, -2
	s_wait_alu 0xfffe
	v_mov_b32_e32 v2, s37
	s_addk_co_i32 s21, 0xff60
	s_addk_co_i32 s36, 0xff60
	s_cmp_eq_u32 s38, 0
	ds_load_b32 v2, v2
	s_wait_dscnt 0x0
	v_div_scale_f32 v4, null, v2, v2, v5
	v_div_scale_f32 v16, vcc_lo, v5, v2, v5
	s_delay_alu instid0(VALU_DEP_2) | instskip(NEXT) | instid1(TRANS32_DEP_1)
	v_rcp_f32_e32 v14, v4
	v_fma_f32 v15, -v4, v14, 1.0
	s_delay_alu instid0(VALU_DEP_1) | instskip(NEXT) | instid1(VALU_DEP_1)
	v_fmac_f32_e32 v14, v15, v14
	v_mul_f32_e32 v15, v16, v14
	s_delay_alu instid0(VALU_DEP_1) | instskip(NEXT) | instid1(VALU_DEP_1)
	v_fma_f32 v17, -v4, v15, v16
	v_fmac_f32_e32 v15, v17, v14
	s_delay_alu instid0(VALU_DEP_1) | instskip(SKIP_1) | instid1(VALU_DEP_1)
	v_fma_f32 v4, -v4, v15, v16
	s_wait_alu 0xfffd
	v_div_fmas_f32 v4, v4, v14, v15
	s_delay_alu instid0(VALU_DEP_1)
	v_div_fixup_f32 v2, v4, v2, v5
	ds_store_b32 v3, v2
	s_cbranch_scc1 .LBB25_66
.LBB25_62:                              ;   Parent Loop BB25_3 Depth=1
                                        ; =>  This Loop Header: Depth=2
                                        ;       Child Loop BB25_63 Depth 3
                                        ;       Child Loop BB25_65 Depth 3
	v_mad_co_u64_u32 v[2:3], null, 0x50, s20, v[1:2]
	v_mov_b32_e32 v3, v9
	s_cmp_le_i32 s23, s20
	s_wait_alu 0xfffe
	s_mov_b32 s37, s21
	s_mov_b32 s38, s23
	ds_load_b32 v4, v2
	s_cbranch_scc1 .LBB25_64
.LBB25_63:                              ;   Parent Loop BB25_3 Depth=1
                                        ;     Parent Loop BB25_62 Depth=2
                                        ; =>    This Inner Loop Header: Depth=3
	s_wait_alu 0xfffe
	v_mov_b32_e32 v5, s37
	s_add_co_i32 s38, s38, -1
	s_add_co_i32 s37, s37, -4
	s_wait_alu 0xfffe
	s_cmp_le_u32 s38, s20
	ds_load_b32 v14, v3
	ds_load_b32 v5, v5
	v_add_nc_u32_e32 v3, 0xffffffb0, v3
	s_wait_dscnt 0x0
	v_fma_f32 v4, -v14, v5, v4
	s_cbranch_scc0 .LBB25_63
.LBB25_64:                              ;   in Loop: Header=BB25_62 Depth=2
	s_mul_i32 s37, s20, 0x54
	s_add_co_i32 s38, s20, -1
	s_wait_alu 0xfffe
	v_mov_b32_e32 v3, s37
	s_cmp_le_i32 s1, s20
	s_mov_b32 s39, s36
	s_mov_b32 s40, s23
	ds_load_b32 v14, v3
	v_add_nc_u32_e32 v3, 0xffffffb0, v2
	s_wait_dscnt 0x0
	v_div_scale_f32 v15, null, v14, v14, v4
	v_div_scale_f32 v18, vcc_lo, v4, v14, v4
	s_delay_alu instid0(VALU_DEP_2) | instskip(NEXT) | instid1(TRANS32_DEP_1)
	v_rcp_f32_e32 v16, v15
	v_fma_f32 v17, -v15, v16, 1.0
	s_delay_alu instid0(VALU_DEP_1) | instskip(NEXT) | instid1(VALU_DEP_1)
	v_fmac_f32_e32 v16, v17, v16
	v_mul_f32_e32 v17, v18, v16
	s_delay_alu instid0(VALU_DEP_1) | instskip(NEXT) | instid1(VALU_DEP_1)
	v_fma_f32 v19, -v15, v17, v18
	v_fmac_f32_e32 v17, v19, v16
	s_delay_alu instid0(VALU_DEP_1) | instskip(SKIP_1) | instid1(VALU_DEP_1)
	v_fma_f32 v15, -v15, v17, v18
	s_wait_alu 0xfffd
	v_div_fmas_f32 v15, v15, v16, v17
	s_delay_alu instid0(VALU_DEP_1)
	v_div_fixup_f32 v14, v15, v14, v4
	v_mov_b32_e32 v4, v9
	ds_load_b32 v5, v3
	ds_store_b32 v2, v14
	s_cbranch_scc1 .LBB25_61
.LBB25_65:                              ;   Parent Loop BB25_3 Depth=1
                                        ;     Parent Loop BB25_62 Depth=2
                                        ; =>    This Inner Loop Header: Depth=3
	s_wait_alu 0xfffe
	v_mov_b32_e32 v2, s39
	s_add_co_i32 s40, s40, -1
	s_add_co_i32 s39, s39, -4
	s_wait_alu 0xfffe
	s_cmp_gt_u32 s40, s38
	ds_load_b32 v14, v4
	ds_load_b32 v2, v2
	v_add_nc_u32_e32 v4, 0xffffffb0, v4
	s_wait_dscnt 0x0
	v_fma_f32 v5, -v14, v2, v5
	s_cbranch_scc1 .LBB25_65
	s_branch .LBB25_61
.LBB25_66:                              ;   in Loop: Header=BB25_3 Depth=1
	s_mov_b32 s20, 0
.LBB25_67:                              ;   in Loop: Header=BB25_3 Depth=1
	s_wait_alu 0xfffe
	s_and_not1_b32 vcc_lo, exec_lo, s20
	s_wait_alu 0xfffe
	s_cbranch_vccnz .LBB25_79
; %bb.68:                               ;   in Loop: Header=BB25_3 Depth=1
	s_and_not1_b32 vcc_lo, exec_lo, s27
	s_mov_b32 s36, 0
	s_wait_alu 0xfffe
	s_cbranch_vccnz .LBB25_74
; %bb.69:                               ;   in Loop: Header=BB25_3 Depth=1
	s_mov_b32 s20, 0
	s_mov_b32 s21, 0
.LBB25_70:                              ;   Parent Loop BB25_3 Depth=1
                                        ; =>  This Loop Header: Depth=2
                                        ;       Child Loop BB25_71 Depth 3
	s_wait_alu 0xfffe
	s_mul_i32 s36, s21, 20
	v_mov_b32_e32 v15, v1
	s_wait_alu 0xfffe
	v_lshl_add_u32 v14, s36, 2, v1
	s_cmp_eq_u32 s21, 0
	s_mov_b32 s37, s20
	s_mov_b32 s38, s21
	ds_load_2addr_b32 v[4:5], v14 offset1:20
	ds_load_2addr_b32 v[2:3], v14 offset0:40 offset1:60
	s_cbranch_scc1 .LBB25_72
.LBB25_71:                              ;   Parent Loop BB25_3 Depth=1
                                        ;     Parent Loop BB25_70 Depth=2
                                        ; =>    This Inner Loop Header: Depth=3
	s_wait_alu 0xfffe
	v_mov_b32_e32 v18, s37
	s_add_co_i32 s38, s38, -1
	s_add_co_i32 s37, s37, 4
	s_wait_alu 0xfffe
	s_cmp_eq_u32 s38, 0
	ds_load_b32 v20, v15
	ds_load_2addr_b32 v[16:17], v18 offset1:20
	ds_load_2addr_b32 v[18:19], v18 offset0:40 offset1:60
	v_add_nc_u32_e32 v15, 0x50, v15
	s_wait_dscnt 0x1
	v_fma_f32 v4, -v20, v16, v4
	v_fma_f32 v5, -v20, v17, v5
	s_wait_dscnt 0x0
	v_fma_f32 v2, -v20, v18, v2
	v_fma_f32 v3, -v20, v19, v3
	s_cbranch_scc0 .LBB25_71
.LBB25_72:                              ;   in Loop: Header=BB25_70 Depth=2
	s_mul_i32 s37, s21, 0x54
	s_lshl_b32 s36, s36, 2
	s_wait_alu 0xfffe
	v_mov_b32_e32 v15, s37
	s_lshl_b32 s37, s21, 2
	s_addk_co_i32 s20, 0x140
	s_wait_alu 0xfffe
	s_add_co_i32 s36, s36, s37
	ds_load_b32 v20, v15
	s_wait_dscnt 0x0
	v_div_scale_f32 v22, null, v20, v20, v4
	v_div_scale_f32 v25, vcc_lo, v4, v20, v4
	s_delay_alu instid0(VALU_DEP_2) | instskip(NEXT) | instid1(TRANS32_DEP_1)
	v_rcp_f32_e32 v23, v22
	v_fma_f32 v24, -v22, v23, 1.0
	s_delay_alu instid0(VALU_DEP_1) | instskip(NEXT) | instid1(VALU_DEP_1)
	v_fmac_f32_e32 v23, v24, v23
	v_mul_f32_e32 v24, v25, v23
	s_delay_alu instid0(VALU_DEP_1)
	v_fma_f32 v26, -v22, v24, v25
	s_wait_alu 0xfffe
	v_mov_b32_e32 v21, s36
	s_add_co_i32 s36, s21, 4
	s_add_co_i32 s21, s21, 7
	s_wait_alu 0xfffe
	s_cmp_ge_i32 s21, s1
	v_fmac_f32_e32 v24, v26, v23
	ds_load_b64 v[15:16], v21 offset:80
	ds_load_b96 v[17:19], v21 offset:160
	v_fma_f32 v22, -v22, v24, v25
	s_wait_alu 0xfffd
	s_delay_alu instid0(VALU_DEP_1) | instskip(NEXT) | instid1(VALU_DEP_1)
	v_div_fmas_f32 v22, v22, v23, v24
	v_div_fixup_f32 v4, v22, v20, v4
	s_wait_dscnt 0x1
	s_delay_alu instid0(VALU_DEP_1) | instskip(SKIP_2) | instid1(VALU_DEP_2)
	v_fma_f32 v5, -v4, v15, v5
	s_wait_dscnt 0x0
	v_fma_f32 v2, -v4, v17, v2
	v_div_scale_f32 v15, null, v16, v16, v5
	v_div_scale_f32 v23, vcc_lo, v5, v16, v5
	s_delay_alu instid0(VALU_DEP_2) | instskip(NEXT) | instid1(TRANS32_DEP_1)
	v_rcp_f32_e32 v20, v15
	v_fma_f32 v22, -v15, v20, 1.0
	s_delay_alu instid0(VALU_DEP_1) | instskip(NEXT) | instid1(VALU_DEP_1)
	v_fmac_f32_e32 v20, v22, v20
	v_mul_f32_e32 v22, v23, v20
	s_delay_alu instid0(VALU_DEP_1) | instskip(NEXT) | instid1(VALU_DEP_1)
	v_fma_f32 v24, -v15, v22, v23
	v_fmac_f32_e32 v22, v24, v20
	s_delay_alu instid0(VALU_DEP_1) | instskip(SKIP_1) | instid1(VALU_DEP_1)
	v_fma_f32 v15, -v15, v22, v23
	s_wait_alu 0xfffd
	v_div_fmas_f32 v15, v15, v20, v22
	s_delay_alu instid0(VALU_DEP_1) | instskip(NEXT) | instid1(VALU_DEP_1)
	v_div_fixup_f32 v5, v15, v16, v5
	v_fma_f32 v2, -v5, v18, v2
	s_delay_alu instid0(VALU_DEP_1) | instskip(SKIP_1) | instid1(VALU_DEP_2)
	v_div_scale_f32 v20, null, v19, v19, v2
	v_div_scale_f32 v23, vcc_lo, v2, v19, v2
	v_rcp_f32_e32 v22, v20
	s_delay_alu instid0(TRANS32_DEP_1) | instskip(NEXT) | instid1(VALU_DEP_1)
	v_fma_f32 v15, -v20, v22, 1.0
	v_fmac_f32_e32 v22, v15, v22
	ds_load_b128 v[15:18], v21 offset:240
	v_mul_f32_e32 v21, v23, v22
	s_delay_alu instid0(VALU_DEP_1) | instskip(NEXT) | instid1(VALU_DEP_1)
	v_fma_f32 v24, -v20, v21, v23
	v_fmac_f32_e32 v21, v24, v22
	s_delay_alu instid0(VALU_DEP_1) | instskip(SKIP_3) | instid1(VALU_DEP_2)
	v_fma_f32 v20, -v20, v21, v23
	s_wait_dscnt 0x0
	v_fma_f32 v3, -v4, v15, v3
	s_wait_alu 0xfffd
	v_div_fmas_f32 v15, v20, v22, v21
	s_delay_alu instid0(VALU_DEP_2) | instskip(NEXT) | instid1(VALU_DEP_2)
	v_fma_f32 v3, -v5, v16, v3
	v_div_fixup_f32 v2, v15, v19, v2
	s_delay_alu instid0(VALU_DEP_1) | instskip(NEXT) | instid1(VALU_DEP_1)
	v_fma_f32 v3, -v2, v17, v3
	v_div_scale_f32 v15, null, v18, v18, v3
	v_div_scale_f32 v19, vcc_lo, v3, v18, v3
	s_delay_alu instid0(VALU_DEP_2) | instskip(NEXT) | instid1(TRANS32_DEP_1)
	v_rcp_f32_e32 v16, v15
	v_fma_f32 v17, -v15, v16, 1.0
	s_delay_alu instid0(VALU_DEP_1) | instskip(NEXT) | instid1(VALU_DEP_1)
	v_fmac_f32_e32 v16, v17, v16
	v_mul_f32_e32 v17, v19, v16
	s_delay_alu instid0(VALU_DEP_1) | instskip(NEXT) | instid1(VALU_DEP_1)
	v_fma_f32 v20, -v15, v17, v19
	v_fmac_f32_e32 v17, v20, v16
	s_delay_alu instid0(VALU_DEP_1) | instskip(SKIP_1) | instid1(VALU_DEP_1)
	v_fma_f32 v15, -v15, v17, v19
	s_wait_alu 0xfffd
	v_div_fmas_f32 v15, v15, v16, v17
	s_delay_alu instid0(VALU_DEP_1)
	v_div_fixup_f32 v3, v15, v18, v3
	ds_store_2addr_b32 v14, v4, v5 offset1:20
	ds_store_2addr_b32 v14, v2, v3 offset0:40 offset1:60
	s_cbranch_scc1 .LBB25_74
; %bb.73:                               ;   in Loop: Header=BB25_70 Depth=2
	s_mov_b32 s21, s36
	s_branch .LBB25_70
.LBB25_74:                              ;   in Loop: Header=BB25_3 Depth=1
	s_cmp_ge_i32 s36, s1
	s_cbranch_scc1 .LBB25_79
; %bb.75:                               ;   in Loop: Header=BB25_3 Depth=1
	s_mul_i32 s20, s36, 0x50
	s_branch .LBB25_77
.LBB25_76:                              ;   in Loop: Header=BB25_77 Depth=2
	s_mul_i32 s21, s36, 0x54
	s_add_co_i32 s36, s36, 1
	s_wait_alu 0xfffe
	v_mov_b32_e32 v4, s21
	s_addk_co_i32 s20, 0x50
	s_cmp_ge_i32 s36, s1
	ds_load_b32 v4, v4
	s_wait_dscnt 0x0
	v_div_scale_f32 v5, null, v4, v4, v3
	s_delay_alu instid0(VALU_DEP_1) | instskip(NEXT) | instid1(TRANS32_DEP_1)
	v_rcp_f32_e32 v14, v5
	v_fma_f32 v15, -v5, v14, 1.0
	s_delay_alu instid0(VALU_DEP_1) | instskip(SKIP_1) | instid1(VALU_DEP_1)
	v_fmac_f32_e32 v14, v15, v14
	v_div_scale_f32 v15, vcc_lo, v3, v4, v3
	v_mul_f32_e32 v16, v15, v14
	s_delay_alu instid0(VALU_DEP_1) | instskip(NEXT) | instid1(VALU_DEP_1)
	v_fma_f32 v17, -v5, v16, v15
	v_fmac_f32_e32 v16, v17, v14
	s_delay_alu instid0(VALU_DEP_1) | instskip(SKIP_1) | instid1(VALU_DEP_1)
	v_fma_f32 v5, -v5, v16, v15
	s_wait_alu 0xfffd
	v_div_fmas_f32 v5, v5, v14, v16
	s_delay_alu instid0(VALU_DEP_1)
	v_div_fixup_f32 v3, v5, v4, v3
	ds_store_b32 v2, v3
	s_cbranch_scc1 .LBB25_79
.LBB25_77:                              ;   Parent Loop BB25_3 Depth=1
                                        ; =>  This Loop Header: Depth=2
                                        ;       Child Loop BB25_78 Depth 3
	v_mad_co_u64_u32 v[2:3], null, 0x50, s36, v[1:2]
	v_mov_b32_e32 v4, v1
	s_cmp_eq_u32 s36, 0
	s_wait_alu 0xfffe
	s_mov_b32 s21, s20
	s_mov_b32 s37, s36
	ds_load_b32 v3, v2
	s_cbranch_scc1 .LBB25_76
.LBB25_78:                              ;   Parent Loop BB25_3 Depth=1
                                        ;     Parent Loop BB25_77 Depth=2
                                        ; =>    This Inner Loop Header: Depth=3
	s_wait_alu 0xfffe
	v_mov_b32_e32 v5, s21
	s_add_co_i32 s37, s37, -1
	s_add_co_i32 s21, s21, 4
	s_wait_alu 0xfffe
	s_cmp_eq_u32 s37, 0
	ds_load_b32 v14, v4
	ds_load_b32 v5, v5
	v_add_nc_u32_e32 v4, 0x50, v4
	s_wait_dscnt 0x0
	v_fma_f32 v3, -v14, v5, v3
	s_cbranch_scc0 .LBB25_78
	s_branch .LBB25_76
.LBB25_79:                              ;   in Loop: Header=BB25_3 Depth=1
	s_and_saveexec_b32 s20, s28
	s_cbranch_execz .LBB25_2
; %bb.80:                               ;   in Loop: Header=BB25_3 Depth=1
	v_add_co_u32 v2, vcc_lo, v12, v0
	s_wait_alu 0xfffd
	v_add_co_ci_u32_e64 v3, null, 0, v13, vcc_lo
	v_mov_b32_e32 v4, v1
	s_mov_b32 s21, s12
.LBB25_81:                              ;   Parent Loop BB25_3 Depth=1
                                        ; =>  This Inner Loop Header: Depth=2
	ds_load_b32 v5, v4
	v_add_nc_u32_e32 v4, 0x50, v4
	s_wait_alu 0xfffe
	s_add_co_i32 s21, s21, -1
	s_wait_alu 0xfffe
	s_cmp_lg_u32 s21, 0
	s_wait_dscnt 0x0
	flat_store_b32 v[2:3], v5
	v_add_co_u32 v2, vcc_lo, v2, s18
	s_wait_alu 0xfffd
	v_add_co_ci_u32_e64 v3, null, s19, v3, vcc_lo
	s_cbranch_scc1 .LBB25_81
	s_branch .LBB25_2
.LBB25_82:
	s_endpgm
	.section	.rodata,"a",@progbits
	.p2align	6, 0x0
	.amdhsa_kernel _ZL31rocblas_trsm_small_right_deviceIffPKPKfPKPfLi20EEv13rocblas_fill_18rocblas_operation_17rocblas_diagonal_iiT0_T1_lilT2_lili
		.amdhsa_group_segment_fixed_size 3200
		.amdhsa_private_segment_fixed_size 0
		.amdhsa_kernarg_size 352
		.amdhsa_user_sgpr_count 2
		.amdhsa_user_sgpr_dispatch_ptr 0
		.amdhsa_user_sgpr_queue_ptr 0
		.amdhsa_user_sgpr_kernarg_segment_ptr 1
		.amdhsa_user_sgpr_dispatch_id 0
		.amdhsa_user_sgpr_private_segment_size 0
		.amdhsa_wavefront_size32 1
		.amdhsa_uses_dynamic_stack 0
		.amdhsa_enable_private_segment 0
		.amdhsa_system_sgpr_workgroup_id_x 1
		.amdhsa_system_sgpr_workgroup_id_y 0
		.amdhsa_system_sgpr_workgroup_id_z 1
		.amdhsa_system_sgpr_workgroup_info 0
		.amdhsa_system_vgpr_workitem_id 0
		.amdhsa_next_free_vgpr 121
		.amdhsa_next_free_sgpr 42
		.amdhsa_reserve_vcc 1
		.amdhsa_float_round_mode_32 0
		.amdhsa_float_round_mode_16_64 0
		.amdhsa_float_denorm_mode_32 3
		.amdhsa_float_denorm_mode_16_64 3
		.amdhsa_fp16_overflow 0
		.amdhsa_workgroup_processor_mode 1
		.amdhsa_memory_ordered 1
		.amdhsa_forward_progress 1
		.amdhsa_inst_pref_size 52
		.amdhsa_round_robin_scheduling 0
		.amdhsa_exception_fp_ieee_invalid_op 0
		.amdhsa_exception_fp_denorm_src 0
		.amdhsa_exception_fp_ieee_div_zero 0
		.amdhsa_exception_fp_ieee_overflow 0
		.amdhsa_exception_fp_ieee_underflow 0
		.amdhsa_exception_fp_ieee_inexact 0
		.amdhsa_exception_int_div_zero 0
	.end_amdhsa_kernel
	.section	.text._ZL31rocblas_trsm_small_right_deviceIffPKPKfPKPfLi20EEv13rocblas_fill_18rocblas_operation_17rocblas_diagonal_iiT0_T1_lilT2_lili,"axG",@progbits,_ZL31rocblas_trsm_small_right_deviceIffPKPKfPKPfLi20EEv13rocblas_fill_18rocblas_operation_17rocblas_diagonal_iiT0_T1_lilT2_lili,comdat
.Lfunc_end25:
	.size	_ZL31rocblas_trsm_small_right_deviceIffPKPKfPKPfLi20EEv13rocblas_fill_18rocblas_operation_17rocblas_diagonal_iiT0_T1_lilT2_lili, .Lfunc_end25-_ZL31rocblas_trsm_small_right_deviceIffPKPKfPKPfLi20EEv13rocblas_fill_18rocblas_operation_17rocblas_diagonal_iiT0_T1_lilT2_lili
                                        ; -- End function
	.set _ZL31rocblas_trsm_small_right_deviceIffPKPKfPKPfLi20EEv13rocblas_fill_18rocblas_operation_17rocblas_diagonal_iiT0_T1_lilT2_lili.num_vgpr, 30
	.set _ZL31rocblas_trsm_small_right_deviceIffPKPKfPKPfLi20EEv13rocblas_fill_18rocblas_operation_17rocblas_diagonal_iiT0_T1_lilT2_lili.num_agpr, 0
	.set _ZL31rocblas_trsm_small_right_deviceIffPKPKfPKPfLi20EEv13rocblas_fill_18rocblas_operation_17rocblas_diagonal_iiT0_T1_lilT2_lili.numbered_sgpr, 42
	.set _ZL31rocblas_trsm_small_right_deviceIffPKPKfPKPfLi20EEv13rocblas_fill_18rocblas_operation_17rocblas_diagonal_iiT0_T1_lilT2_lili.num_named_barrier, 0
	.set _ZL31rocblas_trsm_small_right_deviceIffPKPKfPKPfLi20EEv13rocblas_fill_18rocblas_operation_17rocblas_diagonal_iiT0_T1_lilT2_lili.private_seg_size, 0
	.set _ZL31rocblas_trsm_small_right_deviceIffPKPKfPKPfLi20EEv13rocblas_fill_18rocblas_operation_17rocblas_diagonal_iiT0_T1_lilT2_lili.uses_vcc, 1
	.set _ZL31rocblas_trsm_small_right_deviceIffPKPKfPKPfLi20EEv13rocblas_fill_18rocblas_operation_17rocblas_diagonal_iiT0_T1_lilT2_lili.uses_flat_scratch, 0
	.set _ZL31rocblas_trsm_small_right_deviceIffPKPKfPKPfLi20EEv13rocblas_fill_18rocblas_operation_17rocblas_diagonal_iiT0_T1_lilT2_lili.has_dyn_sized_stack, 0
	.set _ZL31rocblas_trsm_small_right_deviceIffPKPKfPKPfLi20EEv13rocblas_fill_18rocblas_operation_17rocblas_diagonal_iiT0_T1_lilT2_lili.has_recursion, 0
	.set _ZL31rocblas_trsm_small_right_deviceIffPKPKfPKPfLi20EEv13rocblas_fill_18rocblas_operation_17rocblas_diagonal_iiT0_T1_lilT2_lili.has_indirect_call, 0
	.section	.AMDGPU.csdata,"",@progbits
; Kernel info:
; codeLenInByte = 6532
; TotalNumSgprs: 44
; NumVgprs: 30
; ScratchSize: 0
; MemoryBound: 0
; FloatMode: 240
; IeeeMode: 1
; LDSByteSize: 3200 bytes/workgroup (compile time only)
; SGPRBlocks: 0
; VGPRBlocks: 15
; NumSGPRsForWavesPerEU: 44
; NumVGPRsForWavesPerEU: 121
; Occupancy: 10
; WaveLimiterHint : 0
; COMPUTE_PGM_RSRC2:SCRATCH_EN: 0
; COMPUTE_PGM_RSRC2:USER_SGPR: 2
; COMPUTE_PGM_RSRC2:TRAP_HANDLER: 0
; COMPUTE_PGM_RSRC2:TGID_X_EN: 1
; COMPUTE_PGM_RSRC2:TGID_Y_EN: 0
; COMPUTE_PGM_RSRC2:TGID_Z_EN: 1
; COMPUTE_PGM_RSRC2:TIDIG_COMP_CNT: 0
	.section	.text._ZL38rocblas_trsm_small_left_device_sharedBILi24ELi24ELb0EffPKPKfPKPfEv13rocblas_fill_18rocblas_operation_17rocblas_diagonal_iiT3_T4_lilT5_lili,"axG",@progbits,_ZL38rocblas_trsm_small_left_device_sharedBILi24ELi24ELb0EffPKPKfPKPfEv13rocblas_fill_18rocblas_operation_17rocblas_diagonal_iiT3_T4_lilT5_lili,comdat
	.globl	_ZL38rocblas_trsm_small_left_device_sharedBILi24ELi24ELb0EffPKPKfPKPfEv13rocblas_fill_18rocblas_operation_17rocblas_diagonal_iiT3_T4_lilT5_lili ; -- Begin function _ZL38rocblas_trsm_small_left_device_sharedBILi24ELi24ELb0EffPKPKfPKPfEv13rocblas_fill_18rocblas_operation_17rocblas_diagonal_iiT3_T4_lilT5_lili
	.p2align	8
	.type	_ZL38rocblas_trsm_small_left_device_sharedBILi24ELi24ELb0EffPKPKfPKPfEv13rocblas_fill_18rocblas_operation_17rocblas_diagonal_iiT3_T4_lilT5_lili,@function
_ZL38rocblas_trsm_small_left_device_sharedBILi24ELi24ELb0EffPKPKfPKPfEv13rocblas_fill_18rocblas_operation_17rocblas_diagonal_iiT3_T4_lilT5_lili: ; @_ZL38rocblas_trsm_small_left_device_sharedBILi24ELi24ELb0EffPKPKfPKPfEv13rocblas_fill_18rocblas_operation_17rocblas_diagonal_iiT3_T4_lilT5_lili
; %bb.0:
	s_load_b32 s24, s[0:1], 0x58
	s_lshr_b32 s2, ttmp7, 16
	s_wait_kmcnt 0x0
	s_cmp_ge_u32 s2, s24
	s_cbranch_scc1 .LBB26_57
; %bb.1:
	s_clause 0x6
	s_load_b32 s18, s[0:1], 0x28
	s_load_b32 s20, s[0:1], 0x48
	s_load_b128 s[12:15], s[0:1], 0x4
	s_load_b32 s3, s[0:1], 0x60
	s_load_b128 s[4:7], s[0:1], 0x18
	s_load_b128 s[8:11], s[0:1], 0x38
	s_load_b32 s1, s[0:1], 0x14
	s_mul_i32 s0, ttmp9, 0xffffffe8
	v_mov_b32_e32 v1, 0
	s_mul_i32 s22, ttmp9, 24
	v_lshlrev_b32_e32 v69, 2, v0
	v_mul_u32_u24_e32 v27, 0x60, v0
	s_mov_b32 s17, 0
	s_wait_kmcnt 0x0
	s_ashr_i32 s19, s18, 31
	v_mad_co_i64_i32 v[25:26], null, s20, v0, 0
	s_min_i32 s25, s14, 24
	s_add_co_i32 s3, s3, -1
	s_ashr_i32 s21, s20, 31
	s_add_co_i32 s15, s15, s0
	s_add_co_i32 s26, s25, -1
	s_cmp_ge_u32 ttmp9, s3
	v_cmp_gt_i32_e64 s0, s25, v0
	s_cselect_b32 s3, s15, 24
	s_ashr_i32 s23, s22, 31
	s_cmp_lg_u32 s13, 0x84
	v_cmp_gt_i32_e32 vcc_lo, s3, v0
	v_lshlrev_b32_e32 v0, 2, v0
	v_dual_mov_b32 v2, v1 :: v_dual_mov_b32 v3, v1
	v_dual_mov_b32 v4, v1 :: v_dual_mov_b32 v5, v1
	;; [unrolled: 1-line block ×11, first 2 shown]
	v_mov_b32_e32 v24, v1
	s_cselect_b32 s27, -1, 0
	s_cmp_gt_i32 s14, 0
	v_add_nc_u32_e32 v70, v69, v27
	v_lshlrev_b64_e32 v[67:68], 2, v[25:26]
	v_mov_b32_e32 v33, v32
	v_or_b32_e32 v66, 0x900, v69
	v_mov_b32_e32 v32, v31
	v_mov_b32_e32 v31, v30
	;; [unrolled: 1-line block ×31, first 2 shown]
	s_wait_alu 0xfffe
	s_mul_u64 s[20:21], s[20:21], s[22:23]
	s_cselect_b32 s3, -1, 0
	s_cmp_lg_u32 s12, 0x6f
	s_mul_i32 s30, s25, 0x60
	s_cselect_b32 s28, -1, 0
	s_wait_alu 0xfffe
	s_and_b32 s29, vcc_lo, s3
	s_lshl_b64 s[12:13], s[18:19], 2
	s_addk_co_i32 s30, 0xffa0
	s_lshl_b64 s[6:7], s[6:7], 2
	s_lshl_b64 s[10:11], s[10:11], 2
	;; [unrolled: 1-line block ×3, first 2 shown]
	s_branch .LBB26_3
.LBB26_2:                               ;   in Loop: Header=BB26_3 Depth=1
	s_wait_alu 0xfffe
	s_or_b32 exec_lo, exec_lo, s3
	v_dual_mov_b32 v2, v34 :: v_dual_mov_b32 v3, v35
	v_dual_mov_b32 v4, v36 :: v_dual_mov_b32 v5, v37
	;; [unrolled: 1-line block ×16, first 2 shown]
	s_add_co_i32 s2, s2, 0x10000
	s_wait_alu 0xfffe
	s_cmp_lt_u32 s2, s24
	s_cbranch_scc0 .LBB26_57
.LBB26_3:                               ; =>This Loop Header: Depth=1
                                        ;     Child Loop BB26_5 Depth 2
                                        ;     Child Loop BB26_11 Depth 2
	;; [unrolled: 1-line block ×3, first 2 shown]
                                        ;       Child Loop BB26_17 Depth 3
                                        ;         Child Loop BB26_18 Depth 4
                                        ;         Child Loop BB26_21 Depth 4
                                        ;           Child Loop BB26_22 Depth 5
                                        ;         Child Loop BB26_27 Depth 4
                                        ;           Child Loop BB26_29 Depth 5
                                        ;     Child Loop BB26_35 Depth 2
                                        ;       Child Loop BB26_38 Depth 3
                                        ;         Child Loop BB26_39 Depth 4
                                        ;         Child Loop BB26_41 Depth 4
                                        ;           Child Loop BB26_42 Depth 5
                                        ;         Child Loop BB26_47 Depth 4
                                        ;           Child Loop BB26_49 Depth 5
                                        ;     Child Loop BB26_56 Depth 2
	s_mov_b32 s3, s17
	s_wait_alu 0xfffe
	s_lshl_b64 s[18:19], s[2:3], 3
	s_delay_alu instid0(SALU_CYCLE_1)
	s_add_nc_u64 s[20:21], s[8:9], s[18:19]
	global_load_b64 v[34:35], v1, s[20:21]
	s_and_saveexec_b32 s3, s0
	s_cbranch_execz .LBB26_9
; %bb.4:                                ;   in Loop: Header=BB26_3 Depth=1
	s_add_nc_u64 s[18:19], s[4:5], s[18:19]
	v_mov_b32_e32 v38, v69
	global_load_b64 v[36:37], v1, s[18:19]
	s_mov_b32 s16, s25
	s_wait_loadcnt 0x0
	v_add_co_u32 v36, vcc_lo, v36, s6
	s_wait_alu 0xfffd
	v_add_co_ci_u32_e64 v37, null, s7, v37, vcc_lo
	s_delay_alu instid0(VALU_DEP_2) | instskip(SKIP_1) | instid1(VALU_DEP_2)
	v_add_co_u32 v36, vcc_lo, v36, v0
	s_wait_alu 0xfffd
	v_add_co_ci_u32_e64 v37, null, 0, v37, vcc_lo
.LBB26_5:                               ;   Parent Loop BB26_3 Depth=1
                                        ; =>  This Inner Loop Header: Depth=2
	flat_load_b32 v39, v[36:37]
	v_add_co_u32 v36, vcc_lo, v36, s12
	s_wait_alu 0xfffd
	v_add_co_ci_u32_e64 v37, null, s13, v37, vcc_lo
	s_add_co_i32 s16, s16, -1
	s_delay_alu instid0(SALU_CYCLE_1)
	s_cmp_eq_u32 s16, 0
	s_wait_loadcnt_dscnt 0x0
	ds_store_b32 v38, v39
	v_add_nc_u32_e32 v38, 0x60, v38
	s_cbranch_scc0 .LBB26_5
; %bb.6:                                ;   in Loop: Header=BB26_3 Depth=1
	v_mov_b32_e32 v36, 1.0
	s_and_b32 vcc_lo, exec_lo, s27
	s_wait_alu 0xfffe
	s_cbranch_vccz .LBB26_8
; %bb.7:                                ;   in Loop: Header=BB26_3 Depth=1
	ds_load_b32 v36, v70
	s_wait_dscnt 0x0
	v_div_scale_f32 v37, null, v36, v36, 1.0
	s_delay_alu instid0(VALU_DEP_1) | instskip(NEXT) | instid1(TRANS32_DEP_1)
	v_rcp_f32_e32 v38, v37
	v_fma_f32 v39, -v37, v38, 1.0
	s_delay_alu instid0(VALU_DEP_1) | instskip(SKIP_1) | instid1(VALU_DEP_1)
	v_fmac_f32_e32 v38, v39, v38
	v_div_scale_f32 v39, vcc_lo, 1.0, v36, 1.0
	v_mul_f32_e32 v40, v39, v38
	s_delay_alu instid0(VALU_DEP_1) | instskip(NEXT) | instid1(VALU_DEP_1)
	v_fma_f32 v41, -v37, v40, v39
	v_fmac_f32_e32 v40, v41, v38
	s_delay_alu instid0(VALU_DEP_1) | instskip(SKIP_1) | instid1(VALU_DEP_1)
	v_fma_f32 v37, -v37, v40, v39
	s_wait_alu 0xfffd
	v_div_fmas_f32 v37, v37, v38, v40
	s_delay_alu instid0(VALU_DEP_1)
	v_div_fixup_f32 v36, v37, v36, 1.0
.LBB26_8:                               ;   in Loop: Header=BB26_3 Depth=1
	ds_store_b32 v70, v36
.LBB26_9:                               ;   in Loop: Header=BB26_3 Depth=1
	s_wait_alu 0xfffe
	s_or_b32 exec_lo, exec_lo, s3
	s_wait_loadcnt 0x0
	v_add_co_u32 v34, vcc_lo, v34, s10
	s_wait_alu 0xfffd
	v_add_co_ci_u32_e64 v35, null, s11, v35, vcc_lo
	s_delay_alu instid0(VALU_DEP_2) | instskip(SKIP_1) | instid1(VALU_DEP_2)
	v_add_co_u32 v71, vcc_lo, v34, s14
	s_wait_alu 0xfffd
	v_add_co_ci_u32_e64 v72, null, s15, v35, vcc_lo
	s_and_saveexec_b32 s3, s29
	s_cbranch_execz .LBB26_12
; %bb.10:                               ;   in Loop: Header=BB26_3 Depth=1
	v_add_co_u32 v34, vcc_lo, v71, v67
	s_wait_alu 0xfffd
	v_add_co_ci_u32_e64 v35, null, v72, v68, vcc_lo
	v_mov_b32_e32 v36, v66
	s_mov_b32 s16, s25
.LBB26_11:                              ;   Parent Loop BB26_3 Depth=1
                                        ; =>  This Inner Loop Header: Depth=2
	flat_load_b32 v37, v[34:35]
	v_add_co_u32 v34, vcc_lo, v34, 4
	s_wait_alu 0xfffd
	v_add_co_ci_u32_e64 v35, null, 0, v35, vcc_lo
	s_add_co_i32 s16, s16, -1
	s_delay_alu instid0(SALU_CYCLE_1)
	s_cmp_lg_u32 s16, 0
	s_wait_loadcnt_dscnt 0x0
	v_mul_f32_e32 v37, s1, v37
	ds_store_b32 v36, v37
	v_add_nc_u32_e32 v36, 0x60, v36
	s_cbranch_scc1 .LBB26_11
.LBB26_12:                              ;   in Loop: Header=BB26_3 Depth=1
	s_wait_alu 0xfffe
	s_or_b32 exec_lo, exec_lo, s3
	s_delay_alu instid0(SALU_CYCLE_1)
	s_and_not1_b32 vcc_lo, exec_lo, s28
	s_mov_b32 s3, -1
	s_wait_dscnt 0x0
	; wave barrier
	global_inv scope:SCOPE_SE
                                        ; implicit-def: $vgpr34_vgpr35_vgpr36_vgpr37_vgpr38_vgpr39_vgpr40_vgpr41_vgpr42_vgpr43_vgpr44_vgpr45_vgpr46_vgpr47_vgpr48_vgpr49_vgpr50_vgpr51_vgpr52_vgpr53_vgpr54_vgpr55_vgpr56_vgpr57_vgpr58_vgpr59_vgpr60_vgpr61_vgpr62_vgpr63_vgpr64_vgpr65
	s_wait_alu 0xfffe
	s_cbranch_vccnz .LBB26_33
; %bb.13:                               ;   in Loop: Header=BB26_3 Depth=1
	v_dual_mov_b32 v65, v33 :: v_dual_mov_b32 v64, v32
	v_dual_mov_b32 v63, v31 :: v_dual_mov_b32 v62, v30
	;; [unrolled: 1-line block ×16, first 2 shown]
	s_mov_b32 s16, 0
	s_delay_alu instid0(SALU_CYCLE_1)
	s_mov_b32 s3, s16
.LBB26_14:                              ;   Parent Loop BB26_3 Depth=1
                                        ; =>  This Loop Header: Depth=2
                                        ;       Child Loop BB26_17 Depth 3
                                        ;         Child Loop BB26_18 Depth 4
                                        ;         Child Loop BB26_21 Depth 4
                                        ;           Child Loop BB26_22 Depth 5
                                        ;         Child Loop BB26_27 Depth 4
                                        ;           Child Loop BB26_29 Depth 5
	s_getpc_b64 s[18:19]
	s_sext_i32_i16 s19, s19
	s_add_co_u32 s18, s18, __const._ZL38rocblas_trsm_small_left_device_sharedBILi24ELi24ELb0EffPKPKfPKPfEv13rocblas_fill_18rocblas_operation_17rocblas_diagonal_iiT3_T4_lilT5_lili.step_sizes@rel32@lo+8
	s_add_co_ci_u32 s19, s19, __const._ZL38rocblas_trsm_small_left_device_sharedBILi24ELi24ELb0EffPKPKfPKPfEv13rocblas_fill_18rocblas_operation_17rocblas_diagonal_iiT3_T4_lilT5_lili.step_sizes@rel32@hi+16
	s_lshl_b64 s[20:21], s[16:17], 2
	s_wait_alu 0xfffe
	s_add_nc_u64 s[18:19], s[18:19], s[20:21]
	s_load_b32 s31, s[18:19], 0x0
	s_wait_kmcnt 0x0
	s_add_co_i32 s33, s31, -1
	s_wait_alu 0xfffe
	s_add_co_i32 s18, s33, s3
	s_delay_alu instid0(SALU_CYCLE_1)
	s_cmp_ge_i32 s18, s25
	s_cbranch_scc1 .LBB26_30
; %bb.15:                               ;   in Loop: Header=BB26_14 Depth=2
	s_mul_i32 s34, s3, 0x60
	s_max_i32 s35, s31, 1
	s_wait_alu 0xfffe
	v_add_nc_u32_e32 v73, s34, v66
	s_mul_i32 s36, s31, 0x60
	s_mul_i32 s37, s3, 0x64
	;; [unrolled: 1-line block ×3, first 2 shown]
	s_branch .LBB26_17
.LBB26_16:                              ;   in Loop: Header=BB26_17 Depth=3
	s_add_co_i32 s3, s3, s31
	v_add_nc_u32_e32 v73, s36, v73
	s_wait_alu 0xfffe
	s_add_co_i32 s18, s33, s3
	s_add_co_i32 s34, s34, s36
	;; [unrolled: 1-line block ×3, first 2 shown]
	s_cmp_ge_i32 s18, s25
	s_cbranch_scc1 .LBB26_30
.LBB26_17:                              ;   Parent Loop BB26_3 Depth=1
                                        ;     Parent Loop BB26_14 Depth=2
                                        ; =>    This Loop Header: Depth=3
                                        ;         Child Loop BB26_18 Depth 4
                                        ;         Child Loop BB26_21 Depth 4
                                        ;           Child Loop BB26_22 Depth 5
                                        ;         Child Loop BB26_27 Depth 4
                                        ;           Child Loop BB26_29 Depth 5
	v_mov_b32_e32 v74, v73
	s_mov_b64 s[18:19], 0
.LBB26_18:                              ;   Parent Loop BB26_3 Depth=1
                                        ;     Parent Loop BB26_14 Depth=2
                                        ;       Parent Loop BB26_17 Depth=3
                                        ; =>      This Inner Loop Header: Depth=4
	ds_load_b32 v75, v74
	v_add_nc_u32_e32 v74, 0x60, v74
	s_mov_b32 m0, s18
	s_add_nc_u64 s[18:19], s[18:19], 1
	s_delay_alu instid0(SALU_CYCLE_1)
	s_cmp_eq_u32 s35, s18
	s_wait_dscnt 0x0
	v_movreld_b32_e32 v34, v75
	s_cbranch_scc0 .LBB26_18
; %bb.19:                               ;   in Loop: Header=BB26_17 Depth=3
	s_cmp_lt_i32 s3, 1
	s_cbranch_scc1 .LBB26_24
; %bb.20:                               ;   in Loop: Header=BB26_17 Depth=3
	s_mov_b32 s20, 0
	s_wait_alu 0xfffe
	s_mov_b32 s21, s34
.LBB26_21:                              ;   Parent Loop BB26_3 Depth=1
                                        ;     Parent Loop BB26_14 Depth=2
                                        ;       Parent Loop BB26_17 Depth=3
                                        ; =>      This Loop Header: Depth=4
                                        ;           Child Loop BB26_22 Depth 5
	s_wait_alu 0xfffe
	v_mad_co_u64_u32 v[74:75], null, 0x60, s20, v[66:67]
	s_mov_b64 s[18:19], 0
	s_mov_b32 s22, s21
	ds_load_b32 v74, v74
.LBB26_22:                              ;   Parent Loop BB26_3 Depth=1
                                        ;     Parent Loop BB26_14 Depth=2
                                        ;       Parent Loop BB26_17 Depth=3
                                        ;         Parent Loop BB26_21 Depth=4
                                        ; =>        This Inner Loop Header: Depth=5
	s_wait_alu 0xfffe
	v_mov_b32_e32 v75, s22
	s_mov_b32 m0, s18
	s_add_nc_u64 s[18:19], s[18:19], 1
	v_movrels_b32_e32 v76, v34
	s_addk_co_i32 s22, 0x60
	ds_load_b32 v75, v75
	s_cmp_eq_u32 s35, s18
	s_wait_dscnt 0x0
	v_fma_f32 v75, -v74, v75, v76
	s_delay_alu instid0(VALU_DEP_1)
	v_movreld_b32_e32 v34, v75
	s_cbranch_scc0 .LBB26_22
; %bb.23:                               ;   in Loop: Header=BB26_21 Depth=4
	s_add_co_i32 s20, s20, 1
	s_add_co_i32 s21, s21, 4
	s_wait_alu 0xfffe
	s_cmp_eq_u32 s20, s3
	s_cbranch_scc0 .LBB26_21
.LBB26_24:                              ;   in Loop: Header=BB26_17 Depth=3
	s_mul_i32 s39, s3, 0x60
	s_mov_b64 s[18:19], 0
	s_wait_alu 0xfffe
	s_mov_b32 s40, s37
	s_branch .LBB26_27
.LBB26_25:                              ;   in Loop: Header=BB26_27 Depth=4
	s_mov_b32 s42, s3
	s_mov_b64 s[20:21], 0
	s_mov_b32 s41, s39
.LBB26_26:                              ;   in Loop: Header=BB26_27 Depth=4
	s_wait_alu 0xfffe
	s_mov_b32 m0, s20
	s_mul_i32 s20, s42, 0x64
	v_movrels_b32_e32 v75, v34
	s_wait_alu 0xfffe
	v_mov_b32_e32 v74, s20
	s_add_nc_u64 s[18:19], s[18:19], 1
	s_addk_co_i32 s40, 0x60
	s_cmp_eq_u32 s18, s35
	ds_load_b32 v74, v74
	s_wait_dscnt 0x0
	v_mul_f32_e32 v74, v75, v74
	v_add_nc_u32_e32 v75, s41, v66
	s_delay_alu instid0(VALU_DEP_2)
	v_movreld_b32_e32 v34, v74
	ds_store_b32 v75, v74
	s_cbranch_scc1 .LBB26_16
.LBB26_27:                              ;   Parent Loop BB26_3 Depth=1
                                        ;     Parent Loop BB26_14 Depth=2
                                        ;       Parent Loop BB26_17 Depth=3
                                        ; =>      This Loop Header: Depth=4
                                        ;           Child Loop BB26_29 Depth 5
	s_cmp_eq_u32 s18, 0
	s_cbranch_scc1 .LBB26_25
; %bb.28:                               ;   in Loop: Header=BB26_27 Depth=4
	s_add_co_i32 s42, s18, s3
	s_mov_b64 s[20:21], s[18:19]
	s_mov_b64 s[22:23], 0
	s_mul_i32 s41, s42, 0x60
	s_wait_alu 0xfffe
	s_mov_b32 s21, s40
.LBB26_29:                              ;   Parent Loop BB26_3 Depth=1
                                        ;     Parent Loop BB26_14 Depth=2
                                        ;       Parent Loop BB26_17 Depth=3
                                        ;         Parent Loop BB26_27 Depth=4
                                        ; =>        This Inner Loop Header: Depth=5
	s_wait_alu 0xfffe
	v_mov_b32_e32 v74, s21
	s_mov_b32 m0, s22
	s_add_nc_u64 s[22:23], s[22:23], 1
	v_movrels_b32_e32 v75, v34
	s_mov_b32 m0, s18
	ds_load_b32 v74, v74
	v_movrels_b32_e32 v76, v34
	s_add_co_i32 s21, s21, 4
	s_wait_alu 0xfffe
	s_cmp_eq_u32 s18, s22
	s_wait_dscnt 0x0
	v_fma_f32 v74, -v75, v74, v76
	s_delay_alu instid0(VALU_DEP_1)
	v_movreld_b32_e32 v34, v74
	s_cbranch_scc0 .LBB26_29
	s_branch .LBB26_26
.LBB26_30:                              ;   in Loop: Header=BB26_14 Depth=2
	s_cmp_lt_i32 s3, s25
	s_cselect_b32 s19, -1, 0
	s_add_co_i32 s18, s16, 1
	s_cmp_lt_u32 s16, 2
	s_cselect_b32 s16, -1, 0
	s_delay_alu instid0(SALU_CYCLE_1) | instskip(NEXT) | instid1(SALU_CYCLE_1)
	s_and_b32 s16, s19, s16
	s_and_b32 vcc_lo, exec_lo, s16
	s_wait_alu 0xfffe
	s_cbranch_vccz .LBB26_32
; %bb.31:                               ;   in Loop: Header=BB26_14 Depth=2
	s_mov_b32 s16, s18
	s_branch .LBB26_14
.LBB26_32:                              ;   in Loop: Header=BB26_3 Depth=1
	s_mov_b32 s3, 0
.LBB26_33:                              ;   in Loop: Header=BB26_3 Depth=1
	s_wait_alu 0xfffe
	s_and_b32 vcc_lo, exec_lo, s3
	s_wait_alu 0xfffe
	s_cbranch_vccz .LBB26_54
; %bb.34:                               ;   in Loop: Header=BB26_3 Depth=1
	s_mov_b32 s16, 0
	s_mov_b32 s3, s26
.LBB26_35:                              ;   Parent Loop BB26_3 Depth=1
                                        ; =>  This Loop Header: Depth=2
                                        ;       Child Loop BB26_38 Depth 3
                                        ;         Child Loop BB26_39 Depth 4
                                        ;         Child Loop BB26_41 Depth 4
                                        ;           Child Loop BB26_42 Depth 5
                                        ;         Child Loop BB26_47 Depth 4
                                        ;           Child Loop BB26_49 Depth 5
	s_getpc_b64 s[18:19]
	s_sext_i32_i16 s19, s19
	s_add_co_u32 s18, s18, __const._ZL38rocblas_trsm_small_left_device_sharedBILi24ELi24ELb0EffPKPKfPKPfEv13rocblas_fill_18rocblas_operation_17rocblas_diagonal_iiT3_T4_lilT5_lili.step_sizes@rel32@lo+8
	s_add_co_ci_u32 s19, s19, __const._ZL38rocblas_trsm_small_left_device_sharedBILi24ELi24ELb0EffPKPKfPKPfEv13rocblas_fill_18rocblas_operation_17rocblas_diagonal_iiT3_T4_lilT5_lili.step_sizes@rel32@hi+16
	s_lshl_b64 s[20:21], s[16:17], 2
	s_wait_alu 0xfffe
	s_add_nc_u64 s[18:19], s[18:19], s[20:21]
	s_load_b32 s22, s[18:19], 0x0
	s_wait_kmcnt 0x0
	s_add_co_i32 s23, s22, -1
	s_wait_alu 0xfffe
	s_cmp_lt_i32 s3, s23
	s_cbranch_scc1 .LBB26_51
; %bb.36:                               ;   in Loop: Header=BB26_35 Depth=2
	v_mad_co_u64_u32 v[34:35], null, 0x60, s3, v[66:67]
	s_lshl_b32 s18, s3, 2
	s_lshl_b32 s19, s22, 2
	s_max_i32 s31, s22, 1
	s_mul_i32 s33, s22, 0xffffffa0
	s_add_co_i32 s34, s30, s18
	s_sub_co_i32 s35, 0, s19
	s_mul_i32 s36, s3, 0x64
	s_mul_i32 s37, s22, 0xffffff9c
	s_branch .LBB26_38
.LBB26_37:                              ;   in Loop: Header=BB26_38 Depth=3
	v_add_nc_u32_e32 v34, s33, v34
	s_sub_co_i32 s3, s3, s22
	s_add_co_i32 s34, s34, s35
	s_add_co_i32 s36, s36, s37
	s_wait_alu 0xfffe
	s_cmp_lt_i32 s3, s23
	s_cbranch_scc1 .LBB26_51
.LBB26_38:                              ;   Parent Loop BB26_3 Depth=1
                                        ;     Parent Loop BB26_35 Depth=2
                                        ; =>    This Loop Header: Depth=3
                                        ;         Child Loop BB26_39 Depth 4
                                        ;         Child Loop BB26_41 Depth 4
                                        ;           Child Loop BB26_42 Depth 5
                                        ;         Child Loop BB26_47 Depth 4
                                        ;           Child Loop BB26_49 Depth 5
	v_mov_b32_e32 v35, v34
	s_mov_b64 s[18:19], 0
.LBB26_39:                              ;   Parent Loop BB26_3 Depth=1
                                        ;     Parent Loop BB26_35 Depth=2
                                        ;       Parent Loop BB26_38 Depth=3
                                        ; =>      This Inner Loop Header: Depth=4
	ds_load_b32 v36, v35
	v_add_nc_u32_e32 v35, 0xffffffa0, v35
	s_mov_b32 m0, s18
	s_add_nc_u64 s[18:19], s[18:19], 1
	s_delay_alu instid0(SALU_CYCLE_1)
	s_cmp_eq_u32 s31, s18
	s_wait_dscnt 0x0
	v_movreld_b32_e32 v2, v36
	s_cbranch_scc0 .LBB26_39
; %bb.40:                               ;   in Loop: Header=BB26_38 Depth=3
	s_cmp_le_i32 s26, s3
	s_wait_alu 0xfffe
	s_mov_b32 s20, s34
	s_mov_b32 s21, s26
	s_cbranch_scc1 .LBB26_44
.LBB26_41:                              ;   Parent Loop BB26_3 Depth=1
                                        ;     Parent Loop BB26_35 Depth=2
                                        ;       Parent Loop BB26_38 Depth=3
                                        ; =>      This Loop Header: Depth=4
                                        ;           Child Loop BB26_42 Depth 5
	s_wait_alu 0xfffe
	v_mad_co_u64_u32 v[35:36], null, 0x60, s21, v[66:67]
	s_mov_b64 s[18:19], 0
	s_mov_b32 s38, s20
	ds_load_b32 v35, v35
.LBB26_42:                              ;   Parent Loop BB26_3 Depth=1
                                        ;     Parent Loop BB26_35 Depth=2
                                        ;       Parent Loop BB26_38 Depth=3
                                        ;         Parent Loop BB26_41 Depth=4
                                        ; =>        This Inner Loop Header: Depth=5
	s_wait_alu 0xfffe
	v_mov_b32_e32 v36, s38
	s_mov_b32 m0, s18
	s_add_nc_u64 s[18:19], s[18:19], 1
	v_movrels_b32_e32 v37, v2
	s_add_co_i32 s38, s38, -4
	ds_load_b32 v36, v36
	s_cmp_eq_u32 s31, s18
	s_wait_dscnt 0x0
	v_fma_f32 v36, -v35, v36, v37
	s_delay_alu instid0(VALU_DEP_1)
	v_movreld_b32_e32 v2, v36
	s_cbranch_scc0 .LBB26_42
; %bb.43:                               ;   in Loop: Header=BB26_41 Depth=4
	s_add_co_i32 s21, s21, -1
	s_addk_co_i32 s20, 0xffa0
	s_wait_alu 0xfffe
	s_cmp_le_i32 s21, s3
	s_cbranch_scc0 .LBB26_41
.LBB26_44:                              ;   in Loop: Header=BB26_38 Depth=3
	s_mov_b64 s[18:19], 0
	s_mov_b32 s38, s36
	s_branch .LBB26_47
.LBB26_45:                              ;   in Loop: Header=BB26_47 Depth=4
	s_mov_b32 s39, s3
	s_mov_b64 s[20:21], 0
.LBB26_46:                              ;   in Loop: Header=BB26_47 Depth=4
	s_wait_alu 0xfffe
	s_mov_b32 m0, s20
	s_mul_i32 s20, s39, 0x64
	v_movrels_b32_e32 v36, v2
	s_wait_alu 0xfffe
	v_mov_b32_e32 v35, s20
	s_add_nc_u64 s[18:19], s[18:19], 1
	s_add_co_i32 s38, s38, -4
	s_cmp_eq_u32 s18, s31
	ds_load_b32 v35, v35
	s_wait_dscnt 0x0
	v_mul_f32_e32 v37, v36, v35
	v_mad_co_u64_u32 v[35:36], null, 0x60, s39, v[66:67]
	s_delay_alu instid0(VALU_DEP_2)
	v_movreld_b32_e32 v2, v37
	ds_store_b32 v35, v37
	s_cbranch_scc1 .LBB26_37
.LBB26_47:                              ;   Parent Loop BB26_3 Depth=1
                                        ;     Parent Loop BB26_35 Depth=2
                                        ;       Parent Loop BB26_38 Depth=3
                                        ; =>      This Loop Header: Depth=4
                                        ;           Child Loop BB26_49 Depth 5
	s_cmp_eq_u32 s18, 0
	s_cbranch_scc1 .LBB26_45
; %bb.48:                               ;   in Loop: Header=BB26_47 Depth=4
	s_sub_co_i32 s39, s3, s18
	s_mov_b64 s[20:21], 0
	s_wait_alu 0xfffe
	s_mov_b32 s40, s38
.LBB26_49:                              ;   Parent Loop BB26_3 Depth=1
                                        ;     Parent Loop BB26_35 Depth=2
                                        ;       Parent Loop BB26_38 Depth=3
                                        ;         Parent Loop BB26_47 Depth=4
                                        ; =>        This Inner Loop Header: Depth=5
	s_wait_alu 0xfffe
	v_mov_b32_e32 v35, s40
	s_mov_b32 m0, s20
	s_add_nc_u64 s[20:21], s[20:21], 1
	v_movrels_b32_e32 v36, v2
	s_mov_b32 m0, s18
	ds_load_b32 v35, v35
	v_movrels_b32_e32 v37, v2
	s_addk_co_i32 s40, 0xffa0
	s_wait_alu 0xfffe
	s_cmp_eq_u32 s18, s20
	s_wait_dscnt 0x0
	v_fma_f32 v35, -v36, v35, v37
	s_delay_alu instid0(VALU_DEP_1)
	v_movreld_b32_e32 v2, v35
	s_cbranch_scc0 .LBB26_49
; %bb.50:                               ;   in Loop: Header=BB26_47 Depth=4
	s_mov_b64 s[20:21], s[18:19]
	s_branch .LBB26_46
.LBB26_51:                              ;   in Loop: Header=BB26_35 Depth=2
	s_cmp_gt_i32 s3, -1
	s_cselect_b32 s19, -1, 0
	s_add_co_i32 s18, s16, 1
	s_cmp_lt_u32 s16, 2
	s_cselect_b32 s16, -1, 0
	s_delay_alu instid0(SALU_CYCLE_1) | instskip(NEXT) | instid1(SALU_CYCLE_1)
	s_and_b32 s16, s19, s16
	s_and_not1_b32 vcc_lo, exec_lo, s16
	s_wait_alu 0xfffe
	s_cbranch_vccnz .LBB26_53
; %bb.52:                               ;   in Loop: Header=BB26_35 Depth=2
	s_mov_b32 s16, s18
	s_branch .LBB26_35
.LBB26_53:                              ;   in Loop: Header=BB26_3 Depth=1
	v_dual_mov_b32 v65, v33 :: v_dual_mov_b32 v64, v32
	v_dual_mov_b32 v63, v31 :: v_dual_mov_b32 v62, v30
	;; [unrolled: 1-line block ×16, first 2 shown]
.LBB26_54:                              ;   in Loop: Header=BB26_3 Depth=1
	; wave barrier
	s_wait_loadcnt_dscnt 0x0
	global_inv scope:SCOPE_SE
	s_and_saveexec_b32 s3, s29
	s_cbranch_execz .LBB26_2
; %bb.55:                               ;   in Loop: Header=BB26_3 Depth=1
	v_add_co_u32 v2, vcc_lo, v71, v67
	s_wait_alu 0xfffd
	v_add_co_ci_u32_e64 v3, null, v72, v68, vcc_lo
	v_mov_b32_e32 v4, v66
	s_mov_b32 s16, s25
.LBB26_56:                              ;   Parent Loop BB26_3 Depth=1
                                        ; =>  This Inner Loop Header: Depth=2
	ds_load_b32 v5, v4
	v_add_nc_u32_e32 v4, 0x60, v4
	s_add_co_i32 s16, s16, -1
	s_delay_alu instid0(SALU_CYCLE_1)
	s_cmp_lg_u32 s16, 0
	s_wait_dscnt 0x0
	flat_store_b32 v[2:3], v5
	v_add_co_u32 v2, vcc_lo, v2, 4
	s_wait_alu 0xfffd
	v_add_co_ci_u32_e64 v3, null, 0, v3, vcc_lo
	s_cbranch_scc1 .LBB26_56
	s_branch .LBB26_2
.LBB26_57:
	s_endpgm
	.section	.rodata,"a",@progbits
	.p2align	6, 0x0
	.amdhsa_kernel _ZL38rocblas_trsm_small_left_device_sharedBILi24ELi24ELb0EffPKPKfPKPfEv13rocblas_fill_18rocblas_operation_17rocblas_diagonal_iiT3_T4_lilT5_lili
		.amdhsa_group_segment_fixed_size 4608
		.amdhsa_private_segment_fixed_size 0
		.amdhsa_kernarg_size 352
		.amdhsa_user_sgpr_count 2
		.amdhsa_user_sgpr_dispatch_ptr 0
		.amdhsa_user_sgpr_queue_ptr 0
		.amdhsa_user_sgpr_kernarg_segment_ptr 1
		.amdhsa_user_sgpr_dispatch_id 0
		.amdhsa_user_sgpr_private_segment_size 0
		.amdhsa_wavefront_size32 1
		.amdhsa_uses_dynamic_stack 0
		.amdhsa_enable_private_segment 0
		.amdhsa_system_sgpr_workgroup_id_x 1
		.amdhsa_system_sgpr_workgroup_id_y 0
		.amdhsa_system_sgpr_workgroup_id_z 1
		.amdhsa_system_sgpr_workgroup_info 0
		.amdhsa_system_vgpr_workitem_id 0
		.amdhsa_next_free_vgpr 193
		.amdhsa_next_free_sgpr 43
		.amdhsa_reserve_vcc 1
		.amdhsa_float_round_mode_32 0
		.amdhsa_float_round_mode_16_64 0
		.amdhsa_float_denorm_mode_32 3
		.amdhsa_float_denorm_mode_16_64 3
		.amdhsa_fp16_overflow 0
		.amdhsa_workgroup_processor_mode 1
		.amdhsa_memory_ordered 1
		.amdhsa_forward_progress 1
		.amdhsa_inst_pref_size 22
		.amdhsa_round_robin_scheduling 0
		.amdhsa_exception_fp_ieee_invalid_op 0
		.amdhsa_exception_fp_denorm_src 0
		.amdhsa_exception_fp_ieee_div_zero 0
		.amdhsa_exception_fp_ieee_overflow 0
		.amdhsa_exception_fp_ieee_underflow 0
		.amdhsa_exception_fp_ieee_inexact 0
		.amdhsa_exception_int_div_zero 0
	.end_amdhsa_kernel
	.section	.text._ZL38rocblas_trsm_small_left_device_sharedBILi24ELi24ELb0EffPKPKfPKPfEv13rocblas_fill_18rocblas_operation_17rocblas_diagonal_iiT3_T4_lilT5_lili,"axG",@progbits,_ZL38rocblas_trsm_small_left_device_sharedBILi24ELi24ELb0EffPKPKfPKPfEv13rocblas_fill_18rocblas_operation_17rocblas_diagonal_iiT3_T4_lilT5_lili,comdat
.Lfunc_end26:
	.size	_ZL38rocblas_trsm_small_left_device_sharedBILi24ELi24ELb0EffPKPKfPKPfEv13rocblas_fill_18rocblas_operation_17rocblas_diagonal_iiT3_T4_lilT5_lili, .Lfunc_end26-_ZL38rocblas_trsm_small_left_device_sharedBILi24ELi24ELb0EffPKPKfPKPfEv13rocblas_fill_18rocblas_operation_17rocblas_diagonal_iiT3_T4_lilT5_lili
                                        ; -- End function
	.set _ZL38rocblas_trsm_small_left_device_sharedBILi24ELi24ELb0EffPKPKfPKPfEv13rocblas_fill_18rocblas_operation_17rocblas_diagonal_iiT3_T4_lilT5_lili.num_vgpr, 77
	.set _ZL38rocblas_trsm_small_left_device_sharedBILi24ELi24ELb0EffPKPKfPKPfEv13rocblas_fill_18rocblas_operation_17rocblas_diagonal_iiT3_T4_lilT5_lili.num_agpr, 0
	.set _ZL38rocblas_trsm_small_left_device_sharedBILi24ELi24ELb0EffPKPKfPKPfEv13rocblas_fill_18rocblas_operation_17rocblas_diagonal_iiT3_T4_lilT5_lili.numbered_sgpr, 43
	.set _ZL38rocblas_trsm_small_left_device_sharedBILi24ELi24ELb0EffPKPKfPKPfEv13rocblas_fill_18rocblas_operation_17rocblas_diagonal_iiT3_T4_lilT5_lili.num_named_barrier, 0
	.set _ZL38rocblas_trsm_small_left_device_sharedBILi24ELi24ELb0EffPKPKfPKPfEv13rocblas_fill_18rocblas_operation_17rocblas_diagonal_iiT3_T4_lilT5_lili.private_seg_size, 0
	.set _ZL38rocblas_trsm_small_left_device_sharedBILi24ELi24ELb0EffPKPKfPKPfEv13rocblas_fill_18rocblas_operation_17rocblas_diagonal_iiT3_T4_lilT5_lili.uses_vcc, 1
	.set _ZL38rocblas_trsm_small_left_device_sharedBILi24ELi24ELb0EffPKPKfPKPfEv13rocblas_fill_18rocblas_operation_17rocblas_diagonal_iiT3_T4_lilT5_lili.uses_flat_scratch, 0
	.set _ZL38rocblas_trsm_small_left_device_sharedBILi24ELi24ELb0EffPKPKfPKPfEv13rocblas_fill_18rocblas_operation_17rocblas_diagonal_iiT3_T4_lilT5_lili.has_dyn_sized_stack, 0
	.set _ZL38rocblas_trsm_small_left_device_sharedBILi24ELi24ELb0EffPKPKfPKPfEv13rocblas_fill_18rocblas_operation_17rocblas_diagonal_iiT3_T4_lilT5_lili.has_recursion, 0
	.set _ZL38rocblas_trsm_small_left_device_sharedBILi24ELi24ELb0EffPKPKfPKPfEv13rocblas_fill_18rocblas_operation_17rocblas_diagonal_iiT3_T4_lilT5_lili.has_indirect_call, 0
	.section	.AMDGPU.csdata,"",@progbits
; Kernel info:
; codeLenInByte = 2804
; TotalNumSgprs: 45
; NumVgprs: 77
; ScratchSize: 0
; MemoryBound: 0
; FloatMode: 240
; IeeeMode: 1
; LDSByteSize: 4608 bytes/workgroup (compile time only)
; SGPRBlocks: 0
; VGPRBlocks: 24
; NumSGPRsForWavesPerEU: 45
; NumVGPRsForWavesPerEU: 193
; Occupancy: 7
; WaveLimiterHint : 0
; COMPUTE_PGM_RSRC2:SCRATCH_EN: 0
; COMPUTE_PGM_RSRC2:USER_SGPR: 2
; COMPUTE_PGM_RSRC2:TRAP_HANDLER: 0
; COMPUTE_PGM_RSRC2:TGID_X_EN: 1
; COMPUTE_PGM_RSRC2:TGID_Y_EN: 0
; COMPUTE_PGM_RSRC2:TGID_Z_EN: 1
; COMPUTE_PGM_RSRC2:TIDIG_COMP_CNT: 0
	.section	.text._ZL30rocblas_trsm_small_left_deviceILi24ELi24ELb0EffPKPKfPKPfEv13rocblas_fill_18rocblas_operation_17rocblas_diagonal_iiT3_T4_lilT5_lili,"axG",@progbits,_ZL30rocblas_trsm_small_left_deviceILi24ELi24ELb0EffPKPKfPKPfEv13rocblas_fill_18rocblas_operation_17rocblas_diagonal_iiT3_T4_lilT5_lili,comdat
	.globl	_ZL30rocblas_trsm_small_left_deviceILi24ELi24ELb0EffPKPKfPKPfEv13rocblas_fill_18rocblas_operation_17rocblas_diagonal_iiT3_T4_lilT5_lili ; -- Begin function _ZL30rocblas_trsm_small_left_deviceILi24ELi24ELb0EffPKPKfPKPfEv13rocblas_fill_18rocblas_operation_17rocblas_diagonal_iiT3_T4_lilT5_lili
	.p2align	8
	.type	_ZL30rocblas_trsm_small_left_deviceILi24ELi24ELb0EffPKPKfPKPfEv13rocblas_fill_18rocblas_operation_17rocblas_diagonal_iiT3_T4_lilT5_lili,@function
_ZL30rocblas_trsm_small_left_deviceILi24ELi24ELb0EffPKPKfPKPfEv13rocblas_fill_18rocblas_operation_17rocblas_diagonal_iiT3_T4_lilT5_lili: ; @_ZL30rocblas_trsm_small_left_deviceILi24ELi24ELb0EffPKPKfPKPfEv13rocblas_fill_18rocblas_operation_17rocblas_diagonal_iiT3_T4_lilT5_lili
; %bb.0:
	s_load_b32 s33, s[0:1], 0x58
	s_lshr_b32 s2, ttmp7, 16
	s_wait_kmcnt 0x0
	s_cmp_ge_u32 s2, s33
	s_cbranch_scc1 .LBB27_53
; %bb.1:
	s_clause 0x6
	s_load_b32 s16, s[0:1], 0x28
	s_load_b128 s[12:15], s[0:1], 0x4
	s_load_b32 s3, s[0:1], 0x60
	s_load_b32 s18, s[0:1], 0x48
	s_load_b128 s[4:7], s[0:1], 0x18
	s_load_b128 s[8:11], s[0:1], 0x38
	s_load_b32 s34, s[0:1], 0x14
	v_mad_co_u64_u32 v[2:3], null, ttmp9, 24, v[0:1]
	s_mul_i32 s0, ttmp9, 0xffffffe8
	v_dual_mov_b32 v1, 0 :: v_dual_lshlrev_b32 v74, 2, v0
	v_mul_u32_u24_e32 v34, 0x60, v0
	s_mov_b32 s40, 0
	s_delay_alu instid0(VALU_DEP_2)
	v_dual_mov_b32 v4, v1 :: v_dual_mov_b32 v5, v1
	v_dual_mov_b32 v6, v1 :: v_dual_mov_b32 v7, v1
	s_wait_kmcnt 0x0
	s_ashr_i32 s17, s16, 31
	s_min_i32 s35, s14, 24
	s_add_co_i32 s3, s3, -1
	v_mad_co_i64_i32 v[2:3], null, s18, v2, 0
	s_wait_alu 0xfffe
	s_add_co_i32 s0, s15, s0
	s_add_co_i32 s36, s35, -1
	s_wait_alu 0xfffe
	s_cmp_ge_u32 ttmp9, s3
	v_dual_mov_b32 v8, v1 :: v_dual_mov_b32 v9, v1
	s_cselect_b32 s1, s0, 24
	s_cmp_lg_u32 s13, 0x84
	v_lshlrev_b64_e32 v[66:67], 2, v[2:3]
	s_cselect_b32 s37, -1, 0
	s_cmp_lg_u32 s12, 0x6f
	v_dual_mov_b32 v2, v1 :: v_dual_mov_b32 v3, v1
	s_cselect_b32 s38, -1, 0
	s_lshl_b64 s[10:11], s[10:11], 2
	v_dual_mov_b32 v10, v1 :: v_dual_mov_b32 v11, v1
	v_dual_mov_b32 v12, v1 :: v_dual_mov_b32 v13, v1
	;; [unrolled: 1-line block ×7, first 2 shown]
	v_dual_mov_b32 v24, v1 :: v_dual_add_nc_u32 v77, v74, v34
	v_add_co_u32 v75, vcc_lo, v66, s10
	v_cmp_gt_i32_e64 s0, s35, v0
	s_wait_alu 0xfffe
	v_cmp_gt_i32_e64 s1, s1, v0
	v_dual_mov_b32 v33, v32 :: v_dual_lshlrev_b32 v0, 2, v0
	v_add_co_ci_u32_e64 v76, null, s11, v67, vcc_lo
	v_mov_b32_e32 v32, v31
	v_mov_b32_e32 v31, v30
	v_mov_b32_e32 v30, v29
	v_mov_b32_e32 v29, v28
	v_mov_b32_e32 v28, v27
	v_mov_b32_e32 v27, v26
	v_mov_b32_e32 v26, v25
	v_mov_b32_e32 v25, v24
	v_mov_b32_e32 v24, v23
	v_mov_b32_e32 v23, v22
	v_mov_b32_e32 v22, v21
	v_mov_b32_e32 v21, v20
	v_mov_b32_e32 v20, v19
	v_mov_b32_e32 v19, v18
	v_mov_b32_e32 v18, v17
	v_mov_b32_e32 v17, v16
	v_mov_b32_e32 v16, v15
	v_mov_b32_e32 v15, v14
	v_mov_b32_e32 v14, v13
	v_mov_b32_e32 v13, v12
	v_mov_b32_e32 v12, v11
	v_mov_b32_e32 v11, v10
	v_mov_b32_e32 v10, v9
	v_mov_b32_e32 v9, v8
	v_mov_b32_e32 v8, v7
	v_mov_b32_e32 v7, v6
	v_mov_b32_e32 v6, v5
	v_mov_b32_e32 v5, v4
	v_mov_b32_e32 v4, v3
	v_mov_b32_e32 v3, v2
	v_mov_b32_e32 v2, v1
	s_mul_i32 s39, s35, 0x60
	s_lshl_b64 s[12:13], s[16:17], 2
	s_mov_b32 s15, 0
	s_addk_co_i32 s39, 0xffa0
	s_lshl_b64 s[6:7], s[6:7], 2
	s_branch .LBB27_5
.LBB27_2:                               ;   in Loop: Header=BB27_5 Depth=1
	v_dual_mov_b32 v65, v33 :: v_dual_mov_b32 v64, v32
	v_dual_mov_b32 v63, v31 :: v_dual_mov_b32 v62, v30
	;; [unrolled: 1-line block ×16, first 2 shown]
.LBB27_3:                               ;   in Loop: Header=BB27_5 Depth=1
	s_add_co_i32 s2, s2, 0x10000
	s_delay_alu instid0(SALU_CYCLE_1) | instskip(SKIP_1) | instid1(SALU_CYCLE_1)
	s_cmp_ge_u32 s2, s33
	s_cselect_b32 s14, -1, 0
	s_or_not1_b32 s14, s14, exec_lo
.LBB27_4:                               ;   in Loop: Header=BB27_5 Depth=1
	s_or_b32 exec_lo, exec_lo, s3
	v_dual_mov_b32 v2, v34 :: v_dual_mov_b32 v3, v35
	v_dual_mov_b32 v4, v36 :: v_dual_mov_b32 v5, v37
	;; [unrolled: 1-line block ×16, first 2 shown]
	s_and_b32 s3, exec_lo, s14
	s_delay_alu instid0(SALU_CYCLE_1) | instskip(NEXT) | instid1(SALU_CYCLE_1)
	s_or_b32 s40, s3, s40
	s_and_not1_b32 exec_lo, exec_lo, s40
	s_cbranch_execz .LBB27_53
.LBB27_5:                               ; =>This Loop Header: Depth=1
                                        ;     Child Loop BB27_7 Depth 2
                                        ;     Child Loop BB27_14 Depth 2
                                        ;       Child Loop BB27_17 Depth 3
                                        ;         Child Loop BB27_18 Depth 4
                                        ;         Child Loop BB27_21 Depth 4
                                        ;           Child Loop BB27_22 Depth 5
                                        ;         Child Loop BB27_27 Depth 4
                                        ;           Child Loop BB27_29 Depth 5
                                        ;     Child Loop BB27_35 Depth 2
                                        ;       Child Loop BB27_38 Depth 3
                                        ;         Child Loop BB27_39 Depth 4
                                        ;         Child Loop BB27_41 Depth 4
                                        ;           Child Loop BB27_42 Depth 5
                                        ;         Child Loop BB27_47 Depth 4
                                        ;           Child Loop BB27_49 Depth 5
	s_mov_b32 s3, s15
	s_delay_alu instid0(SALU_CYCLE_1) | instskip(NEXT) | instid1(SALU_CYCLE_1)
	s_lshl_b64 s[16:17], s[2:3], 3
	s_add_nc_u64 s[18:19], s[8:9], s[16:17]
	global_load_b64 v[68:69], v1, s[18:19]
	s_and_saveexec_b32 s3, s0
	s_cbranch_execz .LBB27_11
; %bb.6:                                ;   in Loop: Header=BB27_5 Depth=1
	s_add_nc_u64 s[16:17], s[4:5], s[16:17]
	v_mov_b32_e32 v36, v74
	global_load_b64 v[34:35], v1, s[16:17]
	s_mov_b32 s14, s35
	s_wait_loadcnt 0x0
	v_add_co_u32 v34, vcc_lo, v34, s6
	s_wait_alu 0xfffd
	v_add_co_ci_u32_e64 v35, null, s7, v35, vcc_lo
	s_delay_alu instid0(VALU_DEP_2) | instskip(SKIP_1) | instid1(VALU_DEP_2)
	v_add_co_u32 v34, vcc_lo, v34, v0
	s_wait_alu 0xfffd
	v_add_co_ci_u32_e64 v35, null, 0, v35, vcc_lo
.LBB27_7:                               ;   Parent Loop BB27_5 Depth=1
                                        ; =>  This Inner Loop Header: Depth=2
	flat_load_b32 v37, v[34:35]
	v_add_co_u32 v34, vcc_lo, v34, s12
	s_wait_alu 0xfffd
	v_add_co_ci_u32_e64 v35, null, s13, v35, vcc_lo
	s_add_co_i32 s14, s14, -1
	s_delay_alu instid0(SALU_CYCLE_1)
	s_cmp_eq_u32 s14, 0
	s_wait_loadcnt_dscnt 0x0
	ds_store_b32 v36, v37
	v_add_nc_u32_e32 v36, 0x60, v36
	s_cbranch_scc0 .LBB27_7
; %bb.8:                                ;   in Loop: Header=BB27_5 Depth=1
	v_mov_b32_e32 v34, 1.0
	s_and_b32 vcc_lo, exec_lo, s37
	s_wait_alu 0xfffe
	s_cbranch_vccz .LBB27_10
; %bb.9:                                ;   in Loop: Header=BB27_5 Depth=1
	ds_load_b32 v34, v77
	s_wait_dscnt 0x0
	v_div_scale_f32 v35, null, v34, v34, 1.0
	s_delay_alu instid0(VALU_DEP_1) | instskip(NEXT) | instid1(TRANS32_DEP_1)
	v_rcp_f32_e32 v36, v35
	v_fma_f32 v37, -v35, v36, 1.0
	s_delay_alu instid0(VALU_DEP_1) | instskip(SKIP_1) | instid1(VALU_DEP_1)
	v_fmac_f32_e32 v36, v37, v36
	v_div_scale_f32 v37, vcc_lo, 1.0, v34, 1.0
	v_mul_f32_e32 v38, v37, v36
	s_delay_alu instid0(VALU_DEP_1) | instskip(NEXT) | instid1(VALU_DEP_1)
	v_fma_f32 v39, -v35, v38, v37
	v_fmac_f32_e32 v38, v39, v36
	s_delay_alu instid0(VALU_DEP_1) | instskip(SKIP_1) | instid1(VALU_DEP_1)
	v_fma_f32 v35, -v35, v38, v37
	s_wait_alu 0xfffd
	v_div_fmas_f32 v35, v35, v36, v38
	s_delay_alu instid0(VALU_DEP_1)
	v_div_fixup_f32 v34, v35, v34, 1.0
.LBB27_10:                              ;   in Loop: Header=BB27_5 Depth=1
	ds_store_b32 v77, v34
.LBB27_11:                              ;   in Loop: Header=BB27_5 Depth=1
	s_or_b32 exec_lo, exec_lo, s3
	s_mov_b32 s14, -1
	; wave barrier
	s_wait_loadcnt_dscnt 0x0
	global_inv scope:SCOPE_SE
                                        ; implicit-def: $vgpr34_vgpr35_vgpr36_vgpr37_vgpr38_vgpr39_vgpr40_vgpr41_vgpr42_vgpr43_vgpr44_vgpr45_vgpr46_vgpr47_vgpr48_vgpr49_vgpr50_vgpr51_vgpr52_vgpr53_vgpr54_vgpr55_vgpr56_vgpr57_vgpr58_vgpr59_vgpr60_vgpr61_vgpr62_vgpr63_vgpr64_vgpr65
	s_and_saveexec_b32 s3, s1
	s_cbranch_execz .LBB27_4
; %bb.12:                               ;   in Loop: Header=BB27_5 Depth=1
	v_add_co_u32 v34, vcc_lo, v68, s10
	s_wait_alu 0xfffd
	v_add_co_ci_u32_e64 v35, null, s11, v69, vcc_lo
	s_delay_alu instid0(VALU_DEP_2) | instskip(SKIP_1) | instid1(VALU_DEP_2)
	v_add_co_u32 v78, vcc_lo, v34, v66
	s_wait_alu 0xfffd
	v_add_co_ci_u32_e64 v79, null, v35, v67, vcc_lo
	s_and_not1_b32 vcc_lo, exec_lo, s38
                                        ; implicit-def: $vgpr34_vgpr35_vgpr36_vgpr37_vgpr38_vgpr39_vgpr40_vgpr41_vgpr42_vgpr43_vgpr44_vgpr45_vgpr46_vgpr47_vgpr48_vgpr49_vgpr50_vgpr51_vgpr52_vgpr53_vgpr54_vgpr55_vgpr56_vgpr57_vgpr58_vgpr59_vgpr60_vgpr61_vgpr62_vgpr63_vgpr64_vgpr65
	s_wait_alu 0xfffe
	s_cbranch_vccnz .LBB27_33
; %bb.13:                               ;   in Loop: Header=BB27_5 Depth=1
	v_add_co_u32 v80, vcc_lo, v68, v75
	v_dual_mov_b32 v65, v33 :: v_dual_mov_b32 v64, v32
	v_dual_mov_b32 v63, v31 :: v_dual_mov_b32 v62, v30
	;; [unrolled: 1-line block ×16, first 2 shown]
	s_wait_alu 0xfffd
	v_add_co_ci_u32_e64 v81, null, v69, v76, vcc_lo
	s_mov_b32 s18, 0
	s_mov_b32 s16, 0
.LBB27_14:                              ;   Parent Loop BB27_5 Depth=1
                                        ; =>  This Loop Header: Depth=2
                                        ;       Child Loop BB27_17 Depth 3
                                        ;         Child Loop BB27_18 Depth 4
                                        ;         Child Loop BB27_21 Depth 4
                                        ;           Child Loop BB27_22 Depth 5
                                        ;         Child Loop BB27_27 Depth 4
                                        ;           Child Loop BB27_29 Depth 5
	s_mov_b32 s19, s15
	s_getpc_b64 s[20:21]
	s_wait_alu 0xfffe
	s_sext_i32_i16 s21, s21
	s_add_co_u32 s20, s20, __const._ZL30rocblas_trsm_small_left_deviceILi24ELi24ELb0EffPKPKfPKPfEv13rocblas_fill_18rocblas_operation_17rocblas_diagonal_iiT3_T4_lilT5_lili.step_sizes@rel32@lo+12
	s_wait_alu 0xfffe
	s_add_co_ci_u32 s21, s21, __const._ZL30rocblas_trsm_small_left_deviceILi24ELi24ELb0EffPKPKfPKPfEv13rocblas_fill_18rocblas_operation_17rocblas_diagonal_iiT3_T4_lilT5_lili.step_sizes@rel32@hi+24
	s_lshl_b64 s[22:23], s[18:19], 2
	s_wait_alu 0xfffe
	s_add_nc_u64 s[20:21], s[20:21], s[22:23]
	s_load_b32 s20, s[20:21], 0x0
	s_wait_kmcnt 0x0
	s_add_co_i32 s19, s20, -1
	s_wait_alu 0xfffe
	s_add_co_i32 s14, s19, s16
	s_delay_alu instid0(SALU_CYCLE_1)
	s_cmp_ge_i32 s14, s35
	s_cbranch_scc1 .LBB27_30
; %bb.15:                               ;   in Loop: Header=BB27_14 Depth=2
	s_ashr_i32 s17, s16, 31
	s_ashr_i32 s21, s20, 31
	s_lshl_b64 s[22:23], s[16:17], 2
	s_max_i32 s41, s20, 1
	s_wait_alu 0xfffe
	v_add_co_u32 v70, vcc_lo, v80, s22
	s_wait_alu 0xfffd
	v_add_co_ci_u32_e64 v71, null, s23, v81, vcc_lo
	s_lshl_b64 s[22:23], s[20:21], 2
	s_mul_i32 s17, s16, 0x60
	s_mul_i32 s21, s20, 0x60
	;; [unrolled: 1-line block ×4, first 2 shown]
	s_branch .LBB27_17
.LBB27_16:                              ;   in Loop: Header=BB27_17 Depth=3
	v_add_co_u32 v70, vcc_lo, v70, s22
	s_add_co_i32 s16, s16, s20
	s_wait_alu 0xfffd
	v_add_co_ci_u32_e64 v71, null, s23, v71, vcc_lo
	s_add_co_i32 s14, s19, s16
	s_add_co_i32 s17, s17, s21
	;; [unrolled: 1-line block ×3, first 2 shown]
	s_cmp_ge_i32 s14, s35
	s_cbranch_scc1 .LBB27_30
.LBB27_17:                              ;   Parent Loop BB27_5 Depth=1
                                        ;     Parent Loop BB27_14 Depth=2
                                        ; =>    This Loop Header: Depth=3
                                        ;         Child Loop BB27_18 Depth 4
                                        ;         Child Loop BB27_21 Depth 4
                                        ;           Child Loop BB27_22 Depth 5
                                        ;         Child Loop BB27_27 Depth 4
                                        ;           Child Loop BB27_29 Depth 5
	v_dual_mov_b32 v73, v71 :: v_dual_mov_b32 v72, v70
	s_mov_b64 s[24:25], 0
.LBB27_18:                              ;   Parent Loop BB27_5 Depth=1
                                        ;     Parent Loop BB27_14 Depth=2
                                        ;       Parent Loop BB27_17 Depth=3
                                        ; =>      This Inner Loop Header: Depth=4
	flat_load_b32 v82, v[72:73]
	v_add_co_u32 v72, vcc_lo, v72, 4
	s_wait_alu 0xfffd
	v_add_co_ci_u32_e64 v73, null, 0, v73, vcc_lo
	s_wait_alu 0xfffe
	s_mov_b32 m0, s24
	s_add_nc_u64 s[24:25], s[24:25], 1
	s_wait_alu 0xfffe
	s_cmp_eq_u32 s41, s24
	s_wait_loadcnt_dscnt 0x0
	v_mul_f32_e32 v82, s34, v82
	s_delay_alu instid0(VALU_DEP_1)
	v_movreld_b32_e32 v34, v82
	s_cbranch_scc0 .LBB27_18
; %bb.19:                               ;   in Loop: Header=BB27_17 Depth=3
	s_cmp_lt_i32 s16, 1
	s_cbranch_scc1 .LBB27_24
; %bb.20:                               ;   in Loop: Header=BB27_17 Depth=3
	s_mov_b32 s14, 0
	s_mov_b32 s26, s17
.LBB27_21:                              ;   Parent Loop BB27_5 Depth=1
                                        ;     Parent Loop BB27_14 Depth=2
                                        ;       Parent Loop BB27_17 Depth=3
                                        ; =>      This Loop Header: Depth=4
                                        ;           Child Loop BB27_22 Depth 5
	s_lshl_b64 s[24:25], s[14:15], 2
	s_wait_alu 0xfffe
	s_mov_b32 s27, s26
	v_add_co_u32 v72, vcc_lo, v78, s24
	s_wait_alu 0xfffd
	v_add_co_ci_u32_e64 v73, null, s25, v79, vcc_lo
	s_mov_b64 s[24:25], 0
	flat_load_b32 v72, v[72:73]
.LBB27_22:                              ;   Parent Loop BB27_5 Depth=1
                                        ;     Parent Loop BB27_14 Depth=2
                                        ;       Parent Loop BB27_17 Depth=3
                                        ;         Parent Loop BB27_21 Depth=4
                                        ; =>        This Inner Loop Header: Depth=5
	s_wait_alu 0xfffe
	v_mov_b32_e32 v73, s27
	s_mov_b32 m0, s24
	s_add_nc_u64 s[24:25], s[24:25], 1
	v_movrels_b32_e32 v82, v34
	s_addk_co_i32 s27, 0x60
	ds_load_b32 v73, v73
	s_wait_alu 0xfffe
	s_cmp_eq_u32 s41, s24
	s_wait_loadcnt_dscnt 0x0
	v_fma_f32 v73, -v72, v73, v82
	s_delay_alu instid0(VALU_DEP_1)
	v_movreld_b32_e32 v34, v73
	s_cbranch_scc0 .LBB27_22
; %bb.23:                               ;   in Loop: Header=BB27_21 Depth=4
	s_add_co_i32 s14, s14, 1
	s_add_co_i32 s26, s26, 4
	s_cmp_eq_u32 s14, s16
	s_cbranch_scc0 .LBB27_21
.LBB27_24:                              ;   in Loop: Header=BB27_17 Depth=3
	s_mov_b64 s[24:25], 0
	s_mov_b32 s14, s42
	s_branch .LBB27_27
.LBB27_25:                              ;   in Loop: Header=BB27_27 Depth=4
	s_mov_b32 s26, s16
	s_mov_b64 s[28:29], 0
.LBB27_26:                              ;   in Loop: Header=BB27_27 Depth=4
	s_wait_alu 0xfffe
	s_mul_i32 s27, s26, 0x64
	s_mov_b32 m0, s28
	s_wait_alu 0xfffe
	v_mov_b32_e32 v72, s27
	v_movrels_b32_e32 v73, v34
	s_ashr_i32 s27, s26, 31
	s_add_nc_u64 s[24:25], s[24:25], 1
	s_wait_alu 0xfffe
	s_lshl_b64 s[26:27], s[26:27], 2
	ds_load_b32 v72, v72
	s_addk_co_i32 s14, 0x60
	s_cmp_eq_u32 s24, s41
	s_wait_dscnt 0x0
	v_mul_f32_e32 v82, v73, v72
	s_wait_alu 0xfffe
	v_add_co_u32 v72, vcc_lo, v78, s26
	s_wait_alu 0xfffd
	v_add_co_ci_u32_e64 v73, null, s27, v79, vcc_lo
	v_movreld_b32_e32 v34, v82
	flat_store_b32 v[72:73], v82
	s_cbranch_scc1 .LBB27_16
.LBB27_27:                              ;   Parent Loop BB27_5 Depth=1
                                        ;     Parent Loop BB27_14 Depth=2
                                        ;       Parent Loop BB27_17 Depth=3
                                        ; =>      This Loop Header: Depth=4
                                        ;           Child Loop BB27_29 Depth 5
	s_wait_alu 0xfffe
	s_cmp_eq_u32 s24, 0
	s_cbranch_scc1 .LBB27_25
; %bb.28:                               ;   in Loop: Header=BB27_27 Depth=4
	s_add_co_i32 s26, s24, s16
	s_mov_b64 s[30:31], 0
	s_mov_b64 s[28:29], s[24:25]
	s_mov_b32 s27, s14
.LBB27_29:                              ;   Parent Loop BB27_5 Depth=1
                                        ;     Parent Loop BB27_14 Depth=2
                                        ;       Parent Loop BB27_17 Depth=3
                                        ;         Parent Loop BB27_27 Depth=4
                                        ; =>        This Inner Loop Header: Depth=5
	s_wait_alu 0xfffe
	v_mov_b32_e32 v72, s27
	s_mov_b32 m0, s30
	s_add_nc_u64 s[30:31], s[30:31], 1
	v_movrels_b32_e32 v73, v34
	s_mov_b32 m0, s24
	ds_load_b32 v72, v72
	v_movrels_b32_e32 v82, v34
	s_add_co_i32 s27, s27, 4
	s_cmp_eq_u32 s24, s30
	s_wait_dscnt 0x0
	s_delay_alu instid0(VALU_DEP_1) | instskip(NEXT) | instid1(VALU_DEP_1)
	v_fma_f32 v72, -v73, v72, v82
	v_movreld_b32_e32 v34, v72
	s_cbranch_scc0 .LBB27_29
	s_branch .LBB27_26
.LBB27_30:                              ;   in Loop: Header=BB27_14 Depth=2
	s_cmp_lt_i32 s16, s35
	s_cselect_b32 s17, -1, 0
	s_add_co_i32 s14, s18, 1
	s_cmp_lt_u32 s18, 2
	s_cselect_b32 s18, -1, 0
	s_wait_alu 0xfffe
	s_and_b32 s17, s17, s18
	s_delay_alu instid0(SALU_CYCLE_1)
	s_and_b32 vcc_lo, exec_lo, s17
	s_wait_alu 0xfffe
	s_cbranch_vccz .LBB27_32
; %bb.31:                               ;   in Loop: Header=BB27_14 Depth=2
	s_mov_b32 s18, s14
	s_branch .LBB27_14
.LBB27_32:                              ;   in Loop: Header=BB27_5 Depth=1
	s_mov_b32 s14, 0
.LBB27_33:                              ;   in Loop: Header=BB27_5 Depth=1
	s_delay_alu instid0(SALU_CYCLE_1)
	s_and_b32 vcc_lo, exec_lo, s14
	s_wait_alu 0xfffe
	s_cbranch_vccz .LBB27_3
; %bb.34:                               ;   in Loop: Header=BB27_5 Depth=1
	v_add_co_u32 v36, vcc_lo, v68, v75
	s_wait_alu 0xfffd
	v_add_co_ci_u32_e64 v37, null, v69, v76, vcc_lo
	s_mov_b32 s14, 0
	s_mov_b32 s16, s36
.LBB27_35:                              ;   Parent Loop BB27_5 Depth=1
                                        ; =>  This Loop Header: Depth=2
                                        ;       Child Loop BB27_38 Depth 3
                                        ;         Child Loop BB27_39 Depth 4
                                        ;         Child Loop BB27_41 Depth 4
                                        ;           Child Loop BB27_42 Depth 5
                                        ;         Child Loop BB27_47 Depth 4
                                        ;           Child Loop BB27_49 Depth 5
	s_getpc_b64 s[18:19]
	s_wait_alu 0xfffe
	s_sext_i32_i16 s19, s19
	s_add_co_u32 s18, s18, __const._ZL30rocblas_trsm_small_left_deviceILi24ELi24ELb0EffPKPKfPKPfEv13rocblas_fill_18rocblas_operation_17rocblas_diagonal_iiT3_T4_lilT5_lili.step_sizes@rel32@lo+12
	s_wait_alu 0xfffe
	s_add_co_ci_u32 s19, s19, __const._ZL30rocblas_trsm_small_left_deviceILi24ELi24ELb0EffPKPKfPKPfEv13rocblas_fill_18rocblas_operation_17rocblas_diagonal_iiT3_T4_lilT5_lili.step_sizes@rel32@hi+24
	s_lshl_b64 s[20:21], s[14:15], 2
	s_wait_alu 0xfffe
	s_add_nc_u64 s[18:19], s[18:19], s[20:21]
	s_load_b32 s26, s[18:19], 0x0
	s_wait_kmcnt 0x0
	s_add_co_i32 s27, s26, -1
	s_wait_alu 0xfffe
	s_cmp_lt_i32 s16, s27
	s_cbranch_scc1 .LBB27_51
; %bb.36:                               ;   in Loop: Header=BB27_35 Depth=2
	s_lshl_b32 s17, s16, 2
	s_lshl_b32 s18, s26, 2
	s_max_i32 s28, s26, 1
	s_add_co_i32 s29, s39, s17
	s_wait_alu 0xfffe
	s_sub_co_i32 s30, 0, s18
	s_mul_i32 s31, s16, 0x64
	s_mul_i32 s41, s26, 0xffffff9c
	s_branch .LBB27_38
.LBB27_37:                              ;   in Loop: Header=BB27_38 Depth=3
	s_sub_co_i32 s16, s16, s26
	s_add_co_i32 s29, s29, s30
	s_add_co_i32 s31, s31, s41
	s_cmp_lt_i32 s16, s27
	s_cbranch_scc1 .LBB27_51
.LBB27_38:                              ;   Parent Loop BB27_5 Depth=1
                                        ;     Parent Loop BB27_35 Depth=2
                                        ; =>    This Loop Header: Depth=3
                                        ;         Child Loop BB27_39 Depth 4
                                        ;         Child Loop BB27_41 Depth 4
                                        ;           Child Loop BB27_42 Depth 5
                                        ;         Child Loop BB27_47 Depth 4
                                        ;           Child Loop BB27_49 Depth 5
	s_ashr_i32 s17, s16, 31
	s_delay_alu instid0(SALU_CYCLE_1)
	s_lshl_b64 s[18:19], s[16:17], 2
	s_wait_alu 0xfffe
	v_add_co_u32 v34, vcc_lo, v36, s18
	s_wait_alu 0xfffd
	v_add_co_ci_u32_e64 v35, null, s19, v37, vcc_lo
	s_mov_b64 s[18:19], 0
.LBB27_39:                              ;   Parent Loop BB27_5 Depth=1
                                        ;     Parent Loop BB27_35 Depth=2
                                        ;       Parent Loop BB27_38 Depth=3
                                        ; =>      This Inner Loop Header: Depth=4
	flat_load_b32 v38, v[34:35]
	v_add_co_u32 v34, vcc_lo, v34, -4
	s_wait_alu 0xfffd
	v_add_co_ci_u32_e64 v35, null, -1, v35, vcc_lo
	s_wait_alu 0xfffe
	s_mov_b32 m0, s18
	s_add_nc_u64 s[18:19], s[18:19], 1
	s_wait_alu 0xfffe
	s_cmp_eq_u32 s28, s18
	s_wait_loadcnt_dscnt 0x0
	v_mul_f32_e32 v38, s34, v38
	s_delay_alu instid0(VALU_DEP_1)
	v_movreld_b32_e32 v2, v38
	s_cbranch_scc0 .LBB27_39
; %bb.40:                               ;   in Loop: Header=BB27_38 Depth=3
	s_cmp_le_i32 s36, s16
	s_mov_b32 s22, s29
	s_mov_b32 s18, s36
	s_cbranch_scc1 .LBB27_44
.LBB27_41:                              ;   Parent Loop BB27_5 Depth=1
                                        ;     Parent Loop BB27_35 Depth=2
                                        ;       Parent Loop BB27_38 Depth=3
                                        ; =>      This Loop Header: Depth=4
                                        ;           Child Loop BB27_42 Depth 5
	s_wait_alu 0xfffe
	s_ashr_i32 s19, s18, 31
	s_wait_alu 0xfffe
	s_lshl_b64 s[20:21], s[18:19], 2
	s_mov_b32 s19, s22
	s_wait_alu 0xfffe
	v_add_co_u32 v34, vcc_lo, v78, s20
	s_wait_alu 0xfffd
	v_add_co_ci_u32_e64 v35, null, s21, v79, vcc_lo
	s_mov_b64 s[20:21], 0
	flat_load_b32 v34, v[34:35]
.LBB27_42:                              ;   Parent Loop BB27_5 Depth=1
                                        ;     Parent Loop BB27_35 Depth=2
                                        ;       Parent Loop BB27_38 Depth=3
                                        ;         Parent Loop BB27_41 Depth=4
                                        ; =>        This Inner Loop Header: Depth=5
	s_wait_alu 0xfffe
	v_mov_b32_e32 v35, s19
	s_mov_b32 m0, s20
	s_add_nc_u64 s[20:21], s[20:21], 1
	v_movrels_b32_e32 v38, v2
	s_add_co_i32 s19, s19, -4
	ds_load_b32 v35, v35
	s_wait_alu 0xfffe
	s_cmp_eq_u32 s28, s20
	s_wait_loadcnt_dscnt 0x0
	v_fma_f32 v35, -v34, v35, v38
	s_delay_alu instid0(VALU_DEP_1)
	v_movreld_b32_e32 v2, v35
	s_cbranch_scc0 .LBB27_42
; %bb.43:                               ;   in Loop: Header=BB27_41 Depth=4
	s_add_co_i32 s18, s18, -1
	s_addk_co_i32 s22, 0xffa0
	s_wait_alu 0xfffe
	s_cmp_le_i32 s18, s16
	s_cbranch_scc0 .LBB27_41
.LBB27_44:                              ;   in Loop: Header=BB27_38 Depth=3
	s_mov_b64 s[18:19], 0
	s_mov_b32 s42, s31
	s_branch .LBB27_47
.LBB27_45:                              ;   in Loop: Header=BB27_47 Depth=4
	s_mov_b32 s20, s16
	s_mov_b64 s[24:25], 0
	s_mov_b64 s[22:23], s[16:17]
.LBB27_46:                              ;   in Loop: Header=BB27_47 Depth=4
	s_wait_alu 0xfffe
	s_mulk_i32 s20, 0x64
	s_mov_b32 m0, s24
	s_wait_alu 0xfffe
	v_mov_b32_e32 v34, s20
	v_movrels_b32_e32 v35, v2
	s_lshl_b64 s[20:21], s[22:23], 2
	s_add_nc_u64 s[18:19], s[18:19], 1
	s_add_co_i32 s42, s42, -4
	ds_load_b32 v34, v34
	s_wait_alu 0xfffe
	s_cmp_eq_u32 s18, s28
	s_wait_dscnt 0x0
	v_mul_f32_e32 v38, v35, v34
	v_add_co_u32 v34, vcc_lo, v78, s20
	s_wait_alu 0xfffd
	v_add_co_ci_u32_e64 v35, null, s21, v79, vcc_lo
	s_delay_alu instid0(VALU_DEP_3)
	v_movreld_b32_e32 v2, v38
	flat_store_b32 v[34:35], v38
	s_cbranch_scc1 .LBB27_37
.LBB27_47:                              ;   Parent Loop BB27_5 Depth=1
                                        ;     Parent Loop BB27_35 Depth=2
                                        ;       Parent Loop BB27_38 Depth=3
                                        ; =>      This Loop Header: Depth=4
                                        ;           Child Loop BB27_49 Depth 5
	s_wait_alu 0xfffe
	s_cmp_eq_u32 s18, 0
	s_cbranch_scc1 .LBB27_45
; %bb.48:                               ;   in Loop: Header=BB27_47 Depth=4
	s_mov_b64 s[20:21], 0
	s_mov_b32 s22, s42
.LBB27_49:                              ;   Parent Loop BB27_5 Depth=1
                                        ;     Parent Loop BB27_35 Depth=2
                                        ;       Parent Loop BB27_38 Depth=3
                                        ;         Parent Loop BB27_47 Depth=4
                                        ; =>        This Inner Loop Header: Depth=5
	s_wait_alu 0xfffe
	v_mov_b32_e32 v34, s22
	s_mov_b32 m0, s20
	s_add_nc_u64 s[20:21], s[20:21], 1
	v_movrels_b32_e32 v35, v2
	s_mov_b32 m0, s18
	ds_load_b32 v34, v34
	v_movrels_b32_e32 v38, v2
	s_addk_co_i32 s22, 0xffa0
	s_wait_alu 0xfffe
	s_cmp_eq_u32 s18, s20
	s_wait_dscnt 0x0
	v_fma_f32 v34, -v35, v34, v38
	s_delay_alu instid0(VALU_DEP_1)
	v_movreld_b32_e32 v2, v34
	s_cbranch_scc0 .LBB27_49
; %bb.50:                               ;   in Loop: Header=BB27_47 Depth=4
	s_sub_co_i32 s20, s16, s18
	s_mov_b64 s[24:25], s[18:19]
	s_wait_alu 0xfffe
	s_ashr_i32 s21, s20, 31
	s_wait_alu 0xfffe
	s_mov_b64 s[22:23], s[20:21]
	s_branch .LBB27_46
.LBB27_51:                              ;   in Loop: Header=BB27_35 Depth=2
	s_cmp_gt_i32 s16, -1
	s_cselect_b32 s18, -1, 0
	s_add_co_i32 s17, s14, 1
	s_cmp_lt_u32 s14, 2
	s_cselect_b32 s14, -1, 0
	s_wait_alu 0xfffe
	s_and_b32 s14, s18, s14
	s_delay_alu instid0(SALU_CYCLE_1)
	s_and_not1_b32 vcc_lo, exec_lo, s14
	s_wait_alu 0xfffe
	s_cbranch_vccnz .LBB27_2
; %bb.52:                               ;   in Loop: Header=BB27_35 Depth=2
	s_mov_b32 s14, s17
	s_branch .LBB27_35
.LBB27_53:
	s_endpgm
	.section	.rodata,"a",@progbits
	.p2align	6, 0x0
	.amdhsa_kernel _ZL30rocblas_trsm_small_left_deviceILi24ELi24ELb0EffPKPKfPKPfEv13rocblas_fill_18rocblas_operation_17rocblas_diagonal_iiT3_T4_lilT5_lili
		.amdhsa_group_segment_fixed_size 2304
		.amdhsa_private_segment_fixed_size 0
		.amdhsa_kernarg_size 352
		.amdhsa_user_sgpr_count 2
		.amdhsa_user_sgpr_dispatch_ptr 0
		.amdhsa_user_sgpr_queue_ptr 0
		.amdhsa_user_sgpr_kernarg_segment_ptr 1
		.amdhsa_user_sgpr_dispatch_id 0
		.amdhsa_user_sgpr_private_segment_size 0
		.amdhsa_wavefront_size32 1
		.amdhsa_uses_dynamic_stack 0
		.amdhsa_enable_private_segment 0
		.amdhsa_system_sgpr_workgroup_id_x 1
		.amdhsa_system_sgpr_workgroup_id_y 0
		.amdhsa_system_sgpr_workgroup_id_z 1
		.amdhsa_system_sgpr_workgroup_info 0
		.amdhsa_system_vgpr_workitem_id 0
		.amdhsa_next_free_vgpr 83
		.amdhsa_next_free_sgpr 44
		.amdhsa_reserve_vcc 1
		.amdhsa_float_round_mode_32 0
		.amdhsa_float_round_mode_16_64 0
		.amdhsa_float_denorm_mode_32 3
		.amdhsa_float_denorm_mode_16_64 3
		.amdhsa_fp16_overflow 0
		.amdhsa_workgroup_processor_mode 1
		.amdhsa_memory_ordered 1
		.amdhsa_forward_progress 1
		.amdhsa_inst_pref_size 23
		.amdhsa_round_robin_scheduling 0
		.amdhsa_exception_fp_ieee_invalid_op 0
		.amdhsa_exception_fp_denorm_src 0
		.amdhsa_exception_fp_ieee_div_zero 0
		.amdhsa_exception_fp_ieee_overflow 0
		.amdhsa_exception_fp_ieee_underflow 0
		.amdhsa_exception_fp_ieee_inexact 0
		.amdhsa_exception_int_div_zero 0
	.end_amdhsa_kernel
	.section	.text._ZL30rocblas_trsm_small_left_deviceILi24ELi24ELb0EffPKPKfPKPfEv13rocblas_fill_18rocblas_operation_17rocblas_diagonal_iiT3_T4_lilT5_lili,"axG",@progbits,_ZL30rocblas_trsm_small_left_deviceILi24ELi24ELb0EffPKPKfPKPfEv13rocblas_fill_18rocblas_operation_17rocblas_diagonal_iiT3_T4_lilT5_lili,comdat
.Lfunc_end27:
	.size	_ZL30rocblas_trsm_small_left_deviceILi24ELi24ELb0EffPKPKfPKPfEv13rocblas_fill_18rocblas_operation_17rocblas_diagonal_iiT3_T4_lilT5_lili, .Lfunc_end27-_ZL30rocblas_trsm_small_left_deviceILi24ELi24ELb0EffPKPKfPKPfEv13rocblas_fill_18rocblas_operation_17rocblas_diagonal_iiT3_T4_lilT5_lili
                                        ; -- End function
	.set _ZL30rocblas_trsm_small_left_deviceILi24ELi24ELb0EffPKPKfPKPfEv13rocblas_fill_18rocblas_operation_17rocblas_diagonal_iiT3_T4_lilT5_lili.num_vgpr, 83
	.set _ZL30rocblas_trsm_small_left_deviceILi24ELi24ELb0EffPKPKfPKPfEv13rocblas_fill_18rocblas_operation_17rocblas_diagonal_iiT3_T4_lilT5_lili.num_agpr, 0
	.set _ZL30rocblas_trsm_small_left_deviceILi24ELi24ELb0EffPKPKfPKPfEv13rocblas_fill_18rocblas_operation_17rocblas_diagonal_iiT3_T4_lilT5_lili.numbered_sgpr, 44
	.set _ZL30rocblas_trsm_small_left_deviceILi24ELi24ELb0EffPKPKfPKPfEv13rocblas_fill_18rocblas_operation_17rocblas_diagonal_iiT3_T4_lilT5_lili.num_named_barrier, 0
	.set _ZL30rocblas_trsm_small_left_deviceILi24ELi24ELb0EffPKPKfPKPfEv13rocblas_fill_18rocblas_operation_17rocblas_diagonal_iiT3_T4_lilT5_lili.private_seg_size, 0
	.set _ZL30rocblas_trsm_small_left_deviceILi24ELi24ELb0EffPKPKfPKPfEv13rocblas_fill_18rocblas_operation_17rocblas_diagonal_iiT3_T4_lilT5_lili.uses_vcc, 1
	.set _ZL30rocblas_trsm_small_left_deviceILi24ELi24ELb0EffPKPKfPKPfEv13rocblas_fill_18rocblas_operation_17rocblas_diagonal_iiT3_T4_lilT5_lili.uses_flat_scratch, 0
	.set _ZL30rocblas_trsm_small_left_deviceILi24ELi24ELb0EffPKPKfPKPfEv13rocblas_fill_18rocblas_operation_17rocblas_diagonal_iiT3_T4_lilT5_lili.has_dyn_sized_stack, 0
	.set _ZL30rocblas_trsm_small_left_deviceILi24ELi24ELb0EffPKPKfPKPfEv13rocblas_fill_18rocblas_operation_17rocblas_diagonal_iiT3_T4_lilT5_lili.has_recursion, 0
	.set _ZL30rocblas_trsm_small_left_deviceILi24ELi24ELb0EffPKPKfPKPfEv13rocblas_fill_18rocblas_operation_17rocblas_diagonal_iiT3_T4_lilT5_lili.has_indirect_call, 0
	.section	.AMDGPU.csdata,"",@progbits
; Kernel info:
; codeLenInByte = 2832
; TotalNumSgprs: 46
; NumVgprs: 83
; ScratchSize: 0
; MemoryBound: 0
; FloatMode: 240
; IeeeMode: 1
; LDSByteSize: 2304 bytes/workgroup (compile time only)
; SGPRBlocks: 0
; VGPRBlocks: 10
; NumSGPRsForWavesPerEU: 46
; NumVGPRsForWavesPerEU: 83
; Occupancy: 14
; WaveLimiterHint : 1
; COMPUTE_PGM_RSRC2:SCRATCH_EN: 0
; COMPUTE_PGM_RSRC2:USER_SGPR: 2
; COMPUTE_PGM_RSRC2:TRAP_HANDLER: 0
; COMPUTE_PGM_RSRC2:TGID_X_EN: 1
; COMPUTE_PGM_RSRC2:TGID_Y_EN: 0
; COMPUTE_PGM_RSRC2:TGID_Z_EN: 1
; COMPUTE_PGM_RSRC2:TIDIG_COMP_CNT: 0
	.section	.text._ZL38rocblas_trsm_small_left_device_sharedBILi24ELi24ELb1EffPKPKfPKPfEv13rocblas_fill_18rocblas_operation_17rocblas_diagonal_iiT3_T4_lilT5_lili,"axG",@progbits,_ZL38rocblas_trsm_small_left_device_sharedBILi24ELi24ELb1EffPKPKfPKPfEv13rocblas_fill_18rocblas_operation_17rocblas_diagonal_iiT3_T4_lilT5_lili,comdat
	.globl	_ZL38rocblas_trsm_small_left_device_sharedBILi24ELi24ELb1EffPKPKfPKPfEv13rocblas_fill_18rocblas_operation_17rocblas_diagonal_iiT3_T4_lilT5_lili ; -- Begin function _ZL38rocblas_trsm_small_left_device_sharedBILi24ELi24ELb1EffPKPKfPKPfEv13rocblas_fill_18rocblas_operation_17rocblas_diagonal_iiT3_T4_lilT5_lili
	.p2align	8
	.type	_ZL38rocblas_trsm_small_left_device_sharedBILi24ELi24ELb1EffPKPKfPKPfEv13rocblas_fill_18rocblas_operation_17rocblas_diagonal_iiT3_T4_lilT5_lili,@function
_ZL38rocblas_trsm_small_left_device_sharedBILi24ELi24ELb1EffPKPKfPKPfEv13rocblas_fill_18rocblas_operation_17rocblas_diagonal_iiT3_T4_lilT5_lili: ; @_ZL38rocblas_trsm_small_left_device_sharedBILi24ELi24ELb1EffPKPKfPKPfEv13rocblas_fill_18rocblas_operation_17rocblas_diagonal_iiT3_T4_lilT5_lili
; %bb.0:
	s_load_b32 s24, s[0:1], 0x58
	s_lshr_b32 s2, ttmp7, 16
	s_wait_kmcnt 0x0
	s_cmp_ge_u32 s2, s24
	s_cbranch_scc1 .LBB28_56
; %bb.1:
	s_clause 0x6
	s_load_b32 s18, s[0:1], 0x28
	s_load_b32 s20, s[0:1], 0x48
	s_load_b128 s[12:15], s[0:1], 0x4
	s_load_b32 s3, s[0:1], 0x60
	s_load_b128 s[4:7], s[0:1], 0x18
	s_load_b128 s[8:11], s[0:1], 0x38
	s_load_b32 s1, s[0:1], 0x14
	s_mul_i32 s0, ttmp9, 0xffffffe8
	s_mul_i32 s22, ttmp9, 24
	v_mov_b32_e32 v1, 0
	v_lshlrev_b32_e32 v69, 2, v0
	v_mul_u32_u24_e32 v27, 0x60, v0
	s_mov_b32 s17, 0
	s_wait_kmcnt 0x0
	s_ashr_i32 s19, s18, 31
	s_ashr_i32 s21, s20, 31
	s_min_i32 s25, s14, 24
	s_add_co_i32 s3, s3, -1
	s_add_co_i32 s15, s15, s0
	v_mad_co_i64_i32 v[25:26], null, s20, v0, 0
	s_add_co_i32 s26, s25, -1
	s_cmp_ge_u32 ttmp9, s3
	v_cmp_gt_i32_e64 s0, s25, v0
	s_cselect_b32 s3, s15, 24
	s_ashr_i32 s23, s22, 31
	s_cmp_lg_u32 s13, 0x84
	v_cmp_gt_i32_e32 vcc_lo, s3, v0
	s_cselect_b32 s27, -1, 0
	s_cmp_gt_i32 s14, 0
	v_lshlrev_b32_e32 v0, 2, v0
	v_dual_mov_b32 v2, v1 :: v_dual_mov_b32 v3, v1
	v_dual_mov_b32 v4, v1 :: v_dual_mov_b32 v5, v1
	v_dual_mov_b32 v6, v1 :: v_dual_mov_b32 v7, v1
	v_dual_mov_b32 v8, v1 :: v_dual_mov_b32 v9, v1
	v_dual_mov_b32 v10, v1 :: v_dual_mov_b32 v11, v1
	v_dual_mov_b32 v12, v1 :: v_dual_mov_b32 v13, v1
	v_dual_mov_b32 v14, v1 :: v_dual_mov_b32 v15, v1
	v_dual_mov_b32 v16, v1 :: v_dual_mov_b32 v17, v1
	v_dual_mov_b32 v18, v1 :: v_dual_mov_b32 v19, v1
	v_dual_mov_b32 v20, v1 :: v_dual_mov_b32 v21, v1
	v_dual_mov_b32 v22, v1 :: v_dual_mov_b32 v23, v1
	v_mov_b32_e32 v24, v1
	s_cselect_b32 s3, -1, 0
	s_cmp_lg_u32 s12, 0x6f
	v_add_nc_u32_e32 v70, v69, v27
	v_lshlrev_b64_e32 v[67:68], 2, v[25:26]
	v_mov_b32_e32 v33, v32
	v_or_b32_e32 v66, 0x900, v69
	v_mov_b32_e32 v32, v31
	v_mov_b32_e32 v31, v30
	;; [unrolled: 1-line block ×31, first 2 shown]
	s_mul_u64 s[20:21], s[20:21], s[22:23]
	s_cselect_b32 s28, -1, 0
	s_lshl_b32 s30, s25, 2
	s_wait_alu 0xfffe
	s_and_b32 s29, vcc_lo, s3
	s_lshl_b64 s[12:13], s[18:19], 2
	s_add_co_i32 s30, s30, -4
	s_lshl_b64 s[6:7], s[6:7], 2
	s_lshl_b64 s[10:11], s[10:11], 2
	;; [unrolled: 1-line block ×3, first 2 shown]
	s_branch .LBB28_3
.LBB28_2:                               ;   in Loop: Header=BB28_3 Depth=1
	s_wait_alu 0xfffe
	s_or_b32 exec_lo, exec_lo, s3
	v_dual_mov_b32 v2, v34 :: v_dual_mov_b32 v3, v35
	v_dual_mov_b32 v4, v36 :: v_dual_mov_b32 v5, v37
	v_dual_mov_b32 v6, v38 :: v_dual_mov_b32 v7, v39
	v_dual_mov_b32 v8, v40 :: v_dual_mov_b32 v9, v41
	v_dual_mov_b32 v10, v42 :: v_dual_mov_b32 v11, v43
	v_dual_mov_b32 v12, v44 :: v_dual_mov_b32 v13, v45
	v_dual_mov_b32 v14, v46 :: v_dual_mov_b32 v15, v47
	v_dual_mov_b32 v16, v48 :: v_dual_mov_b32 v17, v49
	v_dual_mov_b32 v18, v50 :: v_dual_mov_b32 v19, v51
	v_dual_mov_b32 v20, v52 :: v_dual_mov_b32 v21, v53
	v_dual_mov_b32 v22, v54 :: v_dual_mov_b32 v23, v55
	v_dual_mov_b32 v24, v56 :: v_dual_mov_b32 v25, v57
	v_dual_mov_b32 v26, v58 :: v_dual_mov_b32 v27, v59
	v_dual_mov_b32 v28, v60 :: v_dual_mov_b32 v29, v61
	v_dual_mov_b32 v30, v62 :: v_dual_mov_b32 v31, v63
	v_dual_mov_b32 v32, v64 :: v_dual_mov_b32 v33, v65
	s_add_co_i32 s2, s2, 0x10000
	s_wait_alu 0xfffe
	s_cmp_lt_u32 s2, s24
	s_cbranch_scc0 .LBB28_56
.LBB28_3:                               ; =>This Loop Header: Depth=1
                                        ;     Child Loop BB28_5 Depth 2
                                        ;     Child Loop BB28_11 Depth 2
	;; [unrolled: 1-line block ×3, first 2 shown]
                                        ;       Child Loop BB28_17 Depth 3
                                        ;         Child Loop BB28_18 Depth 4
                                        ;         Child Loop BB28_20 Depth 4
                                        ;           Child Loop BB28_21 Depth 5
                                        ;         Child Loop BB28_26 Depth 4
                                        ;           Child Loop BB28_28 Depth 5
                                        ;     Child Loop BB28_34 Depth 2
                                        ;       Child Loop BB28_37 Depth 3
                                        ;         Child Loop BB28_38 Depth 4
                                        ;         Child Loop BB28_41 Depth 4
                                        ;           Child Loop BB28_42 Depth 5
                                        ;         Child Loop BB28_47 Depth 4
                                        ;           Child Loop BB28_49 Depth 5
                                        ;     Child Loop BB28_55 Depth 2
	s_mov_b32 s3, s17
	s_wait_alu 0xfffe
	s_lshl_b64 s[18:19], s[2:3], 3
	s_wait_alu 0xfffe
	s_add_nc_u64 s[20:21], s[8:9], s[18:19]
	global_load_b64 v[34:35], v1, s[20:21]
	s_and_saveexec_b32 s3, s0
	s_cbranch_execz .LBB28_9
; %bb.4:                                ;   in Loop: Header=BB28_3 Depth=1
	s_add_nc_u64 s[18:19], s[4:5], s[18:19]
	v_mov_b32_e32 v38, v69
	global_load_b64 v[36:37], v1, s[18:19]
	s_mov_b32 s16, s25
	s_wait_loadcnt 0x0
	v_add_co_u32 v36, vcc_lo, v36, s6
	s_wait_alu 0xfffd
	v_add_co_ci_u32_e64 v37, null, s7, v37, vcc_lo
	s_delay_alu instid0(VALU_DEP_2) | instskip(SKIP_1) | instid1(VALU_DEP_2)
	v_add_co_u32 v36, vcc_lo, v36, v0
	s_wait_alu 0xfffd
	v_add_co_ci_u32_e64 v37, null, 0, v37, vcc_lo
.LBB28_5:                               ;   Parent Loop BB28_3 Depth=1
                                        ; =>  This Inner Loop Header: Depth=2
	flat_load_b32 v39, v[36:37]
	v_add_co_u32 v36, vcc_lo, v36, s12
	s_wait_alu 0xfffd
	v_add_co_ci_u32_e64 v37, null, s13, v37, vcc_lo
	s_add_co_i32 s16, s16, -1
	s_delay_alu instid0(SALU_CYCLE_1)
	s_cmp_eq_u32 s16, 0
	s_wait_loadcnt_dscnt 0x0
	ds_store_b32 v38, v39
	v_add_nc_u32_e32 v38, 0x60, v38
	s_cbranch_scc0 .LBB28_5
; %bb.6:                                ;   in Loop: Header=BB28_3 Depth=1
	v_mov_b32_e32 v36, 1.0
	s_and_b32 vcc_lo, exec_lo, s27
	s_wait_alu 0xfffe
	s_cbranch_vccz .LBB28_8
; %bb.7:                                ;   in Loop: Header=BB28_3 Depth=1
	ds_load_b32 v36, v70
	s_wait_dscnt 0x0
	v_div_scale_f32 v37, null, v36, v36, 1.0
	s_delay_alu instid0(VALU_DEP_1) | instskip(NEXT) | instid1(TRANS32_DEP_1)
	v_rcp_f32_e32 v38, v37
	v_fma_f32 v39, -v37, v38, 1.0
	s_delay_alu instid0(VALU_DEP_1) | instskip(SKIP_1) | instid1(VALU_DEP_1)
	v_fmac_f32_e32 v38, v39, v38
	v_div_scale_f32 v39, vcc_lo, 1.0, v36, 1.0
	v_mul_f32_e32 v40, v39, v38
	s_delay_alu instid0(VALU_DEP_1) | instskip(NEXT) | instid1(VALU_DEP_1)
	v_fma_f32 v41, -v37, v40, v39
	v_fmac_f32_e32 v40, v41, v38
	s_delay_alu instid0(VALU_DEP_1) | instskip(SKIP_1) | instid1(VALU_DEP_1)
	v_fma_f32 v37, -v37, v40, v39
	s_wait_alu 0xfffd
	v_div_fmas_f32 v37, v37, v38, v40
	s_delay_alu instid0(VALU_DEP_1)
	v_div_fixup_f32 v36, v37, v36, 1.0
.LBB28_8:                               ;   in Loop: Header=BB28_3 Depth=1
	ds_store_b32 v70, v36
.LBB28_9:                               ;   in Loop: Header=BB28_3 Depth=1
	s_wait_alu 0xfffe
	s_or_b32 exec_lo, exec_lo, s3
	s_wait_loadcnt 0x0
	v_add_co_u32 v34, vcc_lo, v34, s10
	s_wait_alu 0xfffd
	v_add_co_ci_u32_e64 v35, null, s11, v35, vcc_lo
	s_delay_alu instid0(VALU_DEP_2) | instskip(SKIP_1) | instid1(VALU_DEP_2)
	v_add_co_u32 v71, vcc_lo, v34, s14
	s_wait_alu 0xfffd
	v_add_co_ci_u32_e64 v72, null, s15, v35, vcc_lo
	s_and_saveexec_b32 s3, s29
	s_cbranch_execz .LBB28_12
; %bb.10:                               ;   in Loop: Header=BB28_3 Depth=1
	v_add_co_u32 v34, vcc_lo, v71, v67
	s_wait_alu 0xfffd
	v_add_co_ci_u32_e64 v35, null, v72, v68, vcc_lo
	v_mov_b32_e32 v36, v66
	s_mov_b32 s16, s25
.LBB28_11:                              ;   Parent Loop BB28_3 Depth=1
                                        ; =>  This Inner Loop Header: Depth=2
	flat_load_b32 v37, v[34:35]
	v_add_co_u32 v34, vcc_lo, v34, 4
	s_wait_alu 0xfffd
	v_add_co_ci_u32_e64 v35, null, 0, v35, vcc_lo
	s_add_co_i32 s16, s16, -1
	s_delay_alu instid0(SALU_CYCLE_1)
	s_cmp_lg_u32 s16, 0
	s_wait_loadcnt_dscnt 0x0
	v_mul_f32_e32 v37, s1, v37
	ds_store_b32 v36, v37
	v_add_nc_u32_e32 v36, 0x60, v36
	s_cbranch_scc1 .LBB28_11
.LBB28_12:                              ;   in Loop: Header=BB28_3 Depth=1
	s_wait_alu 0xfffe
	s_or_b32 exec_lo, exec_lo, s3
	s_delay_alu instid0(SALU_CYCLE_1)
	s_and_not1_b32 vcc_lo, exec_lo, s28
	s_mov_b32 s3, -1
	s_wait_dscnt 0x0
	; wave barrier
	global_inv scope:SCOPE_SE
                                        ; implicit-def: $vgpr34_vgpr35_vgpr36_vgpr37_vgpr38_vgpr39_vgpr40_vgpr41_vgpr42_vgpr43_vgpr44_vgpr45_vgpr46_vgpr47_vgpr48_vgpr49_vgpr50_vgpr51_vgpr52_vgpr53_vgpr54_vgpr55_vgpr56_vgpr57_vgpr58_vgpr59_vgpr60_vgpr61_vgpr62_vgpr63_vgpr64_vgpr65
	s_wait_alu 0xfffe
	s_cbranch_vccnz .LBB28_32
; %bb.13:                               ;   in Loop: Header=BB28_3 Depth=1
	v_dual_mov_b32 v65, v33 :: v_dual_mov_b32 v64, v32
	v_dual_mov_b32 v63, v31 :: v_dual_mov_b32 v62, v30
	;; [unrolled: 1-line block ×16, first 2 shown]
	s_mov_b32 s16, 0
	s_mov_b32 s3, s26
.LBB28_14:                              ;   Parent Loop BB28_3 Depth=1
                                        ; =>  This Loop Header: Depth=2
                                        ;       Child Loop BB28_17 Depth 3
                                        ;         Child Loop BB28_18 Depth 4
                                        ;         Child Loop BB28_20 Depth 4
                                        ;           Child Loop BB28_21 Depth 5
                                        ;         Child Loop BB28_26 Depth 4
                                        ;           Child Loop BB28_28 Depth 5
	s_getpc_b64 s[18:19]
	s_wait_alu 0xfffe
	s_sext_i32_i16 s19, s19
	s_add_co_u32 s18, s18, __const._ZL38rocblas_trsm_small_left_device_sharedBILi24ELi24ELb1EffPKPKfPKPfEv13rocblas_fill_18rocblas_operation_17rocblas_diagonal_iiT3_T4_lilT5_lili.step_sizes@rel32@lo+12
	s_wait_alu 0xfffe
	s_add_co_ci_u32 s19, s19, __const._ZL38rocblas_trsm_small_left_device_sharedBILi24ELi24ELb1EffPKPKfPKPfEv13rocblas_fill_18rocblas_operation_17rocblas_diagonal_iiT3_T4_lilT5_lili.step_sizes@rel32@hi+24
	s_lshl_b64 s[20:21], s[16:17], 2
	s_wait_alu 0xfffe
	s_add_nc_u64 s[18:19], s[18:19], s[20:21]
	s_load_b32 s31, s[18:19], 0x0
	s_wait_kmcnt 0x0
	s_add_co_i32 s33, s31, -1
	s_wait_alu 0xfffe
	s_cmp_lt_i32 s3, s33
	s_cbranch_scc1 .LBB28_29
; %bb.15:                               ;   in Loop: Header=BB28_14 Depth=2
	s_mul_i32 s18, s3, 0x60
	s_max_i32 s34, s31, 1
	s_wait_alu 0xfffe
	v_add_nc_u32_e32 v73, s18, v66
	s_mul_i32 s35, s31, 0xffffffa0
	s_add_co_i32 s36, s30, s18
	s_mul_i32 s37, s3, 0x64
	s_mul_i32 s38, s31, 0xffffff9c
	s_branch .LBB28_17
.LBB28_16:                              ;   in Loop: Header=BB28_17 Depth=3
	v_add_nc_u32_e32 v73, s35, v73
	s_sub_co_i32 s3, s3, s31
	s_add_co_i32 s36, s36, s35
	s_add_co_i32 s37, s37, s38
	s_wait_alu 0xfffe
	s_cmp_lt_i32 s3, s33
	s_cbranch_scc1 .LBB28_29
.LBB28_17:                              ;   Parent Loop BB28_3 Depth=1
                                        ;     Parent Loop BB28_14 Depth=2
                                        ; =>    This Loop Header: Depth=3
                                        ;         Child Loop BB28_18 Depth 4
                                        ;         Child Loop BB28_20 Depth 4
                                        ;           Child Loop BB28_21 Depth 5
                                        ;         Child Loop BB28_26 Depth 4
                                        ;           Child Loop BB28_28 Depth 5
	v_mov_b32_e32 v74, v73
	s_mov_b64 s[18:19], 0
.LBB28_18:                              ;   Parent Loop BB28_3 Depth=1
                                        ;     Parent Loop BB28_14 Depth=2
                                        ;       Parent Loop BB28_17 Depth=3
                                        ; =>      This Inner Loop Header: Depth=4
	ds_load_b32 v75, v74
	v_add_nc_u32_e32 v74, 0xffffffa0, v74
	s_wait_alu 0xfffe
	s_mov_b32 m0, s18
	s_add_nc_u64 s[18:19], s[18:19], 1
	s_wait_alu 0xfffe
	s_cmp_eq_u32 s34, s18
	s_wait_dscnt 0x0
	v_movreld_b32_e32 v34, v75
	s_cbranch_scc0 .LBB28_18
; %bb.19:                               ;   in Loop: Header=BB28_17 Depth=3
	s_cmp_le_i32 s26, s3
	s_mov_b32 s20, s36
	s_mov_b32 s21, s26
	s_cbranch_scc1 .LBB28_23
.LBB28_20:                              ;   Parent Loop BB28_3 Depth=1
                                        ;     Parent Loop BB28_14 Depth=2
                                        ;       Parent Loop BB28_17 Depth=3
                                        ; =>      This Loop Header: Depth=4
                                        ;           Child Loop BB28_21 Depth 5
	s_wait_alu 0xfffe
	v_mad_co_u64_u32 v[74:75], null, 0x60, s21, v[66:67]
	s_mov_b64 s[18:19], 0
	s_mov_b32 s22, s20
	ds_load_b32 v74, v74
.LBB28_21:                              ;   Parent Loop BB28_3 Depth=1
                                        ;     Parent Loop BB28_14 Depth=2
                                        ;       Parent Loop BB28_17 Depth=3
                                        ;         Parent Loop BB28_20 Depth=4
                                        ; =>        This Inner Loop Header: Depth=5
	s_wait_alu 0xfffe
	v_mov_b32_e32 v75, s22
	s_mov_b32 m0, s18
	s_add_nc_u64 s[18:19], s[18:19], 1
	v_movrels_b32_e32 v76, v34
	s_addk_co_i32 s22, 0xffa0
	ds_load_b32 v75, v75
	s_wait_alu 0xfffe
	s_cmp_eq_u32 s34, s18
	s_wait_dscnt 0x0
	v_fma_f32 v75, -v74, v75, v76
	s_delay_alu instid0(VALU_DEP_1)
	v_movreld_b32_e32 v34, v75
	s_cbranch_scc0 .LBB28_21
; %bb.22:                               ;   in Loop: Header=BB28_20 Depth=4
	s_add_co_i32 s21, s21, -1
	s_add_co_i32 s20, s20, -4
	s_wait_alu 0xfffe
	s_cmp_le_i32 s21, s3
	s_cbranch_scc0 .LBB28_20
.LBB28_23:                              ;   in Loop: Header=BB28_17 Depth=3
	s_mul_i32 s39, s3, 0x60
	s_mov_b64 s[18:19], 0
	s_mov_b32 s40, s37
	s_branch .LBB28_26
.LBB28_24:                              ;   in Loop: Header=BB28_26 Depth=4
	s_mov_b32 s42, s3
	s_mov_b64 s[20:21], 0
	s_mov_b32 s41, s39
.LBB28_25:                              ;   in Loop: Header=BB28_26 Depth=4
	s_wait_alu 0xfffe
	s_mov_b32 m0, s20
	s_mul_i32 s20, s42, 0x64
	v_movrels_b32_e32 v75, v34
	s_wait_alu 0xfffe
	v_mov_b32_e32 v74, s20
	s_add_nc_u64 s[18:19], s[18:19], 1
	s_addk_co_i32 s40, 0xffa0
	s_wait_alu 0xfffe
	s_cmp_eq_u32 s18, s34
	ds_load_b32 v74, v74
	s_wait_dscnt 0x0
	v_mul_f32_e32 v74, v75, v74
	v_add_nc_u32_e32 v75, s41, v66
	s_delay_alu instid0(VALU_DEP_2)
	v_movreld_b32_e32 v34, v74
	ds_store_b32 v75, v74
	s_cbranch_scc1 .LBB28_16
.LBB28_26:                              ;   Parent Loop BB28_3 Depth=1
                                        ;     Parent Loop BB28_14 Depth=2
                                        ;       Parent Loop BB28_17 Depth=3
                                        ; =>      This Loop Header: Depth=4
                                        ;           Child Loop BB28_28 Depth 5
	s_wait_alu 0xfffe
	s_cmp_eq_u32 s18, 0
	s_cbranch_scc1 .LBB28_24
; %bb.27:                               ;   in Loop: Header=BB28_26 Depth=4
	s_sub_co_i32 s42, s3, s18
	s_mov_b64 s[20:21], s[18:19]
	s_mov_b64 s[22:23], 0
	s_mul_i32 s41, s42, 0x60
	s_mov_b32 s21, s40
.LBB28_28:                              ;   Parent Loop BB28_3 Depth=1
                                        ;     Parent Loop BB28_14 Depth=2
                                        ;       Parent Loop BB28_17 Depth=3
                                        ;         Parent Loop BB28_26 Depth=4
                                        ; =>        This Inner Loop Header: Depth=5
	s_wait_alu 0xfffe
	v_mov_b32_e32 v74, s21
	s_mov_b32 m0, s22
	s_add_nc_u64 s[22:23], s[22:23], 1
	v_movrels_b32_e32 v75, v34
	s_mov_b32 m0, s18
	ds_load_b32 v74, v74
	v_movrels_b32_e32 v76, v34
	s_add_co_i32 s21, s21, -4
	s_wait_alu 0xfffe
	s_cmp_eq_u32 s18, s22
	s_wait_dscnt 0x0
	v_fma_f32 v74, -v75, v74, v76
	s_delay_alu instid0(VALU_DEP_1)
	v_movreld_b32_e32 v34, v74
	s_cbranch_scc0 .LBB28_28
	s_branch .LBB28_25
.LBB28_29:                              ;   in Loop: Header=BB28_14 Depth=2
	s_cmp_gt_i32 s3, -1
	s_cselect_b32 s19, -1, 0
	s_add_co_i32 s18, s16, 1
	s_cmp_lt_u32 s16, 2
	s_cselect_b32 s16, -1, 0
	s_wait_alu 0xfffe
	s_and_b32 s16, s19, s16
	s_delay_alu instid0(SALU_CYCLE_1)
	s_and_b32 vcc_lo, exec_lo, s16
	s_wait_alu 0xfffe
	s_cbranch_vccz .LBB28_31
; %bb.30:                               ;   in Loop: Header=BB28_14 Depth=2
	s_mov_b32 s16, s18
	s_branch .LBB28_14
.LBB28_31:                              ;   in Loop: Header=BB28_3 Depth=1
	s_mov_b32 s3, 0
.LBB28_32:                              ;   in Loop: Header=BB28_3 Depth=1
	s_wait_alu 0xfffe
	s_and_b32 vcc_lo, exec_lo, s3
	s_wait_alu 0xfffe
	s_cbranch_vccz .LBB28_53
; %bb.33:                               ;   in Loop: Header=BB28_3 Depth=1
	s_mov_b32 s3, 0
	s_wait_alu 0xfffe
	s_mov_b32 s16, s3
.LBB28_34:                              ;   Parent Loop BB28_3 Depth=1
                                        ; =>  This Loop Header: Depth=2
                                        ;       Child Loop BB28_37 Depth 3
                                        ;         Child Loop BB28_38 Depth 4
                                        ;         Child Loop BB28_41 Depth 4
                                        ;           Child Loop BB28_42 Depth 5
                                        ;         Child Loop BB28_47 Depth 4
                                        ;           Child Loop BB28_49 Depth 5
	s_getpc_b64 s[18:19]
	s_wait_alu 0xfffe
	s_sext_i32_i16 s19, s19
	s_add_co_u32 s18, s18, __const._ZL38rocblas_trsm_small_left_device_sharedBILi24ELi24ELb1EffPKPKfPKPfEv13rocblas_fill_18rocblas_operation_17rocblas_diagonal_iiT3_T4_lilT5_lili.step_sizes@rel32@lo+12
	s_wait_alu 0xfffe
	s_add_co_ci_u32 s19, s19, __const._ZL38rocblas_trsm_small_left_device_sharedBILi24ELi24ELb1EffPKPKfPKPfEv13rocblas_fill_18rocblas_operation_17rocblas_diagonal_iiT3_T4_lilT5_lili.step_sizes@rel32@hi+24
	s_lshl_b64 s[20:21], s[16:17], 2
	s_wait_alu 0xfffe
	s_add_nc_u64 s[18:19], s[18:19], s[20:21]
	s_load_b32 s22, s[18:19], 0x0
	s_wait_kmcnt 0x0
	s_add_co_i32 s23, s22, -1
	s_wait_alu 0xfffe
	s_add_co_i32 s18, s23, s3
	s_wait_alu 0xfffe
	s_cmp_ge_i32 s18, s25
	s_cbranch_scc1 .LBB28_50
; %bb.35:                               ;   in Loop: Header=BB28_34 Depth=2
	v_mad_co_u64_u32 v[34:35], null, 0x60, s3, v[66:67]
	s_max_i32 s31, s22, 1
	s_mul_i32 s33, s22, 0x60
	s_lshl_b32 s34, s3, 2
	s_lshl_b32 s35, s22, 2
	s_mul_i32 s36, s3, 0x64
	s_mul_i32 s37, s22, 0x64
	s_branch .LBB28_37
.LBB28_36:                              ;   in Loop: Header=BB28_37 Depth=3
	s_add_co_i32 s3, s3, s22
	v_add_nc_u32_e32 v34, s33, v34
	s_wait_alu 0xfffe
	s_add_co_i32 s18, s23, s3
	s_add_co_i32 s34, s34, s35
	;; [unrolled: 1-line block ×3, first 2 shown]
	s_wait_alu 0xfffe
	s_cmp_ge_i32 s18, s25
	s_cbranch_scc1 .LBB28_50
.LBB28_37:                              ;   Parent Loop BB28_3 Depth=1
                                        ;     Parent Loop BB28_34 Depth=2
                                        ; =>    This Loop Header: Depth=3
                                        ;         Child Loop BB28_38 Depth 4
                                        ;         Child Loop BB28_41 Depth 4
                                        ;           Child Loop BB28_42 Depth 5
                                        ;         Child Loop BB28_47 Depth 4
                                        ;           Child Loop BB28_49 Depth 5
	v_mov_b32_e32 v35, v34
	s_mov_b64 s[18:19], 0
.LBB28_38:                              ;   Parent Loop BB28_3 Depth=1
                                        ;     Parent Loop BB28_34 Depth=2
                                        ;       Parent Loop BB28_37 Depth=3
                                        ; =>      This Inner Loop Header: Depth=4
	ds_load_b32 v36, v35
	v_add_nc_u32_e32 v35, 0x60, v35
	s_wait_alu 0xfffe
	s_mov_b32 m0, s18
	s_add_nc_u64 s[18:19], s[18:19], 1
	s_wait_alu 0xfffe
	s_cmp_eq_u32 s31, s18
	s_wait_dscnt 0x0
	v_movreld_b32_e32 v2, v36
	s_cbranch_scc0 .LBB28_38
; %bb.39:                               ;   in Loop: Header=BB28_37 Depth=3
	s_cmp_lt_i32 s3, 1
	s_cbranch_scc1 .LBB28_44
; %bb.40:                               ;   in Loop: Header=BB28_37 Depth=3
	s_mov_b32 s20, 0
	s_mov_b32 s21, s34
.LBB28_41:                              ;   Parent Loop BB28_3 Depth=1
                                        ;     Parent Loop BB28_34 Depth=2
                                        ;       Parent Loop BB28_37 Depth=3
                                        ; =>      This Loop Header: Depth=4
                                        ;           Child Loop BB28_42 Depth 5
	s_wait_alu 0xfffe
	v_mad_co_u64_u32 v[35:36], null, 0x60, s20, v[66:67]
	s_mov_b64 s[18:19], 0
	s_mov_b32 s38, s21
	ds_load_b32 v35, v35
.LBB28_42:                              ;   Parent Loop BB28_3 Depth=1
                                        ;     Parent Loop BB28_34 Depth=2
                                        ;       Parent Loop BB28_37 Depth=3
                                        ;         Parent Loop BB28_41 Depth=4
                                        ; =>        This Inner Loop Header: Depth=5
	s_wait_alu 0xfffe
	v_mov_b32_e32 v36, s38
	s_mov_b32 m0, s18
	s_add_nc_u64 s[18:19], s[18:19], 1
	v_movrels_b32_e32 v37, v2
	s_add_co_i32 s38, s38, 4
	ds_load_b32 v36, v36
	s_wait_alu 0xfffe
	s_cmp_eq_u32 s31, s18
	s_wait_dscnt 0x0
	v_fma_f32 v36, -v35, v36, v37
	s_delay_alu instid0(VALU_DEP_1)
	v_movreld_b32_e32 v2, v36
	s_cbranch_scc0 .LBB28_42
; %bb.43:                               ;   in Loop: Header=BB28_41 Depth=4
	s_add_co_i32 s20, s20, 1
	s_addk_co_i32 s21, 0x60
	s_wait_alu 0xfffe
	s_cmp_eq_u32 s20, s3
	s_cbranch_scc0 .LBB28_41
.LBB28_44:                              ;   in Loop: Header=BB28_37 Depth=3
	s_mov_b64 s[18:19], 0
	s_mov_b32 s38, s36
	s_branch .LBB28_47
.LBB28_45:                              ;   in Loop: Header=BB28_47 Depth=4
	s_mov_b64 s[20:21], s[18:19]
.LBB28_46:                              ;   in Loop: Header=BB28_47 Depth=4
	s_wait_alu 0xfffe
	s_mov_b32 m0, s20
	s_add_co_i32 s20, s18, s3
	v_movrels_b32_e32 v36, v2
	s_wait_alu 0xfffe
	s_mul_i32 s21, s20, 0x64
	s_add_nc_u64 s[18:19], s[18:19], 1
	s_wait_alu 0xfffe
	v_mov_b32_e32 v35, s21
	s_add_co_i32 s38, s38, 4
	s_cmp_eq_u32 s18, s31
	ds_load_b32 v35, v35
	s_wait_dscnt 0x0
	v_mul_f32_e32 v37, v36, v35
	v_mad_co_u64_u32 v[35:36], null, 0x60, s20, v[66:67]
	s_delay_alu instid0(VALU_DEP_2)
	v_movreld_b32_e32 v2, v37
	ds_store_b32 v35, v37
	s_cbranch_scc1 .LBB28_36
.LBB28_47:                              ;   Parent Loop BB28_3 Depth=1
                                        ;     Parent Loop BB28_34 Depth=2
                                        ;       Parent Loop BB28_37 Depth=3
                                        ; =>      This Loop Header: Depth=4
                                        ;           Child Loop BB28_49 Depth 5
	s_mov_b64 s[20:21], 0
	s_wait_alu 0xfffe
	s_cmp_eq_u32 s18, 0
	s_cbranch_scc1 .LBB28_46
; %bb.48:                               ;   in Loop: Header=BB28_47 Depth=4
	s_mov_b32 s39, s38
.LBB28_49:                              ;   Parent Loop BB28_3 Depth=1
                                        ;     Parent Loop BB28_34 Depth=2
                                        ;       Parent Loop BB28_37 Depth=3
                                        ;         Parent Loop BB28_47 Depth=4
                                        ; =>        This Inner Loop Header: Depth=5
	s_wait_alu 0xfffe
	v_mov_b32_e32 v35, s39
	s_mov_b32 m0, s20
	s_add_nc_u64 s[20:21], s[20:21], 1
	v_movrels_b32_e32 v36, v2
	s_mov_b32 m0, s18
	ds_load_b32 v35, v35
	v_movrels_b32_e32 v37, v2
	s_addk_co_i32 s39, 0x60
	s_wait_alu 0xfffe
	s_cmp_eq_u32 s18, s20
	s_wait_dscnt 0x0
	v_fma_f32 v35, -v36, v35, v37
	s_delay_alu instid0(VALU_DEP_1)
	v_movreld_b32_e32 v2, v35
	s_cbranch_scc0 .LBB28_49
	s_branch .LBB28_45
.LBB28_50:                              ;   in Loop: Header=BB28_34 Depth=2
	s_cmp_lt_i32 s3, s25
	s_cselect_b32 s19, -1, 0
	s_add_co_i32 s18, s16, 1
	s_cmp_lt_u32 s16, 2
	s_cselect_b32 s16, -1, 0
	s_wait_alu 0xfffe
	s_and_b32 s16, s19, s16
	s_delay_alu instid0(SALU_CYCLE_1)
	s_and_not1_b32 vcc_lo, exec_lo, s16
	s_wait_alu 0xfffe
	s_cbranch_vccnz .LBB28_52
; %bb.51:                               ;   in Loop: Header=BB28_34 Depth=2
	s_mov_b32 s16, s18
	s_branch .LBB28_34
.LBB28_52:                              ;   in Loop: Header=BB28_3 Depth=1
	v_dual_mov_b32 v65, v33 :: v_dual_mov_b32 v64, v32
	v_dual_mov_b32 v63, v31 :: v_dual_mov_b32 v62, v30
	;; [unrolled: 1-line block ×16, first 2 shown]
.LBB28_53:                              ;   in Loop: Header=BB28_3 Depth=1
	; wave barrier
	s_wait_loadcnt_dscnt 0x0
	global_inv scope:SCOPE_SE
	s_and_saveexec_b32 s3, s29
	s_cbranch_execz .LBB28_2
; %bb.54:                               ;   in Loop: Header=BB28_3 Depth=1
	v_add_co_u32 v2, vcc_lo, v71, v67
	s_wait_alu 0xfffd
	v_add_co_ci_u32_e64 v3, null, v72, v68, vcc_lo
	v_mov_b32_e32 v4, v66
	s_mov_b32 s16, s25
.LBB28_55:                              ;   Parent Loop BB28_3 Depth=1
                                        ; =>  This Inner Loop Header: Depth=2
	ds_load_b32 v5, v4
	v_add_nc_u32_e32 v4, 0x60, v4
	s_add_co_i32 s16, s16, -1
	s_delay_alu instid0(SALU_CYCLE_1)
	s_cmp_lg_u32 s16, 0
	s_wait_dscnt 0x0
	flat_store_b32 v[2:3], v5
	v_add_co_u32 v2, vcc_lo, v2, 4
	s_wait_alu 0xfffd
	v_add_co_ci_u32_e64 v3, null, 0, v3, vcc_lo
	s_cbranch_scc1 .LBB28_55
	s_branch .LBB28_2
.LBB28_56:
	s_endpgm
	.section	.rodata,"a",@progbits
	.p2align	6, 0x0
	.amdhsa_kernel _ZL38rocblas_trsm_small_left_device_sharedBILi24ELi24ELb1EffPKPKfPKPfEv13rocblas_fill_18rocblas_operation_17rocblas_diagonal_iiT3_T4_lilT5_lili
		.amdhsa_group_segment_fixed_size 4608
		.amdhsa_private_segment_fixed_size 0
		.amdhsa_kernarg_size 352
		.amdhsa_user_sgpr_count 2
		.amdhsa_user_sgpr_dispatch_ptr 0
		.amdhsa_user_sgpr_queue_ptr 0
		.amdhsa_user_sgpr_kernarg_segment_ptr 1
		.amdhsa_user_sgpr_dispatch_id 0
		.amdhsa_user_sgpr_private_segment_size 0
		.amdhsa_wavefront_size32 1
		.amdhsa_uses_dynamic_stack 0
		.amdhsa_enable_private_segment 0
		.amdhsa_system_sgpr_workgroup_id_x 1
		.amdhsa_system_sgpr_workgroup_id_y 0
		.amdhsa_system_sgpr_workgroup_id_z 1
		.amdhsa_system_sgpr_workgroup_info 0
		.amdhsa_system_vgpr_workitem_id 0
		.amdhsa_next_free_vgpr 193
		.amdhsa_next_free_sgpr 43
		.amdhsa_reserve_vcc 1
		.amdhsa_float_round_mode_32 0
		.amdhsa_float_round_mode_16_64 0
		.amdhsa_float_denorm_mode_32 3
		.amdhsa_float_denorm_mode_16_64 3
		.amdhsa_fp16_overflow 0
		.amdhsa_workgroup_processor_mode 1
		.amdhsa_memory_ordered 1
		.amdhsa_forward_progress 1
		.amdhsa_inst_pref_size 23
		.amdhsa_round_robin_scheduling 0
		.amdhsa_exception_fp_ieee_invalid_op 0
		.amdhsa_exception_fp_denorm_src 0
		.amdhsa_exception_fp_ieee_div_zero 0
		.amdhsa_exception_fp_ieee_overflow 0
		.amdhsa_exception_fp_ieee_underflow 0
		.amdhsa_exception_fp_ieee_inexact 0
		.amdhsa_exception_int_div_zero 0
	.end_amdhsa_kernel
	.section	.text._ZL38rocblas_trsm_small_left_device_sharedBILi24ELi24ELb1EffPKPKfPKPfEv13rocblas_fill_18rocblas_operation_17rocblas_diagonal_iiT3_T4_lilT5_lili,"axG",@progbits,_ZL38rocblas_trsm_small_left_device_sharedBILi24ELi24ELb1EffPKPKfPKPfEv13rocblas_fill_18rocblas_operation_17rocblas_diagonal_iiT3_T4_lilT5_lili,comdat
.Lfunc_end28:
	.size	_ZL38rocblas_trsm_small_left_device_sharedBILi24ELi24ELb1EffPKPKfPKPfEv13rocblas_fill_18rocblas_operation_17rocblas_diagonal_iiT3_T4_lilT5_lili, .Lfunc_end28-_ZL38rocblas_trsm_small_left_device_sharedBILi24ELi24ELb1EffPKPKfPKPfEv13rocblas_fill_18rocblas_operation_17rocblas_diagonal_iiT3_T4_lilT5_lili
                                        ; -- End function
	.set _ZL38rocblas_trsm_small_left_device_sharedBILi24ELi24ELb1EffPKPKfPKPfEv13rocblas_fill_18rocblas_operation_17rocblas_diagonal_iiT3_T4_lilT5_lili.num_vgpr, 77
	.set _ZL38rocblas_trsm_small_left_device_sharedBILi24ELi24ELb1EffPKPKfPKPfEv13rocblas_fill_18rocblas_operation_17rocblas_diagonal_iiT3_T4_lilT5_lili.num_agpr, 0
	.set _ZL38rocblas_trsm_small_left_device_sharedBILi24ELi24ELb1EffPKPKfPKPfEv13rocblas_fill_18rocblas_operation_17rocblas_diagonal_iiT3_T4_lilT5_lili.numbered_sgpr, 43
	.set _ZL38rocblas_trsm_small_left_device_sharedBILi24ELi24ELb1EffPKPKfPKPfEv13rocblas_fill_18rocblas_operation_17rocblas_diagonal_iiT3_T4_lilT5_lili.num_named_barrier, 0
	.set _ZL38rocblas_trsm_small_left_device_sharedBILi24ELi24ELb1EffPKPKfPKPfEv13rocblas_fill_18rocblas_operation_17rocblas_diagonal_iiT3_T4_lilT5_lili.private_seg_size, 0
	.set _ZL38rocblas_trsm_small_left_device_sharedBILi24ELi24ELb1EffPKPKfPKPfEv13rocblas_fill_18rocblas_operation_17rocblas_diagonal_iiT3_T4_lilT5_lili.uses_vcc, 1
	.set _ZL38rocblas_trsm_small_left_device_sharedBILi24ELi24ELb1EffPKPKfPKPfEv13rocblas_fill_18rocblas_operation_17rocblas_diagonal_iiT3_T4_lilT5_lili.uses_flat_scratch, 0
	.set _ZL38rocblas_trsm_small_left_device_sharedBILi24ELi24ELb1EffPKPKfPKPfEv13rocblas_fill_18rocblas_operation_17rocblas_diagonal_iiT3_T4_lilT5_lili.has_dyn_sized_stack, 0
	.set _ZL38rocblas_trsm_small_left_device_sharedBILi24ELi24ELb1EffPKPKfPKPfEv13rocblas_fill_18rocblas_operation_17rocblas_diagonal_iiT3_T4_lilT5_lili.has_recursion, 0
	.set _ZL38rocblas_trsm_small_left_device_sharedBILi24ELi24ELb1EffPKPKfPKPfEv13rocblas_fill_18rocblas_operation_17rocblas_diagonal_iiT3_T4_lilT5_lili.has_indirect_call, 0
	.section	.AMDGPU.csdata,"",@progbits
; Kernel info:
; codeLenInByte = 2824
; TotalNumSgprs: 45
; NumVgprs: 77
; ScratchSize: 0
; MemoryBound: 0
; FloatMode: 240
; IeeeMode: 1
; LDSByteSize: 4608 bytes/workgroup (compile time only)
; SGPRBlocks: 0
; VGPRBlocks: 24
; NumSGPRsForWavesPerEU: 45
; NumVGPRsForWavesPerEU: 193
; Occupancy: 7
; WaveLimiterHint : 0
; COMPUTE_PGM_RSRC2:SCRATCH_EN: 0
; COMPUTE_PGM_RSRC2:USER_SGPR: 2
; COMPUTE_PGM_RSRC2:TRAP_HANDLER: 0
; COMPUTE_PGM_RSRC2:TGID_X_EN: 1
; COMPUTE_PGM_RSRC2:TGID_Y_EN: 0
; COMPUTE_PGM_RSRC2:TGID_Z_EN: 1
; COMPUTE_PGM_RSRC2:TIDIG_COMP_CNT: 0
	.section	.text._ZL30rocblas_trsm_small_left_deviceILi24ELi24ELb1EffPKPKfPKPfEv13rocblas_fill_18rocblas_operation_17rocblas_diagonal_iiT3_T4_lilT5_lili,"axG",@progbits,_ZL30rocblas_trsm_small_left_deviceILi24ELi24ELb1EffPKPKfPKPfEv13rocblas_fill_18rocblas_operation_17rocblas_diagonal_iiT3_T4_lilT5_lili,comdat
	.globl	_ZL30rocblas_trsm_small_left_deviceILi24ELi24ELb1EffPKPKfPKPfEv13rocblas_fill_18rocblas_operation_17rocblas_diagonal_iiT3_T4_lilT5_lili ; -- Begin function _ZL30rocblas_trsm_small_left_deviceILi24ELi24ELb1EffPKPKfPKPfEv13rocblas_fill_18rocblas_operation_17rocblas_diagonal_iiT3_T4_lilT5_lili
	.p2align	8
	.type	_ZL30rocblas_trsm_small_left_deviceILi24ELi24ELb1EffPKPKfPKPfEv13rocblas_fill_18rocblas_operation_17rocblas_diagonal_iiT3_T4_lilT5_lili,@function
_ZL30rocblas_trsm_small_left_deviceILi24ELi24ELb1EffPKPKfPKPfEv13rocblas_fill_18rocblas_operation_17rocblas_diagonal_iiT3_T4_lilT5_lili: ; @_ZL30rocblas_trsm_small_left_deviceILi24ELi24ELb1EffPKPKfPKPfEv13rocblas_fill_18rocblas_operation_17rocblas_diagonal_iiT3_T4_lilT5_lili
; %bb.0:
	s_load_b32 s28, s[0:1], 0x58
	s_lshr_b32 s2, ttmp7, 16
	s_wait_kmcnt 0x0
	s_cmp_ge_u32 s2, s28
	s_cbranch_scc1 .LBB29_53
; %bb.1:
	s_clause 0x6
	s_load_b32 s16, s[0:1], 0x28
	s_load_b128 s[12:15], s[0:1], 0x4
	s_load_b32 s3, s[0:1], 0x60
	s_load_b32 s18, s[0:1], 0x48
	s_load_b128 s[4:7], s[0:1], 0x18
	s_load_b128 s[8:11], s[0:1], 0x38
	s_load_b32 s29, s[0:1], 0x14
	v_mad_co_u64_u32 v[2:3], null, ttmp9, 24, v[0:1]
	s_mul_i32 s0, ttmp9, 0xffffffe8
	v_dual_mov_b32 v1, 0 :: v_dual_lshlrev_b32 v72, 2, v0
	v_mul_u32_u24_e32 v34, 0x60, v0
	s_mov_b32 s36, 0
	s_delay_alu instid0(VALU_DEP_2)
	v_dual_mov_b32 v4, v1 :: v_dual_mov_b32 v5, v1
	v_dual_mov_b32 v6, v1 :: v_dual_mov_b32 v7, v1
	s_wait_kmcnt 0x0
	s_ashr_i32 s17, s16, 31
	s_min_i32 s30, s14, 24
	s_add_co_i32 s3, s3, -1
	v_mad_co_i64_i32 v[2:3], null, s18, v2, 0
	s_wait_alu 0xfffe
	s_add_co_i32 s0, s15, s0
	s_add_co_i32 s31, s30, -1
	s_wait_alu 0xfffe
	s_cmp_ge_u32 ttmp9, s3
	v_dual_mov_b32 v8, v1 :: v_dual_mov_b32 v9, v1
	s_cselect_b32 s1, s0, 24
	s_cmp_lg_u32 s13, 0x84
	v_lshlrev_b64_e32 v[66:67], 2, v[2:3]
	s_cselect_b32 s33, -1, 0
	s_cmp_lg_u32 s12, 0x6f
	v_dual_mov_b32 v2, v1 :: v_dual_mov_b32 v3, v1
	s_cselect_b32 s34, -1, 0
	s_lshl_b64 s[10:11], s[10:11], 2
	v_dual_mov_b32 v10, v1 :: v_dual_mov_b32 v11, v1
	v_dual_mov_b32 v12, v1 :: v_dual_mov_b32 v13, v1
	;; [unrolled: 1-line block ×7, first 2 shown]
	v_dual_mov_b32 v24, v1 :: v_dual_add_nc_u32 v75, v72, v34
	v_add_co_u32 v73, vcc_lo, v66, s10
	v_cmp_gt_i32_e64 s0, s30, v0
	s_wait_alu 0xfffe
	v_cmp_gt_i32_e64 s1, s1, v0
	v_dual_mov_b32 v33, v32 :: v_dual_lshlrev_b32 v0, 2, v0
	v_add_co_ci_u32_e64 v74, null, s11, v67, vcc_lo
	v_mov_b32_e32 v32, v31
	v_mov_b32_e32 v31, v30
	;; [unrolled: 1-line block ×31, first 2 shown]
	s_lshl_b32 s35, s30, 2
	s_lshl_b64 s[12:13], s[16:17], 2
	s_mov_b32 s15, 0
	s_add_co_i32 s35, s35, -4
	s_lshl_b64 s[6:7], s[6:7], 2
	s_branch .LBB29_5
.LBB29_2:                               ;   in Loop: Header=BB29_5 Depth=1
	v_dual_mov_b32 v65, v33 :: v_dual_mov_b32 v64, v32
	v_dual_mov_b32 v63, v31 :: v_dual_mov_b32 v62, v30
	;; [unrolled: 1-line block ×16, first 2 shown]
.LBB29_3:                               ;   in Loop: Header=BB29_5 Depth=1
	s_add_co_i32 s2, s2, 0x10000
	s_delay_alu instid0(SALU_CYCLE_1) | instskip(SKIP_1) | instid1(SALU_CYCLE_1)
	s_cmp_ge_u32 s2, s28
	s_cselect_b32 s14, -1, 0
	s_or_not1_b32 s14, s14, exec_lo
.LBB29_4:                               ;   in Loop: Header=BB29_5 Depth=1
	s_or_b32 exec_lo, exec_lo, s3
	v_dual_mov_b32 v2, v34 :: v_dual_mov_b32 v3, v35
	v_dual_mov_b32 v4, v36 :: v_dual_mov_b32 v5, v37
	;; [unrolled: 1-line block ×16, first 2 shown]
	s_and_b32 s3, exec_lo, s14
	s_delay_alu instid0(SALU_CYCLE_1) | instskip(NEXT) | instid1(SALU_CYCLE_1)
	s_or_b32 s36, s3, s36
	s_and_not1_b32 exec_lo, exec_lo, s36
	s_cbranch_execz .LBB29_53
.LBB29_5:                               ; =>This Loop Header: Depth=1
                                        ;     Child Loop BB29_7 Depth 2
                                        ;     Child Loop BB29_14 Depth 2
                                        ;       Child Loop BB29_17 Depth 3
                                        ;         Child Loop BB29_18 Depth 4
                                        ;         Child Loop BB29_20 Depth 4
                                        ;           Child Loop BB29_21 Depth 5
                                        ;         Child Loop BB29_26 Depth 4
                                        ;           Child Loop BB29_28 Depth 5
                                        ;     Child Loop BB29_35 Depth 2
                                        ;       Child Loop BB29_38 Depth 3
                                        ;         Child Loop BB29_39 Depth 4
                                        ;         Child Loop BB29_42 Depth 4
                                        ;           Child Loop BB29_43 Depth 5
                                        ;         Child Loop BB29_48 Depth 4
                                        ;           Child Loop BB29_50 Depth 5
	s_mov_b32 s3, s15
	s_delay_alu instid0(SALU_CYCLE_1) | instskip(NEXT) | instid1(SALU_CYCLE_1)
	s_lshl_b64 s[16:17], s[2:3], 3
	s_add_nc_u64 s[18:19], s[8:9], s[16:17]
	global_load_b64 v[68:69], v1, s[18:19]
	s_and_saveexec_b32 s3, s0
	s_cbranch_execz .LBB29_11
; %bb.6:                                ;   in Loop: Header=BB29_5 Depth=1
	s_add_nc_u64 s[16:17], s[4:5], s[16:17]
	v_mov_b32_e32 v36, v72
	global_load_b64 v[34:35], v1, s[16:17]
	s_mov_b32 s14, s30
	s_wait_loadcnt 0x0
	v_add_co_u32 v34, vcc_lo, v34, s6
	s_wait_alu 0xfffd
	v_add_co_ci_u32_e64 v35, null, s7, v35, vcc_lo
	s_delay_alu instid0(VALU_DEP_2) | instskip(SKIP_1) | instid1(VALU_DEP_2)
	v_add_co_u32 v34, vcc_lo, v34, v0
	s_wait_alu 0xfffd
	v_add_co_ci_u32_e64 v35, null, 0, v35, vcc_lo
.LBB29_7:                               ;   Parent Loop BB29_5 Depth=1
                                        ; =>  This Inner Loop Header: Depth=2
	flat_load_b32 v37, v[34:35]
	v_add_co_u32 v34, vcc_lo, v34, s12
	s_wait_alu 0xfffd
	v_add_co_ci_u32_e64 v35, null, s13, v35, vcc_lo
	s_add_co_i32 s14, s14, -1
	s_delay_alu instid0(SALU_CYCLE_1)
	s_cmp_eq_u32 s14, 0
	s_wait_loadcnt_dscnt 0x0
	ds_store_b32 v36, v37
	v_add_nc_u32_e32 v36, 0x60, v36
	s_cbranch_scc0 .LBB29_7
; %bb.8:                                ;   in Loop: Header=BB29_5 Depth=1
	v_mov_b32_e32 v34, 1.0
	s_and_b32 vcc_lo, exec_lo, s33
	s_wait_alu 0xfffe
	s_cbranch_vccz .LBB29_10
; %bb.9:                                ;   in Loop: Header=BB29_5 Depth=1
	ds_load_b32 v34, v75
	s_wait_dscnt 0x0
	v_div_scale_f32 v35, null, v34, v34, 1.0
	s_delay_alu instid0(VALU_DEP_1) | instskip(NEXT) | instid1(TRANS32_DEP_1)
	v_rcp_f32_e32 v36, v35
	v_fma_f32 v37, -v35, v36, 1.0
	s_delay_alu instid0(VALU_DEP_1) | instskip(SKIP_1) | instid1(VALU_DEP_1)
	v_fmac_f32_e32 v36, v37, v36
	v_div_scale_f32 v37, vcc_lo, 1.0, v34, 1.0
	v_mul_f32_e32 v38, v37, v36
	s_delay_alu instid0(VALU_DEP_1) | instskip(NEXT) | instid1(VALU_DEP_1)
	v_fma_f32 v39, -v35, v38, v37
	v_fmac_f32_e32 v38, v39, v36
	s_delay_alu instid0(VALU_DEP_1) | instskip(SKIP_1) | instid1(VALU_DEP_1)
	v_fma_f32 v35, -v35, v38, v37
	s_wait_alu 0xfffd
	v_div_fmas_f32 v35, v35, v36, v38
	s_delay_alu instid0(VALU_DEP_1)
	v_div_fixup_f32 v34, v35, v34, 1.0
.LBB29_10:                              ;   in Loop: Header=BB29_5 Depth=1
	ds_store_b32 v75, v34
.LBB29_11:                              ;   in Loop: Header=BB29_5 Depth=1
	s_or_b32 exec_lo, exec_lo, s3
	s_mov_b32 s14, -1
	; wave barrier
	s_wait_loadcnt_dscnt 0x0
	global_inv scope:SCOPE_SE
                                        ; implicit-def: $vgpr34_vgpr35_vgpr36_vgpr37_vgpr38_vgpr39_vgpr40_vgpr41_vgpr42_vgpr43_vgpr44_vgpr45_vgpr46_vgpr47_vgpr48_vgpr49_vgpr50_vgpr51_vgpr52_vgpr53_vgpr54_vgpr55_vgpr56_vgpr57_vgpr58_vgpr59_vgpr60_vgpr61_vgpr62_vgpr63_vgpr64_vgpr65
	s_and_saveexec_b32 s3, s1
	s_cbranch_execz .LBB29_4
; %bb.12:                               ;   in Loop: Header=BB29_5 Depth=1
	v_add_co_u32 v34, vcc_lo, v68, s10
	s_wait_alu 0xfffd
	v_add_co_ci_u32_e64 v35, null, s11, v69, vcc_lo
	s_delay_alu instid0(VALU_DEP_2) | instskip(SKIP_1) | instid1(VALU_DEP_2)
	v_add_co_u32 v76, vcc_lo, v34, v66
	s_wait_alu 0xfffd
	v_add_co_ci_u32_e64 v77, null, v35, v67, vcc_lo
	s_and_not1_b32 vcc_lo, exec_lo, s34
                                        ; implicit-def: $vgpr34_vgpr35_vgpr36_vgpr37_vgpr38_vgpr39_vgpr40_vgpr41_vgpr42_vgpr43_vgpr44_vgpr45_vgpr46_vgpr47_vgpr48_vgpr49_vgpr50_vgpr51_vgpr52_vgpr53_vgpr54_vgpr55_vgpr56_vgpr57_vgpr58_vgpr59_vgpr60_vgpr61_vgpr62_vgpr63_vgpr64_vgpr65
	s_wait_alu 0xfffe
	s_cbranch_vccnz .LBB29_33
; %bb.13:                               ;   in Loop: Header=BB29_5 Depth=1
	v_add_co_u32 v78, vcc_lo, v68, v73
	v_dual_mov_b32 v65, v33 :: v_dual_mov_b32 v64, v32
	v_dual_mov_b32 v63, v31 :: v_dual_mov_b32 v62, v30
	v_dual_mov_b32 v61, v29 :: v_dual_mov_b32 v60, v28
	v_dual_mov_b32 v59, v27 :: v_dual_mov_b32 v58, v26
	v_dual_mov_b32 v57, v25 :: v_dual_mov_b32 v56, v24
	v_dual_mov_b32 v55, v23 :: v_dual_mov_b32 v54, v22
	v_dual_mov_b32 v53, v21 :: v_dual_mov_b32 v52, v20
	v_dual_mov_b32 v51, v19 :: v_dual_mov_b32 v50, v18
	v_dual_mov_b32 v49, v17 :: v_dual_mov_b32 v48, v16
	v_dual_mov_b32 v47, v15 :: v_dual_mov_b32 v46, v14
	v_dual_mov_b32 v45, v13 :: v_dual_mov_b32 v44, v12
	v_dual_mov_b32 v43, v11 :: v_dual_mov_b32 v42, v10
	v_dual_mov_b32 v41, v9 :: v_dual_mov_b32 v40, v8
	v_dual_mov_b32 v39, v7 :: v_dual_mov_b32 v38, v6
	v_dual_mov_b32 v37, v5 :: v_dual_mov_b32 v36, v4
	v_dual_mov_b32 v35, v3 :: v_dual_mov_b32 v34, v2
	s_wait_alu 0xfffd
	v_add_co_ci_u32_e64 v79, null, v69, v74, vcc_lo
	s_mov_b32 s14, 0
	s_mov_b32 s16, s31
.LBB29_14:                              ;   Parent Loop BB29_5 Depth=1
                                        ; =>  This Loop Header: Depth=2
                                        ;       Child Loop BB29_17 Depth 3
                                        ;         Child Loop BB29_18 Depth 4
                                        ;         Child Loop BB29_20 Depth 4
                                        ;           Child Loop BB29_21 Depth 5
                                        ;         Child Loop BB29_26 Depth 4
                                        ;           Child Loop BB29_28 Depth 5
	s_getpc_b64 s[18:19]
	s_wait_alu 0xfffe
	s_sext_i32_i16 s19, s19
	s_add_co_u32 s18, s18, __const._ZL30rocblas_trsm_small_left_deviceILi24ELi24ELb1EffPKPKfPKPfEv13rocblas_fill_18rocblas_operation_17rocblas_diagonal_iiT3_T4_lilT5_lili.step_sizes@rel32@lo+12
	s_wait_alu 0xfffe
	s_add_co_ci_u32 s19, s19, __const._ZL30rocblas_trsm_small_left_deviceILi24ELi24ELb1EffPKPKfPKPfEv13rocblas_fill_18rocblas_operation_17rocblas_diagonal_iiT3_T4_lilT5_lili.step_sizes@rel32@hi+24
	s_lshl_b64 s[20:21], s[14:15], 2
	s_wait_alu 0xfffe
	s_add_nc_u64 s[18:19], s[18:19], s[20:21]
	s_load_b32 s26, s[18:19], 0x0
	s_wait_kmcnt 0x0
	s_add_co_i32 s27, s26, -1
	s_wait_alu 0xfffe
	s_cmp_lt_i32 s16, s27
	s_cbranch_scc1 .LBB29_30
; %bb.15:                               ;   in Loop: Header=BB29_14 Depth=2
	s_mul_i32 s17, s16, 0x60
	s_max_i32 s37, s26, 1
	s_add_co_i32 s38, s35, s17
	s_mul_i32 s39, s26, 0xffffffa0
	s_mul_i32 s40, s16, 0x64
	;; [unrolled: 1-line block ×3, first 2 shown]
	s_branch .LBB29_17
.LBB29_16:                              ;   in Loop: Header=BB29_17 Depth=3
	s_sub_co_i32 s16, s16, s26
	s_add_co_i32 s38, s38, s39
	s_add_co_i32 s40, s40, s41
	s_cmp_lt_i32 s16, s27
	s_cbranch_scc1 .LBB29_30
.LBB29_17:                              ;   Parent Loop BB29_5 Depth=1
                                        ;     Parent Loop BB29_14 Depth=2
                                        ; =>    This Loop Header: Depth=3
                                        ;         Child Loop BB29_18 Depth 4
                                        ;         Child Loop BB29_20 Depth 4
                                        ;           Child Loop BB29_21 Depth 5
                                        ;         Child Loop BB29_26 Depth 4
                                        ;           Child Loop BB29_28 Depth 5
	s_ashr_i32 s17, s16, 31
	s_delay_alu instid0(SALU_CYCLE_1)
	s_lshl_b64 s[18:19], s[16:17], 2
	s_wait_alu 0xfffe
	v_add_co_u32 v70, vcc_lo, v78, s18
	s_wait_alu 0xfffd
	v_add_co_ci_u32_e64 v71, null, s19, v79, vcc_lo
	s_mov_b64 s[18:19], 0
.LBB29_18:                              ;   Parent Loop BB29_5 Depth=1
                                        ;     Parent Loop BB29_14 Depth=2
                                        ;       Parent Loop BB29_17 Depth=3
                                        ; =>      This Inner Loop Header: Depth=4
	flat_load_b32 v80, v[70:71]
	v_add_co_u32 v70, vcc_lo, v70, -4
	s_wait_alu 0xfffd
	v_add_co_ci_u32_e64 v71, null, -1, v71, vcc_lo
	s_wait_alu 0xfffe
	s_mov_b32 m0, s18
	s_add_nc_u64 s[18:19], s[18:19], 1
	s_wait_alu 0xfffe
	s_cmp_eq_u32 s37, s18
	s_wait_loadcnt_dscnt 0x0
	v_mul_f32_e32 v80, s29, v80
	s_delay_alu instid0(VALU_DEP_1)
	v_movreld_b32_e32 v34, v80
	s_cbranch_scc0 .LBB29_18
; %bb.19:                               ;   in Loop: Header=BB29_17 Depth=3
	s_cmp_le_i32 s31, s16
	s_mov_b32 s22, s38
	s_mov_b32 s18, s31
	s_cbranch_scc1 .LBB29_23
.LBB29_20:                              ;   Parent Loop BB29_5 Depth=1
                                        ;     Parent Loop BB29_14 Depth=2
                                        ;       Parent Loop BB29_17 Depth=3
                                        ; =>      This Loop Header: Depth=4
                                        ;           Child Loop BB29_21 Depth 5
	s_wait_alu 0xfffe
	s_ashr_i32 s19, s18, 31
	s_wait_alu 0xfffe
	s_lshl_b64 s[20:21], s[18:19], 2
	s_mov_b32 s19, s22
	s_wait_alu 0xfffe
	v_add_co_u32 v70, vcc_lo, v76, s20
	s_wait_alu 0xfffd
	v_add_co_ci_u32_e64 v71, null, s21, v77, vcc_lo
	s_mov_b64 s[20:21], 0
	flat_load_b32 v70, v[70:71]
.LBB29_21:                              ;   Parent Loop BB29_5 Depth=1
                                        ;     Parent Loop BB29_14 Depth=2
                                        ;       Parent Loop BB29_17 Depth=3
                                        ;         Parent Loop BB29_20 Depth=4
                                        ; =>        This Inner Loop Header: Depth=5
	s_wait_alu 0xfffe
	v_mov_b32_e32 v71, s19
	s_mov_b32 m0, s20
	s_add_nc_u64 s[20:21], s[20:21], 1
	v_movrels_b32_e32 v80, v34
	s_addk_co_i32 s19, 0xffa0
	ds_load_b32 v71, v71
	s_wait_alu 0xfffe
	s_cmp_eq_u32 s37, s20
	s_wait_loadcnt_dscnt 0x0
	v_fma_f32 v71, -v70, v71, v80
	s_delay_alu instid0(VALU_DEP_1)
	v_movreld_b32_e32 v34, v71
	s_cbranch_scc0 .LBB29_21
; %bb.22:                               ;   in Loop: Header=BB29_20 Depth=4
	s_add_co_i32 s18, s18, -1
	s_add_co_i32 s22, s22, -4
	s_wait_alu 0xfffe
	s_cmp_le_i32 s18, s16
	s_cbranch_scc0 .LBB29_20
.LBB29_23:                              ;   in Loop: Header=BB29_17 Depth=3
	s_mov_b64 s[18:19], 0
	s_mov_b32 s42, s40
	s_branch .LBB29_26
.LBB29_24:                              ;   in Loop: Header=BB29_26 Depth=4
	s_mov_b32 s22, s16
	s_mov_b64 s[20:21], 0
	s_mov_b64 s[24:25], s[16:17]
.LBB29_25:                              ;   in Loop: Header=BB29_26 Depth=4
	s_wait_alu 0xfffe
	s_mov_b32 m0, s20
	s_mul_i32 s20, s22, 0x64
	v_movrels_b32_e32 v71, v34
	s_wait_alu 0xfffe
	v_mov_b32_e32 v70, s20
	s_lshl_b64 s[20:21], s[24:25], 2
	s_add_nc_u64 s[18:19], s[18:19], 1
	s_addk_co_i32 s42, 0xffa0
	s_wait_alu 0xfffe
	s_cmp_eq_u32 s18, s37
	ds_load_b32 v70, v70
	s_wait_dscnt 0x0
	v_mul_f32_e32 v80, v71, v70
	v_add_co_u32 v70, vcc_lo, v76, s20
	s_wait_alu 0xfffd
	v_add_co_ci_u32_e64 v71, null, s21, v77, vcc_lo
	s_delay_alu instid0(VALU_DEP_3)
	v_movreld_b32_e32 v34, v80
	flat_store_b32 v[70:71], v80
	s_cbranch_scc1 .LBB29_16
.LBB29_26:                              ;   Parent Loop BB29_5 Depth=1
                                        ;     Parent Loop BB29_14 Depth=2
                                        ;       Parent Loop BB29_17 Depth=3
                                        ; =>      This Loop Header: Depth=4
                                        ;           Child Loop BB29_28 Depth 5
	s_wait_alu 0xfffe
	s_cmp_eq_u32 s18, 0
	s_cbranch_scc1 .LBB29_24
; %bb.27:                               ;   in Loop: Header=BB29_26 Depth=4
	s_mov_b64 s[20:21], s[18:19]
	s_mov_b64 s[22:23], 0
	s_mov_b32 s21, s42
.LBB29_28:                              ;   Parent Loop BB29_5 Depth=1
                                        ;     Parent Loop BB29_14 Depth=2
                                        ;       Parent Loop BB29_17 Depth=3
                                        ;         Parent Loop BB29_26 Depth=4
                                        ; =>        This Inner Loop Header: Depth=5
	s_wait_alu 0xfffe
	v_mov_b32_e32 v70, s21
	s_mov_b32 m0, s22
	s_add_nc_u64 s[22:23], s[22:23], 1
	v_movrels_b32_e32 v71, v34
	s_mov_b32 m0, s18
	ds_load_b32 v70, v70
	v_movrels_b32_e32 v80, v34
	s_add_co_i32 s21, s21, -4
	s_wait_alu 0xfffe
	s_cmp_eq_u32 s18, s22
	s_wait_dscnt 0x0
	v_fma_f32 v70, -v71, v70, v80
	s_delay_alu instid0(VALU_DEP_1)
	v_movreld_b32_e32 v34, v70
	s_cbranch_scc0 .LBB29_28
; %bb.29:                               ;   in Loop: Header=BB29_26 Depth=4
	s_sub_co_i32 s22, s16, s18
	s_wait_alu 0xfffe
	s_ashr_i32 s23, s22, 31
	s_wait_alu 0xfffe
	s_mov_b64 s[24:25], s[22:23]
	s_branch .LBB29_25
.LBB29_30:                              ;   in Loop: Header=BB29_14 Depth=2
	s_cmp_gt_i32 s16, -1
	s_cselect_b32 s18, -1, 0
	s_add_co_i32 s17, s14, 1
	s_cmp_lt_u32 s14, 2
	s_cselect_b32 s14, -1, 0
	s_wait_alu 0xfffe
	s_and_b32 s14, s18, s14
	s_delay_alu instid0(SALU_CYCLE_1)
	s_and_b32 vcc_lo, exec_lo, s14
	s_wait_alu 0xfffe
	s_cbranch_vccz .LBB29_32
; %bb.31:                               ;   in Loop: Header=BB29_14 Depth=2
	s_mov_b32 s14, s17
	s_branch .LBB29_14
.LBB29_32:                              ;   in Loop: Header=BB29_5 Depth=1
	s_mov_b32 s14, 0
.LBB29_33:                              ;   in Loop: Header=BB29_5 Depth=1
	s_delay_alu instid0(SALU_CYCLE_1)
	s_and_b32 vcc_lo, exec_lo, s14
	s_wait_alu 0xfffe
	s_cbranch_vccz .LBB29_3
; %bb.34:                               ;   in Loop: Header=BB29_5 Depth=1
	v_add_co_u32 v38, vcc_lo, v68, v73
	s_wait_alu 0xfffd
	v_add_co_ci_u32_e64 v39, null, v69, v74, vcc_lo
	s_mov_b32 s16, 0
	s_mov_b32 s18, 0
.LBB29_35:                              ;   Parent Loop BB29_5 Depth=1
                                        ; =>  This Loop Header: Depth=2
                                        ;       Child Loop BB29_38 Depth 3
                                        ;         Child Loop BB29_39 Depth 4
                                        ;         Child Loop BB29_42 Depth 4
                                        ;           Child Loop BB29_43 Depth 5
                                        ;         Child Loop BB29_48 Depth 4
                                        ;           Child Loop BB29_50 Depth 5
	s_mov_b32 s19, s15
	s_getpc_b64 s[20:21]
	s_wait_alu 0xfffe
	s_sext_i32_i16 s21, s21
	s_add_co_u32 s20, s20, __const._ZL30rocblas_trsm_small_left_deviceILi24ELi24ELb1EffPKPKfPKPfEv13rocblas_fill_18rocblas_operation_17rocblas_diagonal_iiT3_T4_lilT5_lili.step_sizes@rel32@lo+12
	s_wait_alu 0xfffe
	s_add_co_ci_u32 s21, s21, __const._ZL30rocblas_trsm_small_left_deviceILi24ELi24ELb1EffPKPKfPKPfEv13rocblas_fill_18rocblas_operation_17rocblas_diagonal_iiT3_T4_lilT5_lili.step_sizes@rel32@hi+24
	s_lshl_b64 s[22:23], s[18:19], 2
	s_wait_alu 0xfffe
	s_add_nc_u64 s[20:21], s[20:21], s[22:23]
	s_load_b32 s20, s[20:21], 0x0
	s_wait_kmcnt 0x0
	s_add_co_i32 s19, s20, -1
	s_wait_alu 0xfffe
	s_add_co_i32 s14, s19, s16
	s_delay_alu instid0(SALU_CYCLE_1)
	s_cmp_ge_i32 s14, s30
	s_cbranch_scc1 .LBB29_51
; %bb.36:                               ;   in Loop: Header=BB29_35 Depth=2
	s_ashr_i32 s17, s16, 31
	s_ashr_i32 s21, s20, 31
	s_lshl_b64 s[22:23], s[16:17], 2
	s_max_i32 s37, s20, 1
	s_wait_alu 0xfffe
	v_add_co_u32 v34, vcc_lo, v38, s22
	s_wait_alu 0xfffd
	v_add_co_ci_u32_e64 v35, null, s23, v39, vcc_lo
	s_lshl_b64 s[22:23], s[20:21], 2
	s_lshl_b32 s17, s16, 2
	s_lshl_b32 s21, s20, 2
	s_mul_i32 s38, s16, 0x64
	s_mul_i32 s39, s20, 0x64
	s_branch .LBB29_38
.LBB29_37:                              ;   in Loop: Header=BB29_38 Depth=3
	v_add_co_u32 v34, vcc_lo, v34, s22
	s_add_co_i32 s16, s16, s20
	s_wait_alu 0xfffd
	v_add_co_ci_u32_e64 v35, null, s23, v35, vcc_lo
	s_add_co_i32 s14, s19, s16
	s_add_co_i32 s17, s17, s21
	;; [unrolled: 1-line block ×3, first 2 shown]
	s_cmp_ge_i32 s14, s30
	s_cbranch_scc1 .LBB29_51
.LBB29_38:                              ;   Parent Loop BB29_5 Depth=1
                                        ;     Parent Loop BB29_35 Depth=2
                                        ; =>    This Loop Header: Depth=3
                                        ;         Child Loop BB29_39 Depth 4
                                        ;         Child Loop BB29_42 Depth 4
                                        ;           Child Loop BB29_43 Depth 5
                                        ;         Child Loop BB29_48 Depth 4
                                        ;           Child Loop BB29_50 Depth 5
	v_dual_mov_b32 v37, v35 :: v_dual_mov_b32 v36, v34
	s_mov_b64 s[24:25], 0
.LBB29_39:                              ;   Parent Loop BB29_5 Depth=1
                                        ;     Parent Loop BB29_35 Depth=2
                                        ;       Parent Loop BB29_38 Depth=3
                                        ; =>      This Inner Loop Header: Depth=4
	flat_load_b32 v40, v[36:37]
	v_add_co_u32 v36, vcc_lo, v36, 4
	s_wait_alu 0xfffd
	v_add_co_ci_u32_e64 v37, null, 0, v37, vcc_lo
	s_wait_alu 0xfffe
	s_mov_b32 m0, s24
	s_add_nc_u64 s[24:25], s[24:25], 1
	s_wait_alu 0xfffe
	s_cmp_eq_u32 s37, s24
	s_wait_loadcnt_dscnt 0x0
	v_mul_f32_e32 v40, s29, v40
	s_delay_alu instid0(VALU_DEP_1)
	v_movreld_b32_e32 v2, v40
	s_cbranch_scc0 .LBB29_39
; %bb.40:                               ;   in Loop: Header=BB29_38 Depth=3
	s_cmp_lt_i32 s16, 1
	s_cbranch_scc1 .LBB29_45
; %bb.41:                               ;   in Loop: Header=BB29_38 Depth=3
	s_mov_b32 s14, 0
	s_mov_b32 s26, s17
.LBB29_42:                              ;   Parent Loop BB29_5 Depth=1
                                        ;     Parent Loop BB29_35 Depth=2
                                        ;       Parent Loop BB29_38 Depth=3
                                        ; =>      This Loop Header: Depth=4
                                        ;           Child Loop BB29_43 Depth 5
	s_lshl_b64 s[24:25], s[14:15], 2
	s_wait_alu 0xfffe
	s_mov_b32 s27, s26
	v_add_co_u32 v36, vcc_lo, v76, s24
	s_wait_alu 0xfffd
	v_add_co_ci_u32_e64 v37, null, s25, v77, vcc_lo
	s_mov_b64 s[24:25], 0
	flat_load_b32 v36, v[36:37]
.LBB29_43:                              ;   Parent Loop BB29_5 Depth=1
                                        ;     Parent Loop BB29_35 Depth=2
                                        ;       Parent Loop BB29_38 Depth=3
                                        ;         Parent Loop BB29_42 Depth=4
                                        ; =>        This Inner Loop Header: Depth=5
	s_wait_alu 0xfffe
	v_mov_b32_e32 v37, s27
	s_mov_b32 m0, s24
	s_add_nc_u64 s[24:25], s[24:25], 1
	v_movrels_b32_e32 v40, v2
	s_add_co_i32 s27, s27, 4
	ds_load_b32 v37, v37
	s_wait_alu 0xfffe
	s_cmp_eq_u32 s37, s24
	s_wait_loadcnt_dscnt 0x0
	v_fma_f32 v37, -v36, v37, v40
	s_delay_alu instid0(VALU_DEP_1)
	v_movreld_b32_e32 v2, v37
	s_cbranch_scc0 .LBB29_43
; %bb.44:                               ;   in Loop: Header=BB29_42 Depth=4
	s_add_co_i32 s14, s14, 1
	s_addk_co_i32 s26, 0x60
	s_cmp_eq_u32 s14, s16
	s_cbranch_scc0 .LBB29_42
.LBB29_45:                              ;   in Loop: Header=BB29_38 Depth=3
	s_mov_b64 s[24:25], 0
	s_mov_b32 s14, s38
	s_branch .LBB29_48
.LBB29_46:                              ;   in Loop: Header=BB29_48 Depth=4
	s_mov_b64 s[26:27], s[24:25]
.LBB29_47:                              ;   in Loop: Header=BB29_48 Depth=4
	s_wait_alu 0xfffe
	s_mov_b32 m0, s26
	s_add_co_i32 s26, s24, s16
	v_movrels_b32_e32 v37, v2
	s_wait_alu 0xfffe
	s_mul_i32 s27, s26, 0x64
	s_add_nc_u64 s[24:25], s[24:25], 1
	s_wait_alu 0xfffe
	v_mov_b32_e32 v36, s27
	s_ashr_i32 s27, s26, 31
	s_add_co_i32 s14, s14, 4
	s_wait_alu 0xfffe
	s_lshl_b64 s[26:27], s[26:27], 2
	s_cmp_eq_u32 s24, s37
	ds_load_b32 v36, v36
	s_wait_dscnt 0x0
	v_mul_f32_e32 v40, v37, v36
	s_wait_alu 0xfffe
	v_add_co_u32 v36, vcc_lo, v76, s26
	s_wait_alu 0xfffd
	v_add_co_ci_u32_e64 v37, null, s27, v77, vcc_lo
	v_movreld_b32_e32 v2, v40
	flat_store_b32 v[36:37], v40
	s_cbranch_scc1 .LBB29_37
.LBB29_48:                              ;   Parent Loop BB29_5 Depth=1
                                        ;     Parent Loop BB29_35 Depth=2
                                        ;       Parent Loop BB29_38 Depth=3
                                        ; =>      This Loop Header: Depth=4
                                        ;           Child Loop BB29_50 Depth 5
	s_mov_b64 s[26:27], 0
	s_wait_alu 0xfffe
	s_cmp_eq_u32 s24, 0
	s_cbranch_scc1 .LBB29_47
; %bb.49:                               ;   in Loop: Header=BB29_48 Depth=4
	s_mov_b32 s40, s14
.LBB29_50:                              ;   Parent Loop BB29_5 Depth=1
                                        ;     Parent Loop BB29_35 Depth=2
                                        ;       Parent Loop BB29_38 Depth=3
                                        ;         Parent Loop BB29_48 Depth=4
                                        ; =>        This Inner Loop Header: Depth=5
	s_wait_alu 0xfffe
	v_mov_b32_e32 v36, s40
	s_mov_b32 m0, s26
	s_add_nc_u64 s[26:27], s[26:27], 1
	v_movrels_b32_e32 v37, v2
	s_mov_b32 m0, s24
	ds_load_b32 v36, v36
	v_movrels_b32_e32 v40, v2
	s_addk_co_i32 s40, 0x60
	s_wait_alu 0xfffe
	s_cmp_eq_u32 s24, s26
	s_wait_dscnt 0x0
	v_fma_f32 v36, -v37, v36, v40
	s_delay_alu instid0(VALU_DEP_1)
	v_movreld_b32_e32 v2, v36
	s_cbranch_scc0 .LBB29_50
	s_branch .LBB29_46
.LBB29_51:                              ;   in Loop: Header=BB29_35 Depth=2
	s_cmp_lt_i32 s16, s30
	s_cselect_b32 s17, -1, 0
	s_add_co_i32 s14, s18, 1
	s_cmp_lt_u32 s18, 2
	s_cselect_b32 s18, -1, 0
	s_wait_alu 0xfffe
	s_and_b32 s17, s17, s18
	s_delay_alu instid0(SALU_CYCLE_1)
	s_and_not1_b32 vcc_lo, exec_lo, s17
	s_wait_alu 0xfffe
	s_cbranch_vccnz .LBB29_2
; %bb.52:                               ;   in Loop: Header=BB29_35 Depth=2
	s_mov_b32 s18, s14
	s_branch .LBB29_35
.LBB29_53:
	s_endpgm
	.section	.rodata,"a",@progbits
	.p2align	6, 0x0
	.amdhsa_kernel _ZL30rocblas_trsm_small_left_deviceILi24ELi24ELb1EffPKPKfPKPfEv13rocblas_fill_18rocblas_operation_17rocblas_diagonal_iiT3_T4_lilT5_lili
		.amdhsa_group_segment_fixed_size 2304
		.amdhsa_private_segment_fixed_size 0
		.amdhsa_kernarg_size 352
		.amdhsa_user_sgpr_count 2
		.amdhsa_user_sgpr_dispatch_ptr 0
		.amdhsa_user_sgpr_queue_ptr 0
		.amdhsa_user_sgpr_kernarg_segment_ptr 1
		.amdhsa_user_sgpr_dispatch_id 0
		.amdhsa_user_sgpr_private_segment_size 0
		.amdhsa_wavefront_size32 1
		.amdhsa_uses_dynamic_stack 0
		.amdhsa_enable_private_segment 0
		.amdhsa_system_sgpr_workgroup_id_x 1
		.amdhsa_system_sgpr_workgroup_id_y 0
		.amdhsa_system_sgpr_workgroup_id_z 1
		.amdhsa_system_sgpr_workgroup_info 0
		.amdhsa_system_vgpr_workitem_id 0
		.amdhsa_next_free_vgpr 81
		.amdhsa_next_free_sgpr 43
		.amdhsa_reserve_vcc 1
		.amdhsa_float_round_mode_32 0
		.amdhsa_float_round_mode_16_64 0
		.amdhsa_float_denorm_mode_32 3
		.amdhsa_float_denorm_mode_16_64 3
		.amdhsa_fp16_overflow 0
		.amdhsa_workgroup_processor_mode 1
		.amdhsa_memory_ordered 1
		.amdhsa_forward_progress 1
		.amdhsa_inst_pref_size 23
		.amdhsa_round_robin_scheduling 0
		.amdhsa_exception_fp_ieee_invalid_op 0
		.amdhsa_exception_fp_denorm_src 0
		.amdhsa_exception_fp_ieee_div_zero 0
		.amdhsa_exception_fp_ieee_overflow 0
		.amdhsa_exception_fp_ieee_underflow 0
		.amdhsa_exception_fp_ieee_inexact 0
		.amdhsa_exception_int_div_zero 0
	.end_amdhsa_kernel
	.section	.text._ZL30rocblas_trsm_small_left_deviceILi24ELi24ELb1EffPKPKfPKPfEv13rocblas_fill_18rocblas_operation_17rocblas_diagonal_iiT3_T4_lilT5_lili,"axG",@progbits,_ZL30rocblas_trsm_small_left_deviceILi24ELi24ELb1EffPKPKfPKPfEv13rocblas_fill_18rocblas_operation_17rocblas_diagonal_iiT3_T4_lilT5_lili,comdat
.Lfunc_end29:
	.size	_ZL30rocblas_trsm_small_left_deviceILi24ELi24ELb1EffPKPKfPKPfEv13rocblas_fill_18rocblas_operation_17rocblas_diagonal_iiT3_T4_lilT5_lili, .Lfunc_end29-_ZL30rocblas_trsm_small_left_deviceILi24ELi24ELb1EffPKPKfPKPfEv13rocblas_fill_18rocblas_operation_17rocblas_diagonal_iiT3_T4_lilT5_lili
                                        ; -- End function
	.set _ZL30rocblas_trsm_small_left_deviceILi24ELi24ELb1EffPKPKfPKPfEv13rocblas_fill_18rocblas_operation_17rocblas_diagonal_iiT3_T4_lilT5_lili.num_vgpr, 81
	.set _ZL30rocblas_trsm_small_left_deviceILi24ELi24ELb1EffPKPKfPKPfEv13rocblas_fill_18rocblas_operation_17rocblas_diagonal_iiT3_T4_lilT5_lili.num_agpr, 0
	.set _ZL30rocblas_trsm_small_left_deviceILi24ELi24ELb1EffPKPKfPKPfEv13rocblas_fill_18rocblas_operation_17rocblas_diagonal_iiT3_T4_lilT5_lili.numbered_sgpr, 43
	.set _ZL30rocblas_trsm_small_left_deviceILi24ELi24ELb1EffPKPKfPKPfEv13rocblas_fill_18rocblas_operation_17rocblas_diagonal_iiT3_T4_lilT5_lili.num_named_barrier, 0
	.set _ZL30rocblas_trsm_small_left_deviceILi24ELi24ELb1EffPKPKfPKPfEv13rocblas_fill_18rocblas_operation_17rocblas_diagonal_iiT3_T4_lilT5_lili.private_seg_size, 0
	.set _ZL30rocblas_trsm_small_left_deviceILi24ELi24ELb1EffPKPKfPKPfEv13rocblas_fill_18rocblas_operation_17rocblas_diagonal_iiT3_T4_lilT5_lili.uses_vcc, 1
	.set _ZL30rocblas_trsm_small_left_deviceILi24ELi24ELb1EffPKPKfPKPfEv13rocblas_fill_18rocblas_operation_17rocblas_diagonal_iiT3_T4_lilT5_lili.uses_flat_scratch, 0
	.set _ZL30rocblas_trsm_small_left_deviceILi24ELi24ELb1EffPKPKfPKPfEv13rocblas_fill_18rocblas_operation_17rocblas_diagonal_iiT3_T4_lilT5_lili.has_dyn_sized_stack, 0
	.set _ZL30rocblas_trsm_small_left_deviceILi24ELi24ELb1EffPKPKfPKPfEv13rocblas_fill_18rocblas_operation_17rocblas_diagonal_iiT3_T4_lilT5_lili.has_recursion, 0
	.set _ZL30rocblas_trsm_small_left_deviceILi24ELi24ELb1EffPKPKfPKPfEv13rocblas_fill_18rocblas_operation_17rocblas_diagonal_iiT3_T4_lilT5_lili.has_indirect_call, 0
	.section	.AMDGPU.csdata,"",@progbits
; Kernel info:
; codeLenInByte = 2824
; TotalNumSgprs: 45
; NumVgprs: 81
; ScratchSize: 0
; MemoryBound: 0
; FloatMode: 240
; IeeeMode: 1
; LDSByteSize: 2304 bytes/workgroup (compile time only)
; SGPRBlocks: 0
; VGPRBlocks: 10
; NumSGPRsForWavesPerEU: 45
; NumVGPRsForWavesPerEU: 81
; Occupancy: 14
; WaveLimiterHint : 1
; COMPUTE_PGM_RSRC2:SCRATCH_EN: 0
; COMPUTE_PGM_RSRC2:USER_SGPR: 2
; COMPUTE_PGM_RSRC2:TRAP_HANDLER: 0
; COMPUTE_PGM_RSRC2:TGID_X_EN: 1
; COMPUTE_PGM_RSRC2:TGID_Y_EN: 0
; COMPUTE_PGM_RSRC2:TGID_Z_EN: 1
; COMPUTE_PGM_RSRC2:TIDIG_COMP_CNT: 0
	.section	.text._ZL31rocblas_trsm_small_right_deviceIffPKPKfPKPfLi24EEv13rocblas_fill_18rocblas_operation_17rocblas_diagonal_iiT0_T1_lilT2_lili,"axG",@progbits,_ZL31rocblas_trsm_small_right_deviceIffPKPKfPKPfLi24EEv13rocblas_fill_18rocblas_operation_17rocblas_diagonal_iiT0_T1_lilT2_lili,comdat
	.globl	_ZL31rocblas_trsm_small_right_deviceIffPKPKfPKPfLi24EEv13rocblas_fill_18rocblas_operation_17rocblas_diagonal_iiT0_T1_lilT2_lili ; -- Begin function _ZL31rocblas_trsm_small_right_deviceIffPKPKfPKPfLi24EEv13rocblas_fill_18rocblas_operation_17rocblas_diagonal_iiT0_T1_lilT2_lili
	.p2align	8
	.type	_ZL31rocblas_trsm_small_right_deviceIffPKPKfPKPfLi24EEv13rocblas_fill_18rocblas_operation_17rocblas_diagonal_iiT0_T1_lilT2_lili,@function
_ZL31rocblas_trsm_small_right_deviceIffPKPKfPKPfLi24EEv13rocblas_fill_18rocblas_operation_17rocblas_diagonal_iiT0_T1_lilT2_lili: ; @_ZL31rocblas_trsm_small_right_deviceIffPKPKfPKPfLi24EEv13rocblas_fill_18rocblas_operation_17rocblas_diagonal_iiT0_T1_lilT2_lili
; %bb.0:
	s_load_b32 s22, s[0:1], 0x58
	s_lshr_b32 s2, ttmp7, 16
	s_wait_kmcnt 0x0
	s_cmp_ge_u32 s2, s22
	s_cbranch_scc1 .LBB30_82
; %bb.1:
	s_clause 0x6
	s_load_b32 s20, s[0:1], 0x28
	s_load_b32 s30, s[0:1], 0x48
	s_load_b128 s[16:19], s[0:1], 0x0
	s_load_b64 s[12:13], s[0:1], 0x10
	s_load_b32 s3, s[0:1], 0x60
	s_load_b128 s[4:7], s[0:1], 0x18
	s_load_b128 s[8:11], s[0:1], 0x38
	s_mul_i32 s0, ttmp9, 0xffffffe8
	v_dual_mov_b32 v7, 0 :: v_dual_lshlrev_b32 v6, 2, v0
	v_mul_u32_u24_e32 v2, 0x60, v0
	v_mov_b32_e32 v11, 1.0
	s_mov_b32 s14, ttmp9
	s_delay_alu instid0(VALU_DEP_3) | instskip(NEXT) | instid1(VALU_DEP_3)
	v_or_b32_e32 v1, 0x900, v6
	v_add_nc_u32_e32 v10, v6, v2
	s_wait_kmcnt 0x0
	s_ashr_i32 s21, s20, 31
	s_ashr_i32 s31, s30, 31
	s_cmp_lg_u32 s16, 0x7a
	s_cselect_b32 s25, -1, 0
	s_min_i32 s1, s12, 24
	s_add_co_i32 s3, s3, -1
	s_add_co_i32 s0, s19, s0
	s_add_co_i32 s23, s1, -1
	s_cmp_ge_u32 ttmp9, s3
	s_mul_i32 s33, s1, 0x64
	s_cselect_b32 s19, s0, 24
	s_ashr_i32 s15, ttmp9, 31
	s_cmp_eq_u32 s18, 0x84
	v_cmp_gt_i32_e32 vcc_lo, s19, v0
	s_cselect_b32 s24, -1, 0
	s_cmp_gt_i32 s12, 0
	v_cmp_gt_i32_e64 s0, s1, v0
	s_cselect_b32 s18, -1, 0
	s_cmp_lg_u32 s17, 0x6f
	v_lshlrev_b32_e32 v0, 2, v0
	s_cselect_b32 s17, -1, 0
	s_cmp_lg_u32 s16, 0x79
	s_mov_b32 s3, 0
	s_cselect_b32 s16, -1, 0
	s_or_b32 s25, s25, s17
	s_or_b32 s26, s16, s17
	s_cmp_gt_i32 s12, 3
	v_cndmask_b32_e64 v8, 0, 1, s16
	s_cselect_b32 s27, -1, 0
	s_wait_alu 0xfffe
	s_and_b32 s28, vcc_lo, s18
	s_lshl_b64 s[18:19], s[30:31], 2
	s_mul_i32 s31, s1, 0x60
	s_lshl_b32 s35, s1, 2
	v_add3_u32 v9, s31, v6, 0x8a0
	s_mul_u64 s[14:15], s[14:15], 0x60
	s_lshl_b64 s[16:17], s[20:21], 2
	s_add_co_i32 s29, s33, 0xffffff90
	s_add_co_i32 s30, s31, 0xffffffa0
	s_addk_co_i32 s31, 0xff9c
	s_addk_co_i32 s33, 0xfe7c
	s_add_co_i32 s34, s35, -4
	s_addk_co_i32 s35, 0xff9c
	s_lshl_b64 s[6:7], s[6:7], 2
	s_lshl_b64 s[10:11], s[10:11], 2
	s_branch .LBB30_3
.LBB30_2:                               ;   in Loop: Header=BB30_3 Depth=1
	s_wait_alu 0xfffe
	s_or_b32 exec_lo, exec_lo, s20
	s_add_co_i32 s2, s2, 0x10000
	s_delay_alu instid0(SALU_CYCLE_1)
	s_cmp_lt_u32 s2, s22
	s_cbranch_scc0 .LBB30_82
.LBB30_3:                               ; =>This Loop Header: Depth=1
                                        ;     Child Loop BB30_5 Depth 2
                                        ;     Child Loop BB30_10 Depth 2
	;; [unrolled: 1-line block ×3, first 2 shown]
                                        ;       Child Loop BB30_17 Depth 3
                                        ;     Child Loop BB30_23 Depth 2
                                        ;       Child Loop BB30_24 Depth 3
                                        ;     Child Loop BB30_28 Depth 2
	;; [unrolled: 2-line block ×3, first 2 shown]
                                        ;     Child Loop BB30_42 Depth 2
                                        ;       Child Loop BB30_43 Depth 3
                                        ;       Child Loop BB30_45 Depth 3
                                        ;     Child Loop BB30_49 Depth 2
                                        ;       Child Loop BB30_50 Depth 3
                                        ;     Child Loop BB30_57 Depth 2
                                        ;     Child Loop BB30_62 Depth 2
                                        ;       Child Loop BB30_63 Depth 3
                                        ;       Child Loop BB30_65 Depth 3
                                        ;     Child Loop BB30_70 Depth 2
                                        ;       Child Loop BB30_71 Depth 3
                                        ;     Child Loop BB30_77 Depth 2
	;; [unrolled: 2-line block ×3, first 2 shown]
	s_lshl_b64 s[20:21], s[2:3], 3
	s_wait_alu 0xfffe
	s_add_nc_u64 s[36:37], s[8:9], s[20:21]
	global_load_b64 v[2:3], v7, s[36:37]
	s_and_saveexec_b32 s36, s0
	s_cbranch_execz .LBB30_8
; %bb.4:                                ;   in Loop: Header=BB30_3 Depth=1
	s_add_nc_u64 s[20:21], s[4:5], s[20:21]
	v_mov_b32_e32 v12, v6
	global_load_b64 v[4:5], v7, s[20:21]
	s_mov_b32 s20, s1
	s_wait_loadcnt 0x0
	v_add_co_u32 v4, vcc_lo, v4, s6
	s_wait_alu 0xfffd
	v_add_co_ci_u32_e64 v5, null, s7, v5, vcc_lo
	s_delay_alu instid0(VALU_DEP_2) | instskip(SKIP_1) | instid1(VALU_DEP_2)
	v_add_co_u32 v4, vcc_lo, v4, v0
	s_wait_alu 0xfffd
	v_add_co_ci_u32_e64 v5, null, 0, v5, vcc_lo
.LBB30_5:                               ;   Parent Loop BB30_3 Depth=1
                                        ; =>  This Inner Loop Header: Depth=2
	flat_load_b32 v13, v[4:5]
	s_wait_alu 0xfffe
	v_add_co_u32 v4, vcc_lo, v4, s16
	s_wait_alu 0xfffd
	v_add_co_ci_u32_e64 v5, null, s17, v5, vcc_lo
	s_add_co_i32 s20, s20, -1
	s_wait_alu 0xfffe
	s_cmp_eq_u32 s20, 0
	s_wait_loadcnt_dscnt 0x0
	ds_store_b32 v12, v13
	v_add_nc_u32_e32 v12, 0x60, v12
	s_cbranch_scc0 .LBB30_5
; %bb.6:                                ;   in Loop: Header=BB30_3 Depth=1
	s_and_b32 vcc_lo, exec_lo, s24
	s_wait_alu 0xfffe
	s_cbranch_vccz .LBB30_8
; %bb.7:                                ;   in Loop: Header=BB30_3 Depth=1
	ds_store_b32 v10, v11
.LBB30_8:                               ;   in Loop: Header=BB30_3 Depth=1
	s_wait_alu 0xfffe
	s_or_b32 exec_lo, exec_lo, s36
	s_wait_loadcnt 0x0
	v_add_co_u32 v2, vcc_lo, v2, s10
	s_wait_alu 0xfffd
	v_add_co_ci_u32_e64 v3, null, s11, v3, vcc_lo
	s_delay_alu instid0(VALU_DEP_2) | instskip(SKIP_1) | instid1(VALU_DEP_2)
	v_add_co_u32 v12, vcc_lo, v2, s14
	s_wait_alu 0xfffd
	v_add_co_ci_u32_e64 v13, null, s15, v3, vcc_lo
	s_and_saveexec_b32 s20, s28
	s_cbranch_execz .LBB30_11
; %bb.9:                                ;   in Loop: Header=BB30_3 Depth=1
	v_add_co_u32 v2, vcc_lo, v12, v0
	s_wait_alu 0xfffd
	v_add_co_ci_u32_e64 v3, null, 0, v13, vcc_lo
	v_mov_b32_e32 v4, v1
	s_mov_b32 s21, s12
.LBB30_10:                              ;   Parent Loop BB30_3 Depth=1
                                        ; =>  This Inner Loop Header: Depth=2
	flat_load_b32 v5, v[2:3]
	s_wait_alu 0xfffe
	v_add_co_u32 v2, vcc_lo, v2, s18
	s_wait_alu 0xfffd
	v_add_co_ci_u32_e64 v3, null, s19, v3, vcc_lo
	s_add_co_i32 s21, s21, -1
	s_wait_alu 0xfffe
	s_cmp_lg_u32 s21, 0
	s_wait_loadcnt_dscnt 0x0
	v_mul_f32_e32 v5, s13, v5
	ds_store_b32 v4, v5
	v_add_nc_u32_e32 v4, 0x60, v4
	s_cbranch_scc1 .LBB30_10
.LBB30_11:                              ;   in Loop: Header=BB30_3 Depth=1
	s_wait_alu 0xfffe
	s_or_b32 exec_lo, exec_lo, s20
	s_delay_alu instid0(SALU_CYCLE_1)
	s_and_b32 vcc_lo, exec_lo, s26
	s_mov_b32 s20, -1
	s_wait_dscnt 0x0
	; wave barrier
	global_inv scope:SCOPE_SE
	s_wait_alu 0xfffe
	s_cbranch_vccz .LBB30_67
; %bb.12:                               ;   in Loop: Header=BB30_3 Depth=1
	s_and_b32 vcc_lo, exec_lo, s25
	s_wait_alu 0xfffe
	s_cbranch_vccz .LBB30_47
; %bb.13:                               ;   in Loop: Header=BB30_3 Depth=1
	v_cmp_ne_u32_e32 vcc_lo, 1, v8
	s_cbranch_vccnz .LBB30_26
; %bb.14:                               ;   in Loop: Header=BB30_3 Depth=1
	s_and_not1_b32 vcc_lo, exec_lo, s27
	s_mov_b32 s36, 0
	s_wait_alu 0xfffe
	s_cbranch_vccnz .LBB30_20
; %bb.15:                               ;   in Loop: Header=BB30_3 Depth=1
	s_mov_b32 s20, 0
	s_mov_b32 s21, 0
.LBB30_16:                              ;   Parent Loop BB30_3 Depth=1
                                        ; =>  This Loop Header: Depth=2
                                        ;       Child Loop BB30_17 Depth 3
	s_wait_alu 0xfffe
	v_mad_co_u64_u32 v[2:3], null, 0x60, s21, v[1:2]
	s_or_b32 s36, s21, 3
	s_cmp_eq_u32 s21, 0
	s_wait_alu 0xfffe
	s_mulk_i32 s36, 0x60
	s_wait_alu 0xfffe
	v_dual_mov_b32 v16, v1 :: v_dual_add_nc_u32 v5, s36, v1
	s_mov_b32 s36, s20
	ds_load_2addr_b32 v[3:4], v2 offset1:24
	ds_load_b32 v15, v2 offset:192
	ds_load_b32 v14, v5
	s_mov_b32 s37, s21
	s_cbranch_scc1 .LBB30_18
.LBB30_17:                              ;   Parent Loop BB30_3 Depth=1
                                        ;     Parent Loop BB30_16 Depth=2
                                        ; =>    This Inner Loop Header: Depth=3
	s_wait_alu 0xfffe
	v_mov_b32_e32 v17, s36
	s_add_co_i32 s37, s37, -1
	s_addk_co_i32 s36, 0x60
	s_wait_alu 0xfffe
	s_cmp_eq_u32 s37, 0
	ds_load_b32 v21, v16
	ds_load_b128 v[17:20], v17
	v_add_nc_u32_e32 v16, 0x60, v16
	s_wait_dscnt 0x0
	v_fma_f32 v3, -v21, v17, v3
	v_fma_f32 v4, -v21, v18, v4
	;; [unrolled: 1-line block ×4, first 2 shown]
	s_cbranch_scc0 .LBB30_17
.LBB30_18:                              ;   in Loop: Header=BB30_16 Depth=2
	s_lshl_b32 s36, s21, 2
	s_mul_i32 s37, s21, 0x60
	s_wait_alu 0xfffe
	s_or_b32 s38, s36, 4
	s_add_co_i32 s37, s36, s37
	s_add_co_i32 s20, s20, 16
	s_wait_alu 0xfffe
	v_mov_b32_e32 v22, s37
	s_addk_co_i32 s37, 0x64
	ds_load_b128 v[16:19], v22
	ds_load_2addr_b32 v[20:21], v22 offset0:25 offset1:26
	s_wait_alu 0xfffe
	s_sub_co_i32 s37, s37, s38
	s_wait_alu 0xfffe
	s_add_co_i32 s36, s37, s36
	s_wait_dscnt 0x1
	v_div_scale_f32 v23, null, v16, v16, v3
	v_div_scale_f32 v26, vcc_lo, v3, v16, v3
	s_delay_alu instid0(VALU_DEP_2) | instskip(NEXT) | instid1(TRANS32_DEP_1)
	v_rcp_f32_e32 v24, v23
	v_fma_f32 v25, -v23, v24, 1.0
	s_delay_alu instid0(VALU_DEP_1) | instskip(NEXT) | instid1(VALU_DEP_1)
	v_fmac_f32_e32 v24, v25, v24
	v_mul_f32_e32 v25, v26, v24
	s_delay_alu instid0(VALU_DEP_1) | instskip(NEXT) | instid1(VALU_DEP_1)
	v_fma_f32 v27, -v23, v25, v26
	v_fmac_f32_e32 v25, v27, v24
	s_delay_alu instid0(VALU_DEP_1) | instskip(SKIP_1) | instid1(VALU_DEP_1)
	v_fma_f32 v23, -v23, v25, v26
	s_wait_alu 0xfffd
	v_div_fmas_f32 v23, v23, v24, v25
	s_delay_alu instid0(VALU_DEP_1) | instskip(NEXT) | instid1(VALU_DEP_1)
	v_div_fixup_f32 v16, v23, v16, v3
	v_fma_f32 v17, -v16, v17, v4
	v_fma_f32 v15, -v16, v18, v15
	;; [unrolled: 1-line block ×3, first 2 shown]
	ds_load_b32 v18, v22 offset:300
	s_wait_dscnt 0x1
	v_div_scale_f32 v23, null, v20, v20, v17
	v_div_scale_f32 v25, vcc_lo, v17, v20, v17
	s_delay_alu instid0(VALU_DEP_2) | instskip(NEXT) | instid1(TRANS32_DEP_1)
	v_rcp_f32_e32 v24, v23
	v_fma_f32 v3, -v23, v24, 1.0
	s_delay_alu instid0(VALU_DEP_1) | instskip(NEXT) | instid1(VALU_DEP_1)
	v_fmac_f32_e32 v24, v3, v24
	v_mul_f32_e32 v26, v25, v24
	s_delay_alu instid0(VALU_DEP_1) | instskip(NEXT) | instid1(VALU_DEP_1)
	v_fma_f32 v3, -v23, v26, v25
	v_fmac_f32_e32 v26, v3, v24
	ds_load_b64 v[3:4], v22 offset:200
	v_fma_f32 v23, -v23, v26, v25
	s_wait_alu 0xfffd
	s_delay_alu instid0(VALU_DEP_1) | instskip(NEXT) | instid1(VALU_DEP_1)
	v_div_fmas_f32 v23, v23, v24, v26
	v_div_fixup_f32 v17, v23, v20, v17
	s_delay_alu instid0(VALU_DEP_1) | instskip(SKIP_4) | instid1(VALU_DEP_2)
	v_fma_f32 v15, -v17, v21, v15
	ds_store_2addr_b32 v2, v16, v17 offset1:24
	s_wait_dscnt 0x1
	v_div_scale_f32 v20, null, v3, v3, v15
	v_div_scale_f32 v23, vcc_lo, v15, v3, v15
	v_rcp_f32_e32 v21, v20
	s_delay_alu instid0(TRANS32_DEP_1) | instskip(SKIP_1) | instid1(VALU_DEP_1)
	v_fma_f32 v22, -v20, v21, 1.0
	s_wait_alu 0xfffe
	v_dual_fmac_f32 v21, v22, v21 :: v_dual_mov_b32 v22, s36
	s_add_co_i32 s36, s21, 4
	s_add_co_i32 s21, s21, 7
	s_delay_alu instid0(VALU_DEP_1) | instskip(SKIP_4) | instid1(VALU_DEP_1)
	v_mul_f32_e32 v24, v23, v21
	ds_load_b32 v22, v22 offset:12
	s_wait_alu 0xfffe
	s_cmp_ge_i32 s21, s1
	v_fma_f32 v25, -v20, v24, v23
	v_fmac_f32_e32 v24, v25, v21
	s_delay_alu instid0(VALU_DEP_1) | instskip(SKIP_1) | instid1(VALU_DEP_1)
	v_fma_f32 v20, -v20, v24, v23
	s_wait_alu 0xfffd
	v_div_fmas_f32 v19, v20, v21, v24
	s_wait_dscnt 0x0
	v_fma_f32 v14, -v17, v22, v14
	s_delay_alu instid0(VALU_DEP_2) | instskip(NEXT) | instid1(VALU_DEP_1)
	v_div_fixup_f32 v3, v19, v3, v15
	v_fma_f32 v4, -v3, v4, v14
	s_delay_alu instid0(VALU_DEP_1) | instskip(SKIP_1) | instid1(VALU_DEP_2)
	v_div_scale_f32 v14, null, v18, v18, v4
	v_div_scale_f32 v20, vcc_lo, v4, v18, v4
	v_rcp_f32_e32 v15, v14
	s_delay_alu instid0(TRANS32_DEP_1) | instskip(NEXT) | instid1(VALU_DEP_1)
	v_fma_f32 v19, -v14, v15, 1.0
	v_fmac_f32_e32 v15, v19, v15
	s_delay_alu instid0(VALU_DEP_1) | instskip(NEXT) | instid1(VALU_DEP_1)
	v_mul_f32_e32 v19, v20, v15
	v_fma_f32 v21, -v14, v19, v20
	s_delay_alu instid0(VALU_DEP_1) | instskip(NEXT) | instid1(VALU_DEP_1)
	v_fmac_f32_e32 v19, v21, v15
	v_fma_f32 v14, -v14, v19, v20
	s_wait_alu 0xfffd
	s_delay_alu instid0(VALU_DEP_1) | instskip(NEXT) | instid1(VALU_DEP_1)
	v_div_fmas_f32 v14, v14, v15, v19
	v_div_fixup_f32 v4, v14, v18, v4
	ds_store_b32 v2, v3 offset:192
	ds_store_b32 v5, v4
	s_cbranch_scc1 .LBB30_20
; %bb.19:                               ;   in Loop: Header=BB30_16 Depth=2
	s_mov_b32 s21, s36
	s_branch .LBB30_16
.LBB30_20:                              ;   in Loop: Header=BB30_3 Depth=1
	s_cmp_ge_i32 s36, s1
	s_cbranch_scc1 .LBB30_25
; %bb.21:                               ;   in Loop: Header=BB30_3 Depth=1
	s_lshl_b32 s20, s36, 2
	s_branch .LBB30_23
.LBB30_22:                              ;   in Loop: Header=BB30_23 Depth=2
	s_lshl_b32 s37, s36, 2
	s_add_co_i32 s36, s36, 1
	s_wait_alu 0xfffe
	s_add_co_i32 s21, s37, s21
	s_add_co_i32 s20, s20, 4
	s_wait_alu 0xfffe
	v_mov_b32_e32 v4, s21
	s_cmp_ge_i32 s36, s1
	ds_load_b32 v4, v4
	s_wait_dscnt 0x0
	v_div_scale_f32 v5, null, v4, v4, v3
	s_delay_alu instid0(VALU_DEP_1) | instskip(NEXT) | instid1(TRANS32_DEP_1)
	v_rcp_f32_e32 v14, v5
	v_fma_f32 v15, -v5, v14, 1.0
	s_delay_alu instid0(VALU_DEP_1) | instskip(SKIP_1) | instid1(VALU_DEP_1)
	v_fmac_f32_e32 v14, v15, v14
	v_div_scale_f32 v15, vcc_lo, v3, v4, v3
	v_mul_f32_e32 v16, v15, v14
	s_delay_alu instid0(VALU_DEP_1) | instskip(NEXT) | instid1(VALU_DEP_1)
	v_fma_f32 v17, -v5, v16, v15
	v_fmac_f32_e32 v16, v17, v14
	s_delay_alu instid0(VALU_DEP_1) | instskip(SKIP_1) | instid1(VALU_DEP_1)
	v_fma_f32 v5, -v5, v16, v15
	s_wait_alu 0xfffd
	v_div_fmas_f32 v5, v5, v14, v16
	s_delay_alu instid0(VALU_DEP_1)
	v_div_fixup_f32 v3, v5, v4, v3
	ds_store_b32 v2, v3
	s_cbranch_scc1 .LBB30_25
.LBB30_23:                              ;   Parent Loop BB30_3 Depth=1
                                        ; =>  This Loop Header: Depth=2
                                        ;       Child Loop BB30_24 Depth 3
	s_mul_i32 s21, s36, 0x60
	v_mov_b32_e32 v4, v1
	s_wait_alu 0xfffe
	v_add_nc_u32_e32 v2, s21, v1
	s_cmp_eq_u32 s36, 0
	s_mov_b32 s37, s20
	s_mov_b32 s38, s36
	ds_load_b32 v3, v2
	s_cbranch_scc1 .LBB30_22
.LBB30_24:                              ;   Parent Loop BB30_3 Depth=1
                                        ;     Parent Loop BB30_23 Depth=2
                                        ; =>    This Inner Loop Header: Depth=3
	s_wait_alu 0xfffe
	v_mov_b32_e32 v5, s37
	s_add_co_i32 s38, s38, -1
	s_addk_co_i32 s37, 0x60
	s_wait_alu 0xfffe
	s_cmp_eq_u32 s38, 0
	ds_load_b32 v14, v4
	ds_load_b32 v5, v5
	v_add_nc_u32_e32 v4, 0x60, v4
	s_wait_dscnt 0x0
	v_fma_f32 v3, -v14, v5, v3
	s_cbranch_scc0 .LBB30_24
	s_branch .LBB30_22
.LBB30_25:                              ;   in Loop: Header=BB30_3 Depth=1
	s_mov_b32 s20, 0
.LBB30_26:                              ;   in Loop: Header=BB30_3 Depth=1
	s_wait_alu 0xfffe
	s_and_b32 vcc_lo, exec_lo, s20
	s_wait_alu 0xfffe
	s_cbranch_vccz .LBB30_46
; %bb.27:                               ;   in Loop: Header=BB30_3 Depth=1
	s_mov_b32 s36, s23
	s_and_not1_b32 vcc_lo, exec_lo, s27
	s_mov_b32 s20, s29
	s_mov_b32 s21, s23
	s_wait_alu 0xfffe
	s_cbranch_vccnz .LBB30_33
.LBB30_28:                              ;   Parent Loop BB30_3 Depth=1
                                        ; =>  This Loop Header: Depth=2
                                        ;       Child Loop BB30_29 Depth 3
	s_wait_alu 0xfffe
	s_mul_i32 s37, s21, 0x60
	s_mov_b32 s38, s20
	s_wait_alu 0xfffe
	v_add_nc_u32_e32 v2, s37, v1
	s_add_co_i32 s36, s37, 0xfffffee0
	s_cmp_le_i32 s23, s21
	s_wait_alu 0xfffe
	v_add_nc_u32_e32 v5, s36, v1
	s_mov_b32 s39, s23
	v_dual_mov_b32 v18, v9 :: v_dual_add_nc_u32 v3, 0xffffffa0, v2
	v_add_nc_u32_e32 v4, 0xffffff40, v2
	ds_load_b32 v17, v2
	ds_load_b32 v16, v3
	;; [unrolled: 1-line block ×4, first 2 shown]
	s_cbranch_scc1 .LBB30_30
.LBB30_29:                              ;   Parent Loop BB30_3 Depth=1
                                        ;     Parent Loop BB30_28 Depth=2
                                        ; =>    This Inner Loop Header: Depth=3
	v_mov_b32_e32 v21, s38
	s_wait_alu 0xfffe
	s_add_co_i32 s39, s39, -1
	s_addk_co_i32 s38, 0xffa0
	s_wait_alu 0xfffe
	s_cmp_le_i32 s39, s21
	ds_load_b32 v23, v18
	ds_load_2addr_b32 v[19:20], v21 offset0:2 offset1:3
	ds_load_2addr_b32 v[21:22], v21 offset1:1
	v_add_nc_u32_e32 v18, 0xffffffa0, v18
	s_wait_dscnt 0x1
	v_fma_f32 v17, -v23, v20, v17
	v_fma_f32 v16, -v23, v19, v16
	s_wait_dscnt 0x0
	v_fma_f32 v15, -v23, v22, v15
	v_fma_f32 v14, -v23, v21, v14
	s_cbranch_scc0 .LBB30_29
.LBB30_30:                              ;   in Loop: Header=BB30_28 Depth=2
	s_add_co_i32 s38, s21, -3
; %bb.31:                               ;   in Loop: Header=BB30_28 Depth=2
	s_lshl_b32 s39, s21, 2
	s_wait_alu 0xfffe
	s_lshl_b32 s38, s38, 2
	s_add_co_i32 s40, s39, s37
	s_wait_alu 0xfffe
	s_add_co_i32 s37, s37, s38
	s_add_co_i32 s41, s40, -4
	s_add_co_i32 s38, s40, 0xffffff9c
	s_add_co_i32 s40, s40, -12
	s_wait_alu 0xfffe
	v_dual_mov_b32 v18, s41 :: v_dual_mov_b32 v21, s40
	s_add_co_i32 s41, s37, 0xffffffa0
	s_addk_co_i32 s37, 0xff40
	s_add_co_i32 s36, s39, s36
	ds_load_2addr_b32 v[18:19], v18 offset1:1
	s_wait_alu 0xfffe
	s_add_co_i32 s36, s36, -12
	s_add_co_i32 s20, s20, -16
	s_wait_dscnt 0x0
	v_div_scale_f32 v25, null, v19, v19, v17
	v_div_scale_f32 v28, vcc_lo, v17, v19, v17
	s_delay_alu instid0(VALU_DEP_2) | instskip(NEXT) | instid1(TRANS32_DEP_1)
	v_rcp_f32_e32 v26, v25
	v_fma_f32 v27, -v25, v26, 1.0
	s_delay_alu instid0(VALU_DEP_1) | instskip(NEXT) | instid1(VALU_DEP_1)
	v_fmac_f32_e32 v26, v27, v26
	v_dual_mov_b32 v20, s38 :: v_dual_mul_f32 v27, v28, v26
	s_delay_alu instid0(VALU_DEP_1) | instskip(NEXT) | instid1(VALU_DEP_1)
	v_fma_f32 v29, -v25, v27, v28
	v_dual_mov_b32 v22, s41 :: v_dual_fmac_f32 v27, v29, v26
	ds_load_b32 v24, v20
	ds_load_2addr_b32 v[20:21], v21 offset1:1
	ds_load_2addr_b32 v[22:23], v22 offset1:1
	v_fma_f32 v25, -v25, v27, v28
	s_wait_alu 0xfffd
	s_delay_alu instid0(VALU_DEP_1) | instskip(NEXT) | instid1(VALU_DEP_1)
	v_div_fmas_f32 v25, v25, v26, v27
	v_div_fixup_f32 v19, v25, v19, v17
	v_mov_b32_e32 v17, s37
	s_delay_alu instid0(VALU_DEP_2)
	v_fma_f32 v18, -v19, v18, v16
	s_wait_dscnt 0x1
	v_fma_f32 v15, -v19, v21, v15
	v_fma_f32 v14, -v19, v20, v14
	s_wait_alu 0xfffe
	v_mov_b32_e32 v21, s36
	s_add_co_i32 s36, s21, -4
	v_div_scale_f32 v25, null, v24, v24, v18
	v_div_scale_f32 v27, vcc_lo, v18, v24, v18
	s_cmp_lt_i32 s21, 7
	v_rcp_f32_e32 v26, v25
	ds_load_b32 v21, v21
	v_fma_f32 v16, -v25, v26, 1.0
	s_delay_alu instid0(VALU_DEP_1) | instskip(NEXT) | instid1(VALU_DEP_1)
	v_fmac_f32_e32 v26, v16, v26
	v_mul_f32_e32 v28, v27, v26
	s_delay_alu instid0(VALU_DEP_1) | instskip(NEXT) | instid1(VALU_DEP_1)
	v_fma_f32 v16, -v25, v28, v27
	v_fmac_f32_e32 v28, v16, v26
	ds_load_2addr_b32 v[16:17], v17 offset1:1
	v_fma_f32 v25, -v25, v28, v27
	s_wait_alu 0xfffd
	s_delay_alu instid0(VALU_DEP_1) | instskip(NEXT) | instid1(VALU_DEP_1)
	v_div_fmas_f32 v25, v25, v26, v28
	v_div_fixup_f32 v18, v25, v24, v18
	s_wait_dscnt 0x2
	s_delay_alu instid0(VALU_DEP_1) | instskip(SKIP_2) | instid1(VALU_DEP_2)
	v_fma_f32 v15, -v18, v23, v15
	v_fma_f32 v14, -v18, v22, v14
	s_wait_dscnt 0x0
	v_div_scale_f32 v23, null, v17, v17, v15
	v_div_scale_f32 v26, vcc_lo, v15, v17, v15
	s_delay_alu instid0(VALU_DEP_2) | instskip(NEXT) | instid1(TRANS32_DEP_1)
	v_rcp_f32_e32 v24, v23
	v_fma_f32 v25, -v23, v24, 1.0
	s_delay_alu instid0(VALU_DEP_1) | instskip(NEXT) | instid1(VALU_DEP_1)
	v_fmac_f32_e32 v24, v25, v24
	v_mul_f32_e32 v25, v26, v24
	s_delay_alu instid0(VALU_DEP_1) | instskip(NEXT) | instid1(VALU_DEP_1)
	v_fma_f32 v27, -v23, v25, v26
	v_fmac_f32_e32 v25, v27, v24
	s_delay_alu instid0(VALU_DEP_1) | instskip(SKIP_1) | instid1(VALU_DEP_1)
	v_fma_f32 v23, -v23, v25, v26
	s_wait_alu 0xfffd
	v_div_fmas_f32 v20, v23, v24, v25
	s_delay_alu instid0(VALU_DEP_1) | instskip(NEXT) | instid1(VALU_DEP_1)
	v_div_fixup_f32 v15, v20, v17, v15
	v_fma_f32 v14, -v15, v16, v14
	s_delay_alu instid0(VALU_DEP_1) | instskip(SKIP_1) | instid1(VALU_DEP_2)
	v_div_scale_f32 v16, null, v21, v21, v14
	v_div_scale_f32 v22, vcc_lo, v14, v21, v14
	v_rcp_f32_e32 v17, v16
	s_delay_alu instid0(TRANS32_DEP_1) | instskip(NEXT) | instid1(VALU_DEP_1)
	v_fma_f32 v20, -v16, v17, 1.0
	v_fmac_f32_e32 v17, v20, v17
	s_delay_alu instid0(VALU_DEP_1) | instskip(NEXT) | instid1(VALU_DEP_1)
	v_mul_f32_e32 v20, v22, v17
	v_fma_f32 v23, -v16, v20, v22
	s_delay_alu instid0(VALU_DEP_1) | instskip(NEXT) | instid1(VALU_DEP_1)
	v_fmac_f32_e32 v20, v23, v17
	v_fma_f32 v16, -v16, v20, v22
	s_wait_alu 0xfffd
	s_delay_alu instid0(VALU_DEP_1) | instskip(NEXT) | instid1(VALU_DEP_1)
	v_div_fmas_f32 v16, v16, v17, v20
	v_div_fixup_f32 v14, v16, v21, v14
	ds_store_b32 v2, v19
	ds_store_b32 v3, v18
	;; [unrolled: 1-line block ×4, first 2 shown]
	s_cbranch_scc1 .LBB30_33
; %bb.32:                               ;   in Loop: Header=BB30_28 Depth=2
	s_wait_alu 0xfffe
	s_mov_b32 s21, s36
	s_branch .LBB30_28
.LBB30_33:                              ;   in Loop: Header=BB30_3 Depth=1
	s_wait_alu 0xfffe
	s_cmp_lt_i32 s36, 0
	s_cbranch_scc1 .LBB30_46
; %bb.34:                               ;   in Loop: Header=BB30_3 Depth=1
	s_bitcmp1_b32 s36, 0
	s_cselect_b32 s20, -1, 0
	s_wait_alu 0xfffe
	s_and_b32 vcc_lo, exec_lo, s20
	s_mov_b32 s20, s36
	s_wait_alu 0xfffe
	s_cbranch_vccnz .LBB30_39
; %bb.35:                               ;   in Loop: Header=BB30_3 Depth=1
	s_mul_i32 s20, s36, 0x60
	s_cmp_le_i32 s23, s36
	s_wait_alu 0xfffe
	v_add_nc_u32_e32 v2, s20, v1
	ds_load_b32 v3, v2
	s_cbranch_scc1 .LBB30_38
; %bb.36:                               ;   in Loop: Header=BB30_3 Depth=1
	v_mov_b32_e32 v4, v9
	s_lshl_b32 s21, s36, 2
	s_mov_b32 s37, s23
	s_wait_alu 0xfffe
	s_add_co_i32 s21, s30, s21
.LBB30_37:                              ;   Parent Loop BB30_3 Depth=1
                                        ; =>  This Inner Loop Header: Depth=2
	s_wait_alu 0xfffe
	v_mov_b32_e32 v5, s21
	s_add_co_i32 s37, s37, -1
	s_addk_co_i32 s21, 0xffa0
	s_wait_alu 0xfffe
	s_cmp_gt_i32 s37, s36
	ds_load_b32 v14, v4
	ds_load_b32 v5, v5
	v_add_nc_u32_e32 v4, 0xffffffa0, v4
	s_wait_dscnt 0x0
	v_fma_f32 v3, -v14, v5, v3
	s_cbranch_scc1 .LBB30_37
.LBB30_38:                              ;   in Loop: Header=BB30_3 Depth=1
	s_lshl_b32 s21, s36, 2
	s_wait_alu 0xfffe
	s_add_co_i32 s20, s21, s20
	s_wait_alu 0xfffe
	v_mov_b32_e32 v4, s20
	s_add_co_i32 s20, s36, -1
	ds_load_b32 v4, v4
	s_wait_dscnt 0x0
	v_div_scale_f32 v5, null, v4, v4, v3
	s_delay_alu instid0(VALU_DEP_1) | instskip(NEXT) | instid1(TRANS32_DEP_1)
	v_rcp_f32_e32 v14, v5
	v_fma_f32 v15, -v5, v14, 1.0
	s_delay_alu instid0(VALU_DEP_1) | instskip(SKIP_1) | instid1(VALU_DEP_1)
	v_fmac_f32_e32 v14, v15, v14
	v_div_scale_f32 v15, vcc_lo, v3, v4, v3
	v_mul_f32_e32 v16, v15, v14
	s_delay_alu instid0(VALU_DEP_1) | instskip(NEXT) | instid1(VALU_DEP_1)
	v_fma_f32 v17, -v5, v16, v15
	v_fmac_f32_e32 v16, v17, v14
	s_delay_alu instid0(VALU_DEP_1) | instskip(SKIP_1) | instid1(VALU_DEP_1)
	v_fma_f32 v5, -v5, v16, v15
	s_wait_alu 0xfffd
	v_div_fmas_f32 v5, v5, v14, v16
	s_delay_alu instid0(VALU_DEP_1)
	v_div_fixup_f32 v3, v5, v4, v3
	ds_store_b32 v2, v3
.LBB30_39:                              ;   in Loop: Header=BB30_3 Depth=1
	s_cmp_eq_u32 s36, 0
	s_cbranch_scc1 .LBB30_46
; %bb.40:                               ;   in Loop: Header=BB30_3 Depth=1
	s_wait_alu 0xfffe
	s_lshl_b32 s36, s20, 2
	s_wait_alu 0xfffe
	s_add_co_i32 s21, s30, s36
	s_add_co_i32 s36, s31, s36
	s_branch .LBB30_42
.LBB30_41:                              ;   in Loop: Header=BB30_42 Depth=2
	s_addk_co_i32 s37, 0xff9c
	s_add_co_i32 s21, s21, -8
	s_wait_alu 0xfffe
	v_mov_b32_e32 v2, s37
	s_add_co_i32 s37, s20, -2
	s_add_co_i32 s36, s36, -8
	s_cmp_lt_i32 s20, 2
	s_wait_alu 0xfffe
	s_mov_b32 s20, s37
	ds_load_b32 v2, v2
	s_wait_dscnt 0x0
	v_div_scale_f32 v4, null, v2, v2, v5
	v_div_scale_f32 v16, vcc_lo, v5, v2, v5
	s_delay_alu instid0(VALU_DEP_2) | instskip(NEXT) | instid1(TRANS32_DEP_1)
	v_rcp_f32_e32 v14, v4
	v_fma_f32 v15, -v4, v14, 1.0
	s_delay_alu instid0(VALU_DEP_1) | instskip(NEXT) | instid1(VALU_DEP_1)
	v_fmac_f32_e32 v14, v15, v14
	v_mul_f32_e32 v15, v16, v14
	s_delay_alu instid0(VALU_DEP_1) | instskip(NEXT) | instid1(VALU_DEP_1)
	v_fma_f32 v17, -v4, v15, v16
	v_fmac_f32_e32 v15, v17, v14
	s_delay_alu instid0(VALU_DEP_1) | instskip(SKIP_1) | instid1(VALU_DEP_1)
	v_fma_f32 v4, -v4, v15, v16
	s_wait_alu 0xfffd
	v_div_fmas_f32 v4, v4, v14, v15
	s_delay_alu instid0(VALU_DEP_1)
	v_div_fixup_f32 v2, v4, v2, v5
	ds_store_b32 v3, v2
	s_cbranch_scc1 .LBB30_46
.LBB30_42:                              ;   Parent Loop BB30_3 Depth=1
                                        ; =>  This Loop Header: Depth=2
                                        ;       Child Loop BB30_43 Depth 3
                                        ;       Child Loop BB30_45 Depth 3
	s_wait_alu 0xfffe
	s_mul_i32 s38, s20, 0x60
	s_cmp_le_i32 s23, s20
	s_wait_alu 0xfffe
	v_dual_mov_b32 v3, v9 :: v_dual_add_nc_u32 v2, s38, v1
	s_mov_b32 s37, s21
	s_mov_b32 s39, s23
	ds_load_b32 v4, v2
	s_cbranch_scc1 .LBB30_44
.LBB30_43:                              ;   Parent Loop BB30_3 Depth=1
                                        ;     Parent Loop BB30_42 Depth=2
                                        ; =>    This Inner Loop Header: Depth=3
	s_wait_alu 0xfffe
	v_mov_b32_e32 v5, s37
	s_add_co_i32 s39, s39, -1
	s_addk_co_i32 s37, 0xffa0
	s_wait_alu 0xfffe
	s_cmp_le_i32 s39, s20
	ds_load_b32 v14, v3
	ds_load_b32 v5, v5
	v_add_nc_u32_e32 v3, 0xffffffa0, v3
	s_wait_dscnt 0x0
	v_fma_f32 v4, -v14, v5, v4
	s_cbranch_scc0 .LBB30_43
.LBB30_44:                              ;   in Loop: Header=BB30_42 Depth=2
	s_lshl_b32 s37, s20, 2
	s_mov_b32 s39, s1
	s_wait_alu 0xfffe
	s_add_co_i32 s37, s37, s38
	s_addk_co_i32 s38, 0xffa0
	s_wait_alu 0xfffe
	v_mov_b32_e32 v3, s37
	s_cmp_le_i32 s1, s20
	ds_load_b32 v14, v3
	s_wait_dscnt 0x0
	v_div_scale_f32 v15, null, v14, v14, v4
	s_delay_alu instid0(VALU_DEP_1) | instskip(NEXT) | instid1(TRANS32_DEP_1)
	v_rcp_f32_e32 v16, v15
	v_fma_f32 v17, -v15, v16, 1.0
	s_delay_alu instid0(VALU_DEP_1) | instskip(SKIP_3) | instid1(VALU_DEP_2)
	v_fmac_f32_e32 v16, v17, v16
	v_div_scale_f32 v17, vcc_lo, v4, v14, v4
	v_add_nc_u32_e32 v3, s38, v1
	s_mov_b32 s38, s36
	v_mul_f32_e32 v18, v17, v16
	ds_load_b32 v5, v3
	v_fma_f32 v19, -v15, v18, v17
	s_delay_alu instid0(VALU_DEP_1) | instskip(NEXT) | instid1(VALU_DEP_1)
	v_fmac_f32_e32 v18, v19, v16
	v_fma_f32 v15, -v15, v18, v17
	s_wait_alu 0xfffd
	s_delay_alu instid0(VALU_DEP_1) | instskip(NEXT) | instid1(VALU_DEP_1)
	v_div_fmas_f32 v15, v15, v16, v18
	v_div_fixup_f32 v14, v15, v14, v4
	v_mov_b32_e32 v4, v9
	ds_store_b32 v2, v14
	s_cbranch_scc1 .LBB30_41
.LBB30_45:                              ;   Parent Loop BB30_3 Depth=1
                                        ;     Parent Loop BB30_42 Depth=2
                                        ; =>    This Inner Loop Header: Depth=3
	s_wait_alu 0xfffe
	v_mov_b32_e32 v2, s38
	s_add_co_i32 s39, s39, -1
	s_addk_co_i32 s38, 0xffa0
	s_wait_alu 0xfffe
	s_cmp_gt_i32 s39, s20
	ds_load_b32 v14, v4
	ds_load_b32 v2, v2
	v_add_nc_u32_e32 v4, 0xffffffa0, v4
	s_wait_dscnt 0x0
	v_fma_f32 v5, -v14, v2, v5
	s_cbranch_scc1 .LBB30_45
	s_branch .LBB30_41
.LBB30_46:                              ;   in Loop: Header=BB30_3 Depth=1
	s_mov_b32 s20, 0
.LBB30_47:                              ;   in Loop: Header=BB30_3 Depth=1
	s_wait_alu 0xfffe
	s_and_not1_b32 vcc_lo, exec_lo, s20
	s_wait_alu 0xfffe
	s_cbranch_vccnz .LBB30_66
; %bb.48:                               ;   in Loop: Header=BB30_3 Depth=1
	s_mov_b32 s36, s23
	s_and_not1_b32 vcc_lo, exec_lo, s27
	s_mov_b32 s20, s33
	s_mov_b32 s21, s23
	s_wait_alu 0xfffe
	s_cbranch_vccnz .LBB30_53
.LBB30_49:                              ;   Parent Loop BB30_3 Depth=1
                                        ; =>  This Loop Header: Depth=2
                                        ;       Child Loop BB30_50 Depth 3
	s_wait_alu 0xfffe
	s_mul_i32 s36, s21, 24
	s_cmp_le_i32 s23, s21
	s_wait_alu 0xfffe
	v_lshl_add_u32 v2, s36, 2, v1
	s_mov_b32 s37, s20
	s_mov_b32 s38, s23
	s_delay_alu instid0(VALU_DEP_1)
	v_dual_mov_b32 v18, v9 :: v_dual_add_nc_u32 v3, 0xffffffa0, v2
	v_add_nc_u32_e32 v4, 0xffffff40, v2
	v_add_nc_u32_e32 v5, 0xfffffee0, v2
	ds_load_b32 v17, v2
	ds_load_b32 v16, v3
	;; [unrolled: 1-line block ×4, first 2 shown]
	s_cbranch_scc1 .LBB30_51
.LBB30_50:                              ;   Parent Loop BB30_3 Depth=1
                                        ;     Parent Loop BB30_49 Depth=2
                                        ; =>    This Inner Loop Header: Depth=3
	s_wait_alu 0xfffe
	v_mov_b32_e32 v21, s37
	s_add_co_i32 s38, s38, -1
	s_add_co_i32 s37, s37, -4
	s_wait_alu 0xfffe
	s_cmp_le_i32 s38, s21
	ds_load_b32 v23, v18
	ds_load_2addr_b32 v[19:20], v21 offset0:48 offset1:72
	ds_load_2addr_b32 v[21:22], v21 offset1:24
	v_add_nc_u32_e32 v18, 0xffffffa0, v18
	s_wait_dscnt 0x1
	v_fma_f32 v17, -v23, v20, v17
	v_fma_f32 v16, -v23, v19, v16
	s_wait_dscnt 0x0
	v_fma_f32 v15, -v23, v22, v15
	v_fma_f32 v14, -v23, v21, v14
	s_cbranch_scc0 .LBB30_50
.LBB30_51:                              ;   in Loop: Header=BB30_49 Depth=2
	s_mul_i32 s37, s21, 0x64
	s_lshl_b32 s36, s36, 2
	s_wait_alu 0xfffe
	v_mov_b32_e32 v18, s37
	s_lshl_b32 s37, s21, 2
	s_addk_co_i32 s20, 0xfe80
	s_wait_alu 0xfffe
	s_add_co_i32 s36, s36, s37
	s_wait_alu 0xfffe
	s_add_co_i32 s39, s36, 0xffffff38
	s_add_co_i32 s37, s36, 0xffffff9c
	s_wait_alu 0xfffe
	v_mov_b32_e32 v21, s39
	ds_load_b32 v22, v18
	s_add_co_i32 s38, s36, 0xffffff40
	s_wait_alu 0xfffe
	v_mov_b32_e32 v20, s38
	s_wait_dscnt 0x0
	v_div_scale_f32 v24, null, v22, v22, v17
	v_div_scale_f32 v27, vcc_lo, v17, v22, v17
	s_delay_alu instid0(VALU_DEP_2) | instskip(NEXT) | instid1(TRANS32_DEP_1)
	v_rcp_f32_e32 v25, v24
	v_fma_f32 v26, -v24, v25, 1.0
	v_mov_b32_e32 v18, s37
	s_add_co_i32 s37, s36, 0xfffffedc
	s_addk_co_i32 s36, 0xfed4
	s_delay_alu instid0(VALU_DEP_2) | instskip(SKIP_4) | instid1(VALU_DEP_1)
	v_fmac_f32_e32 v25, v26, v25
	ds_load_2addr_b32 v[18:19], v18 offset1:1
	ds_load_b32 v23, v20
	ds_load_2addr_b32 v[20:21], v21 offset1:1
	v_mul_f32_e32 v26, v27, v25
	v_fma_f32 v28, -v24, v26, v27
	s_delay_alu instid0(VALU_DEP_1) | instskip(NEXT) | instid1(VALU_DEP_1)
	v_fmac_f32_e32 v26, v28, v25
	v_fma_f32 v24, -v24, v26, v27
	s_wait_alu 0xfffd
	s_delay_alu instid0(VALU_DEP_1) | instskip(NEXT) | instid1(VALU_DEP_1)
	v_div_fmas_f32 v24, v24, v25, v26
	v_div_fixup_f32 v22, v24, v22, v17
	s_wait_dscnt 0x2
	s_delay_alu instid0(VALU_DEP_1) | instskip(SKIP_2) | instid1(VALU_DEP_2)
	v_fma_f32 v16, -v22, v19, v16
	s_wait_dscnt 0x1
	v_fma_f32 v15, -v22, v23, v15
	v_div_scale_f32 v17, null, v18, v18, v16
	v_div_scale_f32 v25, vcc_lo, v16, v18, v16
	s_delay_alu instid0(VALU_DEP_2) | instskip(NEXT) | instid1(TRANS32_DEP_1)
	v_rcp_f32_e32 v19, v17
	v_fma_f32 v24, -v17, v19, 1.0
	s_delay_alu instid0(VALU_DEP_1) | instskip(NEXT) | instid1(VALU_DEP_1)
	v_fmac_f32_e32 v19, v24, v19
	v_mul_f32_e32 v24, v25, v19
	s_delay_alu instid0(VALU_DEP_1) | instskip(NEXT) | instid1(VALU_DEP_1)
	v_fma_f32 v26, -v17, v24, v25
	v_fmac_f32_e32 v24, v26, v19
	s_delay_alu instid0(VALU_DEP_1) | instskip(SKIP_1) | instid1(VALU_DEP_1)
	v_fma_f32 v17, -v17, v24, v25
	s_wait_alu 0xfffd
	v_div_fmas_f32 v17, v17, v19, v24
	s_delay_alu instid0(VALU_DEP_1)
	v_div_fixup_f32 v19, v17, v18, v16
	s_wait_alu 0xfffe
	v_dual_mov_b32 v16, s37 :: v_dual_mov_b32 v17, s36
	s_add_co_i32 s36, s21, -4
	s_cmp_lt_i32 s21, 7
	s_wait_dscnt 0x0
	v_fma_f32 v21, -v19, v21, v15
	ds_load_2addr_b32 v[17:18], v17 offset1:1
	v_div_scale_f32 v23, null, v20, v20, v21
	v_div_scale_f32 v25, vcc_lo, v21, v20, v21
	s_delay_alu instid0(VALU_DEP_2) | instskip(NEXT) | instid1(TRANS32_DEP_1)
	v_rcp_f32_e32 v24, v23
	v_fma_f32 v15, -v23, v24, 1.0
	s_delay_alu instid0(VALU_DEP_1) | instskip(SKIP_2) | instid1(VALU_DEP_1)
	v_fmac_f32_e32 v24, v15, v24
	ds_load_2addr_b32 v[15:16], v16 offset1:1
	v_mul_f32_e32 v26, v25, v24
	v_fma_f32 v27, -v23, v26, v25
	s_delay_alu instid0(VALU_DEP_1) | instskip(NEXT) | instid1(VALU_DEP_1)
	v_fmac_f32_e32 v26, v27, v24
	v_fma_f32 v23, -v23, v26, v25
	s_wait_dscnt 0x0
	v_fma_f32 v14, -v22, v16, v14
	s_wait_alu 0xfffd
	s_delay_alu instid0(VALU_DEP_2) | instskip(NEXT) | instid1(VALU_DEP_2)
	v_div_fmas_f32 v16, v23, v24, v26
	v_fma_f32 v14, -v19, v15, v14
	s_delay_alu instid0(VALU_DEP_2) | instskip(NEXT) | instid1(VALU_DEP_1)
	v_div_fixup_f32 v15, v16, v20, v21
	v_fma_f32 v14, -v15, v18, v14
	s_delay_alu instid0(VALU_DEP_1) | instskip(SKIP_1) | instid1(VALU_DEP_2)
	v_div_scale_f32 v16, null, v17, v17, v14
	v_div_scale_f32 v21, vcc_lo, v14, v17, v14
	v_rcp_f32_e32 v18, v16
	s_delay_alu instid0(TRANS32_DEP_1) | instskip(NEXT) | instid1(VALU_DEP_1)
	v_fma_f32 v20, -v16, v18, 1.0
	v_fmac_f32_e32 v18, v20, v18
	s_delay_alu instid0(VALU_DEP_1) | instskip(NEXT) | instid1(VALU_DEP_1)
	v_mul_f32_e32 v20, v21, v18
	v_fma_f32 v23, -v16, v20, v21
	s_delay_alu instid0(VALU_DEP_1) | instskip(NEXT) | instid1(VALU_DEP_1)
	v_fmac_f32_e32 v20, v23, v18
	v_fma_f32 v16, -v16, v20, v21
	s_wait_alu 0xfffd
	s_delay_alu instid0(VALU_DEP_1) | instskip(NEXT) | instid1(VALU_DEP_1)
	v_div_fmas_f32 v16, v16, v18, v20
	v_div_fixup_f32 v14, v16, v17, v14
	ds_store_b32 v2, v22
	ds_store_b32 v3, v19
	;; [unrolled: 1-line block ×4, first 2 shown]
	s_cbranch_scc1 .LBB30_53
; %bb.52:                               ;   in Loop: Header=BB30_49 Depth=2
	s_wait_alu 0xfffe
	s_mov_b32 s21, s36
	s_branch .LBB30_49
.LBB30_53:                              ;   in Loop: Header=BB30_3 Depth=1
	s_wait_alu 0xfffe
	s_cmp_lt_i32 s36, 0
	s_cbranch_scc1 .LBB30_66
; %bb.54:                               ;   in Loop: Header=BB30_3 Depth=1
	s_bitcmp1_b32 s36, 0
	s_cselect_b32 s20, -1, 0
	s_wait_alu 0xfffe
	s_and_b32 vcc_lo, exec_lo, s20
	s_mov_b32 s20, s36
	s_wait_alu 0xfffe
	s_cbranch_vccnz .LBB30_59
; %bb.55:                               ;   in Loop: Header=BB30_3 Depth=1
	v_mad_co_u64_u32 v[2:3], null, 0x60, s36, v[1:2]
	s_cmp_le_i32 s23, s36
	ds_load_b32 v3, v2
	s_cbranch_scc1 .LBB30_58
; %bb.56:                               ;   in Loop: Header=BB30_3 Depth=1
	v_mov_b32_e32 v4, v9
	s_mul_i32 s20, s36, 0x60
	s_mov_b32 s21, s23
	s_wait_alu 0xfffe
	s_add_co_i32 s20, s34, s20
.LBB30_57:                              ;   Parent Loop BB30_3 Depth=1
                                        ; =>  This Inner Loop Header: Depth=2
	s_wait_alu 0xfffe
	v_mov_b32_e32 v5, s20
	s_add_co_i32 s21, s21, -1
	s_add_co_i32 s20, s20, -4
	s_wait_alu 0xfffe
	s_cmp_gt_u32 s21, s36
	ds_load_b32 v14, v4
	ds_load_b32 v5, v5
	v_add_nc_u32_e32 v4, 0xffffffa0, v4
	s_wait_dscnt 0x0
	v_fma_f32 v3, -v14, v5, v3
	s_cbranch_scc1 .LBB30_57
.LBB30_58:                              ;   in Loop: Header=BB30_3 Depth=1
	s_mul_i32 s20, s36, 0x64
	s_wait_alu 0xfffe
	v_mov_b32_e32 v4, s20
	s_add_co_i32 s20, s36, -1
	ds_load_b32 v4, v4
	s_wait_dscnt 0x0
	v_div_scale_f32 v5, null, v4, v4, v3
	s_delay_alu instid0(VALU_DEP_1) | instskip(NEXT) | instid1(TRANS32_DEP_1)
	v_rcp_f32_e32 v14, v5
	v_fma_f32 v15, -v5, v14, 1.0
	s_delay_alu instid0(VALU_DEP_1) | instskip(SKIP_1) | instid1(VALU_DEP_1)
	v_fmac_f32_e32 v14, v15, v14
	v_div_scale_f32 v15, vcc_lo, v3, v4, v3
	v_mul_f32_e32 v16, v15, v14
	s_delay_alu instid0(VALU_DEP_1) | instskip(NEXT) | instid1(VALU_DEP_1)
	v_fma_f32 v17, -v5, v16, v15
	v_fmac_f32_e32 v16, v17, v14
	s_delay_alu instid0(VALU_DEP_1) | instskip(SKIP_1) | instid1(VALU_DEP_1)
	v_fma_f32 v5, -v5, v16, v15
	s_wait_alu 0xfffd
	v_div_fmas_f32 v5, v5, v14, v16
	s_delay_alu instid0(VALU_DEP_1)
	v_div_fixup_f32 v3, v5, v4, v3
	ds_store_b32 v2, v3
.LBB30_59:                              ;   in Loop: Header=BB30_3 Depth=1
	s_cmp_eq_u32 s36, 0
	s_cbranch_scc1 .LBB30_66
; %bb.60:                               ;   in Loop: Header=BB30_3 Depth=1
	s_wait_alu 0xfffe
	s_mul_i32 s36, s20, 0x60
	s_wait_alu 0xfffe
	s_add_co_i32 s21, s34, s36
	s_add_co_i32 s36, s35, s36
	s_branch .LBB30_62
.LBB30_61:                              ;   in Loop: Header=BB30_62 Depth=2
	s_addk_co_i32 s37, 0xff9c
	s_add_co_i32 s20, s20, -2
	s_wait_alu 0xfffe
	v_mov_b32_e32 v2, s37
	s_addk_co_i32 s21, 0xff40
	s_addk_co_i32 s36, 0xff40
	s_cmp_eq_u32 s38, 0
	ds_load_b32 v2, v2
	s_wait_dscnt 0x0
	v_div_scale_f32 v4, null, v2, v2, v5
	v_div_scale_f32 v16, vcc_lo, v5, v2, v5
	s_delay_alu instid0(VALU_DEP_2) | instskip(NEXT) | instid1(TRANS32_DEP_1)
	v_rcp_f32_e32 v14, v4
	v_fma_f32 v15, -v4, v14, 1.0
	s_delay_alu instid0(VALU_DEP_1) | instskip(NEXT) | instid1(VALU_DEP_1)
	v_fmac_f32_e32 v14, v15, v14
	v_mul_f32_e32 v15, v16, v14
	s_delay_alu instid0(VALU_DEP_1) | instskip(NEXT) | instid1(VALU_DEP_1)
	v_fma_f32 v17, -v4, v15, v16
	v_fmac_f32_e32 v15, v17, v14
	s_delay_alu instid0(VALU_DEP_1) | instskip(SKIP_1) | instid1(VALU_DEP_1)
	v_fma_f32 v4, -v4, v15, v16
	s_wait_alu 0xfffd
	v_div_fmas_f32 v4, v4, v14, v15
	s_delay_alu instid0(VALU_DEP_1)
	v_div_fixup_f32 v2, v4, v2, v5
	ds_store_b32 v3, v2
	s_cbranch_scc1 .LBB30_66
.LBB30_62:                              ;   Parent Loop BB30_3 Depth=1
                                        ; =>  This Loop Header: Depth=2
                                        ;       Child Loop BB30_63 Depth 3
                                        ;       Child Loop BB30_65 Depth 3
	v_mad_co_u64_u32 v[2:3], null, 0x60, s20, v[1:2]
	v_mov_b32_e32 v3, v9
	s_cmp_le_i32 s23, s20
	s_wait_alu 0xfffe
	s_mov_b32 s37, s21
	s_mov_b32 s38, s23
	ds_load_b32 v4, v2
	s_cbranch_scc1 .LBB30_64
.LBB30_63:                              ;   Parent Loop BB30_3 Depth=1
                                        ;     Parent Loop BB30_62 Depth=2
                                        ; =>    This Inner Loop Header: Depth=3
	s_wait_alu 0xfffe
	v_mov_b32_e32 v5, s37
	s_add_co_i32 s38, s38, -1
	s_add_co_i32 s37, s37, -4
	s_wait_alu 0xfffe
	s_cmp_le_u32 s38, s20
	ds_load_b32 v14, v3
	ds_load_b32 v5, v5
	v_add_nc_u32_e32 v3, 0xffffffa0, v3
	s_wait_dscnt 0x0
	v_fma_f32 v4, -v14, v5, v4
	s_cbranch_scc0 .LBB30_63
.LBB30_64:                              ;   in Loop: Header=BB30_62 Depth=2
	s_mul_i32 s37, s20, 0x64
	s_add_co_i32 s38, s20, -1
	s_wait_alu 0xfffe
	v_mov_b32_e32 v3, s37
	s_cmp_le_i32 s1, s20
	s_mov_b32 s39, s36
	s_mov_b32 s40, s23
	ds_load_b32 v14, v3
	v_add_nc_u32_e32 v3, 0xffffffa0, v2
	s_wait_dscnt 0x0
	v_div_scale_f32 v15, null, v14, v14, v4
	v_div_scale_f32 v18, vcc_lo, v4, v14, v4
	s_delay_alu instid0(VALU_DEP_2) | instskip(NEXT) | instid1(TRANS32_DEP_1)
	v_rcp_f32_e32 v16, v15
	v_fma_f32 v17, -v15, v16, 1.0
	s_delay_alu instid0(VALU_DEP_1) | instskip(NEXT) | instid1(VALU_DEP_1)
	v_fmac_f32_e32 v16, v17, v16
	v_mul_f32_e32 v17, v18, v16
	s_delay_alu instid0(VALU_DEP_1) | instskip(NEXT) | instid1(VALU_DEP_1)
	v_fma_f32 v19, -v15, v17, v18
	v_fmac_f32_e32 v17, v19, v16
	s_delay_alu instid0(VALU_DEP_1) | instskip(SKIP_1) | instid1(VALU_DEP_1)
	v_fma_f32 v15, -v15, v17, v18
	s_wait_alu 0xfffd
	v_div_fmas_f32 v15, v15, v16, v17
	s_delay_alu instid0(VALU_DEP_1)
	v_div_fixup_f32 v14, v15, v14, v4
	v_mov_b32_e32 v4, v9
	ds_load_b32 v5, v3
	ds_store_b32 v2, v14
	s_cbranch_scc1 .LBB30_61
.LBB30_65:                              ;   Parent Loop BB30_3 Depth=1
                                        ;     Parent Loop BB30_62 Depth=2
                                        ; =>    This Inner Loop Header: Depth=3
	s_wait_alu 0xfffe
	v_mov_b32_e32 v2, s39
	s_add_co_i32 s40, s40, -1
	s_add_co_i32 s39, s39, -4
	s_wait_alu 0xfffe
	s_cmp_gt_u32 s40, s38
	ds_load_b32 v14, v4
	ds_load_b32 v2, v2
	v_add_nc_u32_e32 v4, 0xffffffa0, v4
	s_wait_dscnt 0x0
	v_fma_f32 v5, -v14, v2, v5
	s_cbranch_scc1 .LBB30_65
	s_branch .LBB30_61
.LBB30_66:                              ;   in Loop: Header=BB30_3 Depth=1
	s_mov_b32 s20, 0
.LBB30_67:                              ;   in Loop: Header=BB30_3 Depth=1
	s_wait_alu 0xfffe
	s_and_not1_b32 vcc_lo, exec_lo, s20
	s_wait_alu 0xfffe
	s_cbranch_vccnz .LBB30_79
; %bb.68:                               ;   in Loop: Header=BB30_3 Depth=1
	s_and_not1_b32 vcc_lo, exec_lo, s27
	s_mov_b32 s36, 0
	s_wait_alu 0xfffe
	s_cbranch_vccnz .LBB30_74
; %bb.69:                               ;   in Loop: Header=BB30_3 Depth=1
	s_mov_b32 s20, 0
	s_mov_b32 s21, 0
.LBB30_70:                              ;   Parent Loop BB30_3 Depth=1
                                        ; =>  This Loop Header: Depth=2
                                        ;       Child Loop BB30_71 Depth 3
	s_wait_alu 0xfffe
	s_mul_i32 s36, s21, 24
	v_mov_b32_e32 v15, v1
	s_wait_alu 0xfffe
	v_lshl_add_u32 v14, s36, 2, v1
	s_cmp_eq_u32 s21, 0
	s_mov_b32 s37, s20
	s_mov_b32 s38, s21
	ds_load_2addr_b32 v[4:5], v14 offset1:24
	ds_load_2addr_b32 v[2:3], v14 offset0:48 offset1:72
	s_cbranch_scc1 .LBB30_72
.LBB30_71:                              ;   Parent Loop BB30_3 Depth=1
                                        ;     Parent Loop BB30_70 Depth=2
                                        ; =>    This Inner Loop Header: Depth=3
	s_wait_alu 0xfffe
	v_mov_b32_e32 v18, s37
	s_add_co_i32 s38, s38, -1
	s_add_co_i32 s37, s37, 4
	s_wait_alu 0xfffe
	s_cmp_eq_u32 s38, 0
	ds_load_b32 v20, v15
	ds_load_2addr_b32 v[16:17], v18 offset1:24
	ds_load_2addr_b32 v[18:19], v18 offset0:48 offset1:72
	v_add_nc_u32_e32 v15, 0x60, v15
	s_wait_dscnt 0x1
	v_fma_f32 v4, -v20, v16, v4
	v_fma_f32 v5, -v20, v17, v5
	s_wait_dscnt 0x0
	v_fma_f32 v2, -v20, v18, v2
	v_fma_f32 v3, -v20, v19, v3
	s_cbranch_scc0 .LBB30_71
.LBB30_72:                              ;   in Loop: Header=BB30_70 Depth=2
	s_mul_i32 s37, s21, 0x64
	s_lshl_b32 s36, s36, 2
	s_wait_alu 0xfffe
	v_mov_b32_e32 v15, s37
	s_lshl_b32 s37, s21, 2
	s_addk_co_i32 s20, 0x180
	s_wait_alu 0xfffe
	s_add_co_i32 s36, s36, s37
	ds_load_b32 v20, v15
	s_wait_dscnt 0x0
	v_div_scale_f32 v22, null, v20, v20, v4
	v_div_scale_f32 v25, vcc_lo, v4, v20, v4
	s_delay_alu instid0(VALU_DEP_2) | instskip(NEXT) | instid1(TRANS32_DEP_1)
	v_rcp_f32_e32 v23, v22
	v_fma_f32 v24, -v22, v23, 1.0
	s_delay_alu instid0(VALU_DEP_1) | instskip(NEXT) | instid1(VALU_DEP_1)
	v_fmac_f32_e32 v23, v24, v23
	v_mul_f32_e32 v24, v25, v23
	s_delay_alu instid0(VALU_DEP_1)
	v_fma_f32 v26, -v22, v24, v25
	s_wait_alu 0xfffe
	v_mov_b32_e32 v21, s36
	s_add_co_i32 s36, s21, 4
	s_add_co_i32 s21, s21, 7
	s_wait_alu 0xfffe
	s_cmp_ge_i32 s21, s1
	v_fmac_f32_e32 v24, v26, v23
	ds_load_b64 v[15:16], v21 offset:96
	ds_load_b96 v[17:19], v21 offset:192
	v_fma_f32 v22, -v22, v24, v25
	s_wait_alu 0xfffd
	s_delay_alu instid0(VALU_DEP_1) | instskip(NEXT) | instid1(VALU_DEP_1)
	v_div_fmas_f32 v22, v22, v23, v24
	v_div_fixup_f32 v4, v22, v20, v4
	s_wait_dscnt 0x1
	s_delay_alu instid0(VALU_DEP_1) | instskip(SKIP_2) | instid1(VALU_DEP_2)
	v_fma_f32 v5, -v4, v15, v5
	s_wait_dscnt 0x0
	v_fma_f32 v2, -v4, v17, v2
	v_div_scale_f32 v15, null, v16, v16, v5
	v_div_scale_f32 v23, vcc_lo, v5, v16, v5
	s_delay_alu instid0(VALU_DEP_2) | instskip(NEXT) | instid1(TRANS32_DEP_1)
	v_rcp_f32_e32 v20, v15
	v_fma_f32 v22, -v15, v20, 1.0
	s_delay_alu instid0(VALU_DEP_1) | instskip(NEXT) | instid1(VALU_DEP_1)
	v_fmac_f32_e32 v20, v22, v20
	v_mul_f32_e32 v22, v23, v20
	s_delay_alu instid0(VALU_DEP_1) | instskip(NEXT) | instid1(VALU_DEP_1)
	v_fma_f32 v24, -v15, v22, v23
	v_fmac_f32_e32 v22, v24, v20
	s_delay_alu instid0(VALU_DEP_1) | instskip(SKIP_1) | instid1(VALU_DEP_1)
	v_fma_f32 v15, -v15, v22, v23
	s_wait_alu 0xfffd
	v_div_fmas_f32 v15, v15, v20, v22
	s_delay_alu instid0(VALU_DEP_1) | instskip(NEXT) | instid1(VALU_DEP_1)
	v_div_fixup_f32 v5, v15, v16, v5
	v_fma_f32 v2, -v5, v18, v2
	s_delay_alu instid0(VALU_DEP_1) | instskip(SKIP_1) | instid1(VALU_DEP_2)
	v_div_scale_f32 v20, null, v19, v19, v2
	v_div_scale_f32 v23, vcc_lo, v2, v19, v2
	v_rcp_f32_e32 v22, v20
	s_delay_alu instid0(TRANS32_DEP_1) | instskip(NEXT) | instid1(VALU_DEP_1)
	v_fma_f32 v15, -v20, v22, 1.0
	v_fmac_f32_e32 v22, v15, v22
	ds_load_b128 v[15:18], v21 offset:288
	v_mul_f32_e32 v21, v23, v22
	s_delay_alu instid0(VALU_DEP_1) | instskip(NEXT) | instid1(VALU_DEP_1)
	v_fma_f32 v24, -v20, v21, v23
	v_fmac_f32_e32 v21, v24, v22
	s_delay_alu instid0(VALU_DEP_1) | instskip(SKIP_3) | instid1(VALU_DEP_2)
	v_fma_f32 v20, -v20, v21, v23
	s_wait_dscnt 0x0
	v_fma_f32 v3, -v4, v15, v3
	s_wait_alu 0xfffd
	v_div_fmas_f32 v15, v20, v22, v21
	s_delay_alu instid0(VALU_DEP_2) | instskip(NEXT) | instid1(VALU_DEP_2)
	v_fma_f32 v3, -v5, v16, v3
	v_div_fixup_f32 v2, v15, v19, v2
	s_delay_alu instid0(VALU_DEP_1) | instskip(NEXT) | instid1(VALU_DEP_1)
	v_fma_f32 v3, -v2, v17, v3
	v_div_scale_f32 v15, null, v18, v18, v3
	v_div_scale_f32 v19, vcc_lo, v3, v18, v3
	s_delay_alu instid0(VALU_DEP_2) | instskip(NEXT) | instid1(TRANS32_DEP_1)
	v_rcp_f32_e32 v16, v15
	v_fma_f32 v17, -v15, v16, 1.0
	s_delay_alu instid0(VALU_DEP_1) | instskip(NEXT) | instid1(VALU_DEP_1)
	v_fmac_f32_e32 v16, v17, v16
	v_mul_f32_e32 v17, v19, v16
	s_delay_alu instid0(VALU_DEP_1) | instskip(NEXT) | instid1(VALU_DEP_1)
	v_fma_f32 v20, -v15, v17, v19
	v_fmac_f32_e32 v17, v20, v16
	s_delay_alu instid0(VALU_DEP_1) | instskip(SKIP_1) | instid1(VALU_DEP_1)
	v_fma_f32 v15, -v15, v17, v19
	s_wait_alu 0xfffd
	v_div_fmas_f32 v15, v15, v16, v17
	s_delay_alu instid0(VALU_DEP_1)
	v_div_fixup_f32 v3, v15, v18, v3
	ds_store_2addr_b32 v14, v4, v5 offset1:24
	ds_store_2addr_b32 v14, v2, v3 offset0:48 offset1:72
	s_cbranch_scc1 .LBB30_74
; %bb.73:                               ;   in Loop: Header=BB30_70 Depth=2
	s_mov_b32 s21, s36
	s_branch .LBB30_70
.LBB30_74:                              ;   in Loop: Header=BB30_3 Depth=1
	s_cmp_ge_i32 s36, s1
	s_cbranch_scc1 .LBB30_79
; %bb.75:                               ;   in Loop: Header=BB30_3 Depth=1
	s_mul_i32 s20, s36, 0x60
	s_branch .LBB30_77
.LBB30_76:                              ;   in Loop: Header=BB30_77 Depth=2
	s_mul_i32 s21, s36, 0x64
	s_add_co_i32 s36, s36, 1
	s_wait_alu 0xfffe
	v_mov_b32_e32 v4, s21
	s_addk_co_i32 s20, 0x60
	s_cmp_ge_i32 s36, s1
	ds_load_b32 v4, v4
	s_wait_dscnt 0x0
	v_div_scale_f32 v5, null, v4, v4, v3
	s_delay_alu instid0(VALU_DEP_1) | instskip(NEXT) | instid1(TRANS32_DEP_1)
	v_rcp_f32_e32 v14, v5
	v_fma_f32 v15, -v5, v14, 1.0
	s_delay_alu instid0(VALU_DEP_1) | instskip(SKIP_1) | instid1(VALU_DEP_1)
	v_fmac_f32_e32 v14, v15, v14
	v_div_scale_f32 v15, vcc_lo, v3, v4, v3
	v_mul_f32_e32 v16, v15, v14
	s_delay_alu instid0(VALU_DEP_1) | instskip(NEXT) | instid1(VALU_DEP_1)
	v_fma_f32 v17, -v5, v16, v15
	v_fmac_f32_e32 v16, v17, v14
	s_delay_alu instid0(VALU_DEP_1) | instskip(SKIP_1) | instid1(VALU_DEP_1)
	v_fma_f32 v5, -v5, v16, v15
	s_wait_alu 0xfffd
	v_div_fmas_f32 v5, v5, v14, v16
	s_delay_alu instid0(VALU_DEP_1)
	v_div_fixup_f32 v3, v5, v4, v3
	ds_store_b32 v2, v3
	s_cbranch_scc1 .LBB30_79
.LBB30_77:                              ;   Parent Loop BB30_3 Depth=1
                                        ; =>  This Loop Header: Depth=2
                                        ;       Child Loop BB30_78 Depth 3
	v_mad_co_u64_u32 v[2:3], null, 0x60, s36, v[1:2]
	v_mov_b32_e32 v4, v1
	s_cmp_eq_u32 s36, 0
	s_wait_alu 0xfffe
	s_mov_b32 s21, s20
	s_mov_b32 s37, s36
	ds_load_b32 v3, v2
	s_cbranch_scc1 .LBB30_76
.LBB30_78:                              ;   Parent Loop BB30_3 Depth=1
                                        ;     Parent Loop BB30_77 Depth=2
                                        ; =>    This Inner Loop Header: Depth=3
	s_wait_alu 0xfffe
	v_mov_b32_e32 v5, s21
	s_add_co_i32 s37, s37, -1
	s_add_co_i32 s21, s21, 4
	s_wait_alu 0xfffe
	s_cmp_eq_u32 s37, 0
	ds_load_b32 v14, v4
	ds_load_b32 v5, v5
	v_add_nc_u32_e32 v4, 0x60, v4
	s_wait_dscnt 0x0
	v_fma_f32 v3, -v14, v5, v3
	s_cbranch_scc0 .LBB30_78
	s_branch .LBB30_76
.LBB30_79:                              ;   in Loop: Header=BB30_3 Depth=1
	s_and_saveexec_b32 s20, s28
	s_cbranch_execz .LBB30_2
; %bb.80:                               ;   in Loop: Header=BB30_3 Depth=1
	v_add_co_u32 v2, vcc_lo, v12, v0
	s_wait_alu 0xfffd
	v_add_co_ci_u32_e64 v3, null, 0, v13, vcc_lo
	v_mov_b32_e32 v4, v1
	s_mov_b32 s21, s12
.LBB30_81:                              ;   Parent Loop BB30_3 Depth=1
                                        ; =>  This Inner Loop Header: Depth=2
	ds_load_b32 v5, v4
	v_add_nc_u32_e32 v4, 0x60, v4
	s_wait_alu 0xfffe
	s_add_co_i32 s21, s21, -1
	s_wait_alu 0xfffe
	s_cmp_lg_u32 s21, 0
	s_wait_dscnt 0x0
	flat_store_b32 v[2:3], v5
	v_add_co_u32 v2, vcc_lo, v2, s18
	s_wait_alu 0xfffd
	v_add_co_ci_u32_e64 v3, null, s19, v3, vcc_lo
	s_cbranch_scc1 .LBB30_81
	s_branch .LBB30_2
.LBB30_82:
	s_endpgm
	.section	.rodata,"a",@progbits
	.p2align	6, 0x0
	.amdhsa_kernel _ZL31rocblas_trsm_small_right_deviceIffPKPKfPKPfLi24EEv13rocblas_fill_18rocblas_operation_17rocblas_diagonal_iiT0_T1_lilT2_lili
		.amdhsa_group_segment_fixed_size 4608
		.amdhsa_private_segment_fixed_size 0
		.amdhsa_kernarg_size 352
		.amdhsa_user_sgpr_count 2
		.amdhsa_user_sgpr_dispatch_ptr 0
		.amdhsa_user_sgpr_queue_ptr 0
		.amdhsa_user_sgpr_kernarg_segment_ptr 1
		.amdhsa_user_sgpr_dispatch_id 0
		.amdhsa_user_sgpr_private_segment_size 0
		.amdhsa_wavefront_size32 1
		.amdhsa_uses_dynamic_stack 0
		.amdhsa_enable_private_segment 0
		.amdhsa_system_sgpr_workgroup_id_x 1
		.amdhsa_system_sgpr_workgroup_id_y 0
		.amdhsa_system_sgpr_workgroup_id_z 1
		.amdhsa_system_sgpr_workgroup_info 0
		.amdhsa_system_vgpr_workitem_id 0
		.amdhsa_next_free_vgpr 193
		.amdhsa_next_free_sgpr 42
		.amdhsa_reserve_vcc 1
		.amdhsa_float_round_mode_32 0
		.amdhsa_float_round_mode_16_64 0
		.amdhsa_float_denorm_mode_32 3
		.amdhsa_float_denorm_mode_16_64 3
		.amdhsa_fp16_overflow 0
		.amdhsa_workgroup_processor_mode 1
		.amdhsa_memory_ordered 1
		.amdhsa_forward_progress 1
		.amdhsa_inst_pref_size 52
		.amdhsa_round_robin_scheduling 0
		.amdhsa_exception_fp_ieee_invalid_op 0
		.amdhsa_exception_fp_denorm_src 0
		.amdhsa_exception_fp_ieee_div_zero 0
		.amdhsa_exception_fp_ieee_overflow 0
		.amdhsa_exception_fp_ieee_underflow 0
		.amdhsa_exception_fp_ieee_inexact 0
		.amdhsa_exception_int_div_zero 0
	.end_amdhsa_kernel
	.section	.text._ZL31rocblas_trsm_small_right_deviceIffPKPKfPKPfLi24EEv13rocblas_fill_18rocblas_operation_17rocblas_diagonal_iiT0_T1_lilT2_lili,"axG",@progbits,_ZL31rocblas_trsm_small_right_deviceIffPKPKfPKPfLi24EEv13rocblas_fill_18rocblas_operation_17rocblas_diagonal_iiT0_T1_lilT2_lili,comdat
.Lfunc_end30:
	.size	_ZL31rocblas_trsm_small_right_deviceIffPKPKfPKPfLi24EEv13rocblas_fill_18rocblas_operation_17rocblas_diagonal_iiT0_T1_lilT2_lili, .Lfunc_end30-_ZL31rocblas_trsm_small_right_deviceIffPKPKfPKPfLi24EEv13rocblas_fill_18rocblas_operation_17rocblas_diagonal_iiT0_T1_lilT2_lili
                                        ; -- End function
	.set _ZL31rocblas_trsm_small_right_deviceIffPKPKfPKPfLi24EEv13rocblas_fill_18rocblas_operation_17rocblas_diagonal_iiT0_T1_lilT2_lili.num_vgpr, 30
	.set _ZL31rocblas_trsm_small_right_deviceIffPKPKfPKPfLi24EEv13rocblas_fill_18rocblas_operation_17rocblas_diagonal_iiT0_T1_lilT2_lili.num_agpr, 0
	.set _ZL31rocblas_trsm_small_right_deviceIffPKPKfPKPfLi24EEv13rocblas_fill_18rocblas_operation_17rocblas_diagonal_iiT0_T1_lilT2_lili.numbered_sgpr, 42
	.set _ZL31rocblas_trsm_small_right_deviceIffPKPKfPKPfLi24EEv13rocblas_fill_18rocblas_operation_17rocblas_diagonal_iiT0_T1_lilT2_lili.num_named_barrier, 0
	.set _ZL31rocblas_trsm_small_right_deviceIffPKPKfPKPfLi24EEv13rocblas_fill_18rocblas_operation_17rocblas_diagonal_iiT0_T1_lilT2_lili.private_seg_size, 0
	.set _ZL31rocblas_trsm_small_right_deviceIffPKPKfPKPfLi24EEv13rocblas_fill_18rocblas_operation_17rocblas_diagonal_iiT0_T1_lilT2_lili.uses_vcc, 1
	.set _ZL31rocblas_trsm_small_right_deviceIffPKPKfPKPfLi24EEv13rocblas_fill_18rocblas_operation_17rocblas_diagonal_iiT0_T1_lilT2_lili.uses_flat_scratch, 0
	.set _ZL31rocblas_trsm_small_right_deviceIffPKPKfPKPfLi24EEv13rocblas_fill_18rocblas_operation_17rocblas_diagonal_iiT0_T1_lilT2_lili.has_dyn_sized_stack, 0
	.set _ZL31rocblas_trsm_small_right_deviceIffPKPKfPKPfLi24EEv13rocblas_fill_18rocblas_operation_17rocblas_diagonal_iiT0_T1_lilT2_lili.has_recursion, 0
	.set _ZL31rocblas_trsm_small_right_deviceIffPKPKfPKPfLi24EEv13rocblas_fill_18rocblas_operation_17rocblas_diagonal_iiT0_T1_lilT2_lili.has_indirect_call, 0
	.section	.AMDGPU.csdata,"",@progbits
; Kernel info:
; codeLenInByte = 6532
; TotalNumSgprs: 44
; NumVgprs: 30
; ScratchSize: 0
; MemoryBound: 0
; FloatMode: 240
; IeeeMode: 1
; LDSByteSize: 4608 bytes/workgroup (compile time only)
; SGPRBlocks: 0
; VGPRBlocks: 24
; NumSGPRsForWavesPerEU: 44
; NumVGPRsForWavesPerEU: 193
; Occupancy: 7
; WaveLimiterHint : 0
; COMPUTE_PGM_RSRC2:SCRATCH_EN: 0
; COMPUTE_PGM_RSRC2:USER_SGPR: 2
; COMPUTE_PGM_RSRC2:TRAP_HANDLER: 0
; COMPUTE_PGM_RSRC2:TGID_X_EN: 1
; COMPUTE_PGM_RSRC2:TGID_Y_EN: 0
; COMPUTE_PGM_RSRC2:TGID_Z_EN: 1
; COMPUTE_PGM_RSRC2:TIDIG_COMP_CNT: 0
	.section	.text._ZL38rocblas_trsm_small_left_device_sharedBILi28ELi28ELb0EffPKPKfPKPfEv13rocblas_fill_18rocblas_operation_17rocblas_diagonal_iiT3_T4_lilT5_lili,"axG",@progbits,_ZL38rocblas_trsm_small_left_device_sharedBILi28ELi28ELb0EffPKPKfPKPfEv13rocblas_fill_18rocblas_operation_17rocblas_diagonal_iiT3_T4_lilT5_lili,comdat
	.globl	_ZL38rocblas_trsm_small_left_device_sharedBILi28ELi28ELb0EffPKPKfPKPfEv13rocblas_fill_18rocblas_operation_17rocblas_diagonal_iiT3_T4_lilT5_lili ; -- Begin function _ZL38rocblas_trsm_small_left_device_sharedBILi28ELi28ELb0EffPKPKfPKPfEv13rocblas_fill_18rocblas_operation_17rocblas_diagonal_iiT3_T4_lilT5_lili
	.p2align	8
	.type	_ZL38rocblas_trsm_small_left_device_sharedBILi28ELi28ELb0EffPKPKfPKPfEv13rocblas_fill_18rocblas_operation_17rocblas_diagonal_iiT3_T4_lilT5_lili,@function
_ZL38rocblas_trsm_small_left_device_sharedBILi28ELi28ELb0EffPKPKfPKPfEv13rocblas_fill_18rocblas_operation_17rocblas_diagonal_iiT3_T4_lilT5_lili: ; @_ZL38rocblas_trsm_small_left_device_sharedBILi28ELi28ELb0EffPKPKfPKPfEv13rocblas_fill_18rocblas_operation_17rocblas_diagonal_iiT3_T4_lilT5_lili
; %bb.0:
	s_load_b32 s24, s[0:1], 0x58
	s_lshr_b32 s2, ttmp7, 16
	s_wait_kmcnt 0x0
	s_cmp_ge_u32 s2, s24
	s_cbranch_scc1 .LBB31_57
; %bb.1:
	s_clause 0x6
	s_load_b32 s18, s[0:1], 0x28
	s_load_b32 s20, s[0:1], 0x48
	s_load_b128 s[12:15], s[0:1], 0x4
	s_load_b32 s3, s[0:1], 0x60
	s_load_b128 s[4:7], s[0:1], 0x18
	s_load_b128 s[8:11], s[0:1], 0x38
	s_load_b32 s1, s[0:1], 0x14
	s_mul_i32 s0, ttmp9, 0xffffffe4
	v_mov_b32_e32 v1, 0
	v_lshlrev_b32_e32 v69, 2, v0
	s_mul_i32 s22, ttmp9, 28
	v_mul_u32_u24_e32 v31, 0x70, v0
	s_mov_b32 s17, 0
	v_mov_b32_e32 v2, v1
	v_dual_mov_b32 v3, v1 :: v_dual_add_nc_u32 v66, 0xc40, v69
	v_dual_mov_b32 v4, v1 :: v_dual_mov_b32 v5, v1
	v_dual_mov_b32 v6, v1 :: v_dual_mov_b32 v7, v1
	v_mov_b32_e32 v8, v1
	s_wait_kmcnt 0x0
	v_mad_co_i64_i32 v[29:30], null, s20, v0, 0
	s_min_i32 s25, s14, 28
	s_add_co_i32 s3, s3, -1
	s_ashr_i32 s19, s18, 31
	s_ashr_i32 s21, s20, 31
	s_add_co_i32 s15, s15, s0
	s_add_co_i32 s26, s25, -1
	s_cmp_ge_u32 ttmp9, s3
	v_dual_mov_b32 v9, v1 :: v_dual_mov_b32 v10, v1
	s_cselect_b32 s3, s15, 28
	s_ashr_i32 s23, s22, 31
	s_cmp_lg_u32 s13, 0x84
	v_cmp_gt_i32_e32 vcc_lo, s3, v0
	v_dual_mov_b32 v11, v1 :: v_dual_mov_b32 v12, v1
	v_dual_mov_b32 v13, v1 :: v_dual_mov_b32 v14, v1
	;; [unrolled: 1-line block ×9, first 2 shown]
	v_cmp_gt_i32_e64 s0, s25, v0
	s_cselect_b32 s27, -1, 0
	s_cmp_gt_i32 s14, 0
	v_lshlrev_b32_e32 v0, 2, v0
	v_add_nc_u32_e32 v70, v69, v31
	v_lshlrev_b64_e32 v[67:68], 2, v[29:30]
	v_mov_b32_e32 v33, v32
	v_mov_b32_e32 v32, v31
	;; [unrolled: 1-line block ×32, first 2 shown]
	s_wait_alu 0xfffe
	s_mul_u64 s[20:21], s[20:21], s[22:23]
	s_cselect_b32 s3, -1, 0
	s_cmp_lg_u32 s12, 0x6f
	s_mul_i32 s30, s25, 0x70
	s_cselect_b32 s28, -1, 0
	s_wait_alu 0xfffe
	s_and_b32 s29, vcc_lo, s3
	s_lshl_b64 s[12:13], s[18:19], 2
	s_addk_co_i32 s30, 0xff90
	s_lshl_b64 s[6:7], s[6:7], 2
	s_lshl_b64 s[10:11], s[10:11], 2
	;; [unrolled: 1-line block ×3, first 2 shown]
	s_branch .LBB31_3
.LBB31_2:                               ;   in Loop: Header=BB31_3 Depth=1
	s_wait_alu 0xfffe
	s_or_b32 exec_lo, exec_lo, s3
	v_dual_mov_b32 v2, v34 :: v_dual_mov_b32 v3, v35
	v_dual_mov_b32 v4, v36 :: v_dual_mov_b32 v5, v37
	;; [unrolled: 1-line block ×16, first 2 shown]
	s_add_co_i32 s2, s2, 0x10000
	s_wait_alu 0xfffe
	s_cmp_lt_u32 s2, s24
	s_cbranch_scc0 .LBB31_57
.LBB31_3:                               ; =>This Loop Header: Depth=1
                                        ;     Child Loop BB31_5 Depth 2
                                        ;     Child Loop BB31_11 Depth 2
	;; [unrolled: 1-line block ×3, first 2 shown]
                                        ;       Child Loop BB31_17 Depth 3
                                        ;         Child Loop BB31_18 Depth 4
                                        ;         Child Loop BB31_21 Depth 4
                                        ;           Child Loop BB31_22 Depth 5
                                        ;         Child Loop BB31_27 Depth 4
                                        ;           Child Loop BB31_29 Depth 5
                                        ;     Child Loop BB31_35 Depth 2
                                        ;       Child Loop BB31_38 Depth 3
                                        ;         Child Loop BB31_39 Depth 4
                                        ;         Child Loop BB31_41 Depth 4
                                        ;           Child Loop BB31_42 Depth 5
                                        ;         Child Loop BB31_47 Depth 4
                                        ;           Child Loop BB31_49 Depth 5
                                        ;     Child Loop BB31_56 Depth 2
	s_mov_b32 s3, s17
	s_wait_alu 0xfffe
	s_lshl_b64 s[18:19], s[2:3], 3
	s_delay_alu instid0(SALU_CYCLE_1)
	s_add_nc_u64 s[20:21], s[8:9], s[18:19]
	global_load_b64 v[34:35], v1, s[20:21]
	s_and_saveexec_b32 s3, s0
	s_cbranch_execz .LBB31_9
; %bb.4:                                ;   in Loop: Header=BB31_3 Depth=1
	s_add_nc_u64 s[18:19], s[4:5], s[18:19]
	v_mov_b32_e32 v38, v69
	global_load_b64 v[36:37], v1, s[18:19]
	s_mov_b32 s16, s25
	s_wait_loadcnt 0x0
	v_add_co_u32 v36, vcc_lo, v36, s6
	s_wait_alu 0xfffd
	v_add_co_ci_u32_e64 v37, null, s7, v37, vcc_lo
	s_delay_alu instid0(VALU_DEP_2) | instskip(SKIP_1) | instid1(VALU_DEP_2)
	v_add_co_u32 v36, vcc_lo, v36, v0
	s_wait_alu 0xfffd
	v_add_co_ci_u32_e64 v37, null, 0, v37, vcc_lo
.LBB31_5:                               ;   Parent Loop BB31_3 Depth=1
                                        ; =>  This Inner Loop Header: Depth=2
	flat_load_b32 v39, v[36:37]
	v_add_co_u32 v36, vcc_lo, v36, s12
	s_wait_alu 0xfffd
	v_add_co_ci_u32_e64 v37, null, s13, v37, vcc_lo
	s_add_co_i32 s16, s16, -1
	s_delay_alu instid0(SALU_CYCLE_1)
	s_cmp_eq_u32 s16, 0
	s_wait_loadcnt_dscnt 0x0
	ds_store_b32 v38, v39
	v_add_nc_u32_e32 v38, 0x70, v38
	s_cbranch_scc0 .LBB31_5
; %bb.6:                                ;   in Loop: Header=BB31_3 Depth=1
	v_mov_b32_e32 v36, 1.0
	s_and_b32 vcc_lo, exec_lo, s27
	s_wait_alu 0xfffe
	s_cbranch_vccz .LBB31_8
; %bb.7:                                ;   in Loop: Header=BB31_3 Depth=1
	ds_load_b32 v36, v70
	s_wait_dscnt 0x0
	v_div_scale_f32 v37, null, v36, v36, 1.0
	s_delay_alu instid0(VALU_DEP_1) | instskip(NEXT) | instid1(TRANS32_DEP_1)
	v_rcp_f32_e32 v38, v37
	v_fma_f32 v39, -v37, v38, 1.0
	s_delay_alu instid0(VALU_DEP_1) | instskip(SKIP_1) | instid1(VALU_DEP_1)
	v_fmac_f32_e32 v38, v39, v38
	v_div_scale_f32 v39, vcc_lo, 1.0, v36, 1.0
	v_mul_f32_e32 v40, v39, v38
	s_delay_alu instid0(VALU_DEP_1) | instskip(NEXT) | instid1(VALU_DEP_1)
	v_fma_f32 v41, -v37, v40, v39
	v_fmac_f32_e32 v40, v41, v38
	s_delay_alu instid0(VALU_DEP_1) | instskip(SKIP_1) | instid1(VALU_DEP_1)
	v_fma_f32 v37, -v37, v40, v39
	s_wait_alu 0xfffd
	v_div_fmas_f32 v37, v37, v38, v40
	s_delay_alu instid0(VALU_DEP_1)
	v_div_fixup_f32 v36, v37, v36, 1.0
.LBB31_8:                               ;   in Loop: Header=BB31_3 Depth=1
	ds_store_b32 v70, v36
.LBB31_9:                               ;   in Loop: Header=BB31_3 Depth=1
	s_wait_alu 0xfffe
	s_or_b32 exec_lo, exec_lo, s3
	s_wait_loadcnt 0x0
	v_add_co_u32 v34, vcc_lo, v34, s10
	s_wait_alu 0xfffd
	v_add_co_ci_u32_e64 v35, null, s11, v35, vcc_lo
	s_delay_alu instid0(VALU_DEP_2) | instskip(SKIP_1) | instid1(VALU_DEP_2)
	v_add_co_u32 v71, vcc_lo, v34, s14
	s_wait_alu 0xfffd
	v_add_co_ci_u32_e64 v72, null, s15, v35, vcc_lo
	s_and_saveexec_b32 s3, s29
	s_cbranch_execz .LBB31_12
; %bb.10:                               ;   in Loop: Header=BB31_3 Depth=1
	v_add_co_u32 v34, vcc_lo, v71, v67
	s_wait_alu 0xfffd
	v_add_co_ci_u32_e64 v35, null, v72, v68, vcc_lo
	v_mov_b32_e32 v36, v66
	s_mov_b32 s16, s25
.LBB31_11:                              ;   Parent Loop BB31_3 Depth=1
                                        ; =>  This Inner Loop Header: Depth=2
	flat_load_b32 v37, v[34:35]
	v_add_co_u32 v34, vcc_lo, v34, 4
	s_wait_alu 0xfffd
	v_add_co_ci_u32_e64 v35, null, 0, v35, vcc_lo
	s_add_co_i32 s16, s16, -1
	s_delay_alu instid0(SALU_CYCLE_1)
	s_cmp_lg_u32 s16, 0
	s_wait_loadcnt_dscnt 0x0
	v_mul_f32_e32 v37, s1, v37
	ds_store_b32 v36, v37
	v_add_nc_u32_e32 v36, 0x70, v36
	s_cbranch_scc1 .LBB31_11
.LBB31_12:                              ;   in Loop: Header=BB31_3 Depth=1
	s_wait_alu 0xfffe
	s_or_b32 exec_lo, exec_lo, s3
	s_delay_alu instid0(SALU_CYCLE_1)
	s_and_not1_b32 vcc_lo, exec_lo, s28
	s_mov_b32 s3, -1
	s_wait_dscnt 0x0
	; wave barrier
	global_inv scope:SCOPE_SE
                                        ; implicit-def: $vgpr34_vgpr35_vgpr36_vgpr37_vgpr38_vgpr39_vgpr40_vgpr41_vgpr42_vgpr43_vgpr44_vgpr45_vgpr46_vgpr47_vgpr48_vgpr49_vgpr50_vgpr51_vgpr52_vgpr53_vgpr54_vgpr55_vgpr56_vgpr57_vgpr58_vgpr59_vgpr60_vgpr61_vgpr62_vgpr63_vgpr64_vgpr65
	s_wait_alu 0xfffe
	s_cbranch_vccnz .LBB31_33
; %bb.13:                               ;   in Loop: Header=BB31_3 Depth=1
	v_dual_mov_b32 v65, v33 :: v_dual_mov_b32 v64, v32
	v_dual_mov_b32 v63, v31 :: v_dual_mov_b32 v62, v30
	v_dual_mov_b32 v61, v29 :: v_dual_mov_b32 v60, v28
	v_dual_mov_b32 v59, v27 :: v_dual_mov_b32 v58, v26
	v_dual_mov_b32 v57, v25 :: v_dual_mov_b32 v56, v24
	v_dual_mov_b32 v55, v23 :: v_dual_mov_b32 v54, v22
	v_dual_mov_b32 v53, v21 :: v_dual_mov_b32 v52, v20
	v_dual_mov_b32 v51, v19 :: v_dual_mov_b32 v50, v18
	v_dual_mov_b32 v49, v17 :: v_dual_mov_b32 v48, v16
	v_dual_mov_b32 v47, v15 :: v_dual_mov_b32 v46, v14
	v_dual_mov_b32 v45, v13 :: v_dual_mov_b32 v44, v12
	v_dual_mov_b32 v43, v11 :: v_dual_mov_b32 v42, v10
	v_dual_mov_b32 v41, v9 :: v_dual_mov_b32 v40, v8
	v_dual_mov_b32 v39, v7 :: v_dual_mov_b32 v38, v6
	v_dual_mov_b32 v37, v5 :: v_dual_mov_b32 v36, v4
	v_dual_mov_b32 v35, v3 :: v_dual_mov_b32 v34, v2
	s_mov_b32 s16, 0
	s_delay_alu instid0(SALU_CYCLE_1)
	s_mov_b32 s3, s16
.LBB31_14:                              ;   Parent Loop BB31_3 Depth=1
                                        ; =>  This Loop Header: Depth=2
                                        ;       Child Loop BB31_17 Depth 3
                                        ;         Child Loop BB31_18 Depth 4
                                        ;         Child Loop BB31_21 Depth 4
                                        ;           Child Loop BB31_22 Depth 5
                                        ;         Child Loop BB31_27 Depth 4
                                        ;           Child Loop BB31_29 Depth 5
	s_getpc_b64 s[18:19]
	s_sext_i32_i16 s19, s19
	s_add_co_u32 s18, s18, __const._ZL38rocblas_trsm_small_left_device_sharedBILi28ELi28ELb0EffPKPKfPKPfEv13rocblas_fill_18rocblas_operation_17rocblas_diagonal_iiT3_T4_lilT5_lili.step_sizes@rel32@lo+8
	s_add_co_ci_u32 s19, s19, __const._ZL38rocblas_trsm_small_left_device_sharedBILi28ELi28ELb0EffPKPKfPKPfEv13rocblas_fill_18rocblas_operation_17rocblas_diagonal_iiT3_T4_lilT5_lili.step_sizes@rel32@hi+16
	s_lshl_b64 s[20:21], s[16:17], 2
	s_wait_alu 0xfffe
	s_add_nc_u64 s[18:19], s[18:19], s[20:21]
	s_load_b32 s31, s[18:19], 0x0
	s_wait_kmcnt 0x0
	s_add_co_i32 s33, s31, -1
	s_wait_alu 0xfffe
	s_add_co_i32 s18, s33, s3
	s_delay_alu instid0(SALU_CYCLE_1)
	s_cmp_ge_i32 s18, s25
	s_cbranch_scc1 .LBB31_30
; %bb.15:                               ;   in Loop: Header=BB31_14 Depth=2
	s_mul_i32 s34, s3, 0x70
	s_max_i32 s35, s31, 1
	s_wait_alu 0xfffe
	v_add_nc_u32_e32 v73, s34, v66
	s_mul_i32 s36, s31, 0x70
	s_mul_i32 s37, s3, 0x74
	;; [unrolled: 1-line block ×3, first 2 shown]
	s_branch .LBB31_17
.LBB31_16:                              ;   in Loop: Header=BB31_17 Depth=3
	s_add_co_i32 s3, s3, s31
	v_add_nc_u32_e32 v73, s36, v73
	s_wait_alu 0xfffe
	s_add_co_i32 s18, s33, s3
	s_add_co_i32 s34, s34, s36
	;; [unrolled: 1-line block ×3, first 2 shown]
	s_cmp_ge_i32 s18, s25
	s_cbranch_scc1 .LBB31_30
.LBB31_17:                              ;   Parent Loop BB31_3 Depth=1
                                        ;     Parent Loop BB31_14 Depth=2
                                        ; =>    This Loop Header: Depth=3
                                        ;         Child Loop BB31_18 Depth 4
                                        ;         Child Loop BB31_21 Depth 4
                                        ;           Child Loop BB31_22 Depth 5
                                        ;         Child Loop BB31_27 Depth 4
                                        ;           Child Loop BB31_29 Depth 5
	v_mov_b32_e32 v74, v73
	s_mov_b64 s[18:19], 0
.LBB31_18:                              ;   Parent Loop BB31_3 Depth=1
                                        ;     Parent Loop BB31_14 Depth=2
                                        ;       Parent Loop BB31_17 Depth=3
                                        ; =>      This Inner Loop Header: Depth=4
	ds_load_b32 v75, v74
	v_add_nc_u32_e32 v74, 0x70, v74
	s_mov_b32 m0, s18
	s_add_nc_u64 s[18:19], s[18:19], 1
	s_delay_alu instid0(SALU_CYCLE_1)
	s_cmp_eq_u32 s35, s18
	s_wait_dscnt 0x0
	v_movreld_b32_e32 v34, v75
	s_cbranch_scc0 .LBB31_18
; %bb.19:                               ;   in Loop: Header=BB31_17 Depth=3
	s_cmp_lt_i32 s3, 1
	s_cbranch_scc1 .LBB31_24
; %bb.20:                               ;   in Loop: Header=BB31_17 Depth=3
	s_mov_b32 s20, 0
	s_wait_alu 0xfffe
	s_mov_b32 s21, s34
.LBB31_21:                              ;   Parent Loop BB31_3 Depth=1
                                        ;     Parent Loop BB31_14 Depth=2
                                        ;       Parent Loop BB31_17 Depth=3
                                        ; =>      This Loop Header: Depth=4
                                        ;           Child Loop BB31_22 Depth 5
	s_wait_alu 0xfffe
	v_mad_co_u64_u32 v[74:75], null, 0x70, s20, v[66:67]
	s_mov_b64 s[18:19], 0
	s_mov_b32 s22, s21
	ds_load_b32 v74, v74
.LBB31_22:                              ;   Parent Loop BB31_3 Depth=1
                                        ;     Parent Loop BB31_14 Depth=2
                                        ;       Parent Loop BB31_17 Depth=3
                                        ;         Parent Loop BB31_21 Depth=4
                                        ; =>        This Inner Loop Header: Depth=5
	s_wait_alu 0xfffe
	v_mov_b32_e32 v75, s22
	s_mov_b32 m0, s18
	s_add_nc_u64 s[18:19], s[18:19], 1
	v_movrels_b32_e32 v76, v34
	s_addk_co_i32 s22, 0x70
	ds_load_b32 v75, v75
	s_cmp_eq_u32 s35, s18
	s_wait_dscnt 0x0
	v_fma_f32 v75, -v74, v75, v76
	s_delay_alu instid0(VALU_DEP_1)
	v_movreld_b32_e32 v34, v75
	s_cbranch_scc0 .LBB31_22
; %bb.23:                               ;   in Loop: Header=BB31_21 Depth=4
	s_add_co_i32 s20, s20, 1
	s_add_co_i32 s21, s21, 4
	s_wait_alu 0xfffe
	s_cmp_eq_u32 s20, s3
	s_cbranch_scc0 .LBB31_21
.LBB31_24:                              ;   in Loop: Header=BB31_17 Depth=3
	s_mul_i32 s39, s3, 0x70
	s_mov_b64 s[18:19], 0
	s_wait_alu 0xfffe
	s_mov_b32 s40, s37
	s_branch .LBB31_27
.LBB31_25:                              ;   in Loop: Header=BB31_27 Depth=4
	s_mov_b32 s42, s3
	s_mov_b64 s[20:21], 0
	s_mov_b32 s41, s39
.LBB31_26:                              ;   in Loop: Header=BB31_27 Depth=4
	s_wait_alu 0xfffe
	s_mov_b32 m0, s20
	s_mul_i32 s20, s42, 0x74
	v_movrels_b32_e32 v75, v34
	s_wait_alu 0xfffe
	v_mov_b32_e32 v74, s20
	s_add_nc_u64 s[18:19], s[18:19], 1
	s_addk_co_i32 s40, 0x70
	s_cmp_eq_u32 s18, s35
	ds_load_b32 v74, v74
	s_wait_dscnt 0x0
	v_mul_f32_e32 v74, v75, v74
	v_add_nc_u32_e32 v75, s41, v66
	s_delay_alu instid0(VALU_DEP_2)
	v_movreld_b32_e32 v34, v74
	ds_store_b32 v75, v74
	s_cbranch_scc1 .LBB31_16
.LBB31_27:                              ;   Parent Loop BB31_3 Depth=1
                                        ;     Parent Loop BB31_14 Depth=2
                                        ;       Parent Loop BB31_17 Depth=3
                                        ; =>      This Loop Header: Depth=4
                                        ;           Child Loop BB31_29 Depth 5
	s_cmp_eq_u32 s18, 0
	s_cbranch_scc1 .LBB31_25
; %bb.28:                               ;   in Loop: Header=BB31_27 Depth=4
	s_add_co_i32 s42, s18, s3
	s_mov_b64 s[20:21], s[18:19]
	s_mov_b64 s[22:23], 0
	s_mul_i32 s41, s42, 0x70
	s_wait_alu 0xfffe
	s_mov_b32 s21, s40
.LBB31_29:                              ;   Parent Loop BB31_3 Depth=1
                                        ;     Parent Loop BB31_14 Depth=2
                                        ;       Parent Loop BB31_17 Depth=3
                                        ;         Parent Loop BB31_27 Depth=4
                                        ; =>        This Inner Loop Header: Depth=5
	s_wait_alu 0xfffe
	v_mov_b32_e32 v74, s21
	s_mov_b32 m0, s22
	s_add_nc_u64 s[22:23], s[22:23], 1
	v_movrels_b32_e32 v75, v34
	s_mov_b32 m0, s18
	ds_load_b32 v74, v74
	v_movrels_b32_e32 v76, v34
	s_add_co_i32 s21, s21, 4
	s_wait_alu 0xfffe
	s_cmp_eq_u32 s18, s22
	s_wait_dscnt 0x0
	v_fma_f32 v74, -v75, v74, v76
	s_delay_alu instid0(VALU_DEP_1)
	v_movreld_b32_e32 v34, v74
	s_cbranch_scc0 .LBB31_29
	s_branch .LBB31_26
.LBB31_30:                              ;   in Loop: Header=BB31_14 Depth=2
	s_cmp_lt_i32 s3, s25
	s_cselect_b32 s19, -1, 0
	s_add_co_i32 s18, s16, 1
	s_cmp_lt_u32 s16, 2
	s_cselect_b32 s16, -1, 0
	s_delay_alu instid0(SALU_CYCLE_1) | instskip(NEXT) | instid1(SALU_CYCLE_1)
	s_and_b32 s16, s19, s16
	s_and_b32 vcc_lo, exec_lo, s16
	s_wait_alu 0xfffe
	s_cbranch_vccz .LBB31_32
; %bb.31:                               ;   in Loop: Header=BB31_14 Depth=2
	s_mov_b32 s16, s18
	s_branch .LBB31_14
.LBB31_32:                              ;   in Loop: Header=BB31_3 Depth=1
	s_mov_b32 s3, 0
.LBB31_33:                              ;   in Loop: Header=BB31_3 Depth=1
	s_wait_alu 0xfffe
	s_and_b32 vcc_lo, exec_lo, s3
	s_wait_alu 0xfffe
	s_cbranch_vccz .LBB31_54
; %bb.34:                               ;   in Loop: Header=BB31_3 Depth=1
	s_mov_b32 s16, 0
	s_mov_b32 s3, s26
.LBB31_35:                              ;   Parent Loop BB31_3 Depth=1
                                        ; =>  This Loop Header: Depth=2
                                        ;       Child Loop BB31_38 Depth 3
                                        ;         Child Loop BB31_39 Depth 4
                                        ;         Child Loop BB31_41 Depth 4
                                        ;           Child Loop BB31_42 Depth 5
                                        ;         Child Loop BB31_47 Depth 4
                                        ;           Child Loop BB31_49 Depth 5
	s_getpc_b64 s[18:19]
	s_sext_i32_i16 s19, s19
	s_add_co_u32 s18, s18, __const._ZL38rocblas_trsm_small_left_device_sharedBILi28ELi28ELb0EffPKPKfPKPfEv13rocblas_fill_18rocblas_operation_17rocblas_diagonal_iiT3_T4_lilT5_lili.step_sizes@rel32@lo+8
	s_add_co_ci_u32 s19, s19, __const._ZL38rocblas_trsm_small_left_device_sharedBILi28ELi28ELb0EffPKPKfPKPfEv13rocblas_fill_18rocblas_operation_17rocblas_diagonal_iiT3_T4_lilT5_lili.step_sizes@rel32@hi+16
	s_lshl_b64 s[20:21], s[16:17], 2
	s_wait_alu 0xfffe
	s_add_nc_u64 s[18:19], s[18:19], s[20:21]
	s_load_b32 s22, s[18:19], 0x0
	s_wait_kmcnt 0x0
	s_add_co_i32 s23, s22, -1
	s_wait_alu 0xfffe
	s_cmp_lt_i32 s3, s23
	s_cbranch_scc1 .LBB31_51
; %bb.36:                               ;   in Loop: Header=BB31_35 Depth=2
	v_mad_co_u64_u32 v[34:35], null, 0x70, s3, v[66:67]
	s_lshl_b32 s18, s3, 2
	s_lshl_b32 s19, s22, 2
	s_max_i32 s31, s22, 1
	s_mul_i32 s33, s22, 0xffffff90
	s_add_co_i32 s34, s30, s18
	s_sub_co_i32 s35, 0, s19
	s_mul_i32 s36, s3, 0x74
	s_mul_i32 s37, s22, 0xffffff8c
	s_branch .LBB31_38
.LBB31_37:                              ;   in Loop: Header=BB31_38 Depth=3
	v_add_nc_u32_e32 v34, s33, v34
	s_sub_co_i32 s3, s3, s22
	s_add_co_i32 s34, s34, s35
	s_add_co_i32 s36, s36, s37
	s_wait_alu 0xfffe
	s_cmp_lt_i32 s3, s23
	s_cbranch_scc1 .LBB31_51
.LBB31_38:                              ;   Parent Loop BB31_3 Depth=1
                                        ;     Parent Loop BB31_35 Depth=2
                                        ; =>    This Loop Header: Depth=3
                                        ;         Child Loop BB31_39 Depth 4
                                        ;         Child Loop BB31_41 Depth 4
                                        ;           Child Loop BB31_42 Depth 5
                                        ;         Child Loop BB31_47 Depth 4
                                        ;           Child Loop BB31_49 Depth 5
	v_mov_b32_e32 v35, v34
	s_mov_b64 s[18:19], 0
.LBB31_39:                              ;   Parent Loop BB31_3 Depth=1
                                        ;     Parent Loop BB31_35 Depth=2
                                        ;       Parent Loop BB31_38 Depth=3
                                        ; =>      This Inner Loop Header: Depth=4
	ds_load_b32 v36, v35
	v_add_nc_u32_e32 v35, 0xffffff90, v35
	s_mov_b32 m0, s18
	s_add_nc_u64 s[18:19], s[18:19], 1
	s_delay_alu instid0(SALU_CYCLE_1)
	s_cmp_eq_u32 s31, s18
	s_wait_dscnt 0x0
	v_movreld_b32_e32 v2, v36
	s_cbranch_scc0 .LBB31_39
; %bb.40:                               ;   in Loop: Header=BB31_38 Depth=3
	s_cmp_le_i32 s26, s3
	s_wait_alu 0xfffe
	s_mov_b32 s20, s34
	s_mov_b32 s21, s26
	s_cbranch_scc1 .LBB31_44
.LBB31_41:                              ;   Parent Loop BB31_3 Depth=1
                                        ;     Parent Loop BB31_35 Depth=2
                                        ;       Parent Loop BB31_38 Depth=3
                                        ; =>      This Loop Header: Depth=4
                                        ;           Child Loop BB31_42 Depth 5
	s_wait_alu 0xfffe
	v_mad_co_u64_u32 v[35:36], null, 0x70, s21, v[66:67]
	s_mov_b64 s[18:19], 0
	s_mov_b32 s38, s20
	ds_load_b32 v35, v35
.LBB31_42:                              ;   Parent Loop BB31_3 Depth=1
                                        ;     Parent Loop BB31_35 Depth=2
                                        ;       Parent Loop BB31_38 Depth=3
                                        ;         Parent Loop BB31_41 Depth=4
                                        ; =>        This Inner Loop Header: Depth=5
	s_wait_alu 0xfffe
	v_mov_b32_e32 v36, s38
	s_mov_b32 m0, s18
	s_add_nc_u64 s[18:19], s[18:19], 1
	v_movrels_b32_e32 v37, v2
	s_add_co_i32 s38, s38, -4
	ds_load_b32 v36, v36
	s_cmp_eq_u32 s31, s18
	s_wait_dscnt 0x0
	v_fma_f32 v36, -v35, v36, v37
	s_delay_alu instid0(VALU_DEP_1)
	v_movreld_b32_e32 v2, v36
	s_cbranch_scc0 .LBB31_42
; %bb.43:                               ;   in Loop: Header=BB31_41 Depth=4
	s_add_co_i32 s21, s21, -1
	s_addk_co_i32 s20, 0xff90
	s_wait_alu 0xfffe
	s_cmp_le_i32 s21, s3
	s_cbranch_scc0 .LBB31_41
.LBB31_44:                              ;   in Loop: Header=BB31_38 Depth=3
	s_mov_b64 s[18:19], 0
	s_mov_b32 s38, s36
	s_branch .LBB31_47
.LBB31_45:                              ;   in Loop: Header=BB31_47 Depth=4
	s_mov_b32 s39, s3
	s_mov_b64 s[20:21], 0
.LBB31_46:                              ;   in Loop: Header=BB31_47 Depth=4
	s_wait_alu 0xfffe
	s_mov_b32 m0, s20
	s_mul_i32 s20, s39, 0x74
	v_movrels_b32_e32 v36, v2
	s_wait_alu 0xfffe
	v_mov_b32_e32 v35, s20
	s_add_nc_u64 s[18:19], s[18:19], 1
	s_add_co_i32 s38, s38, -4
	s_cmp_eq_u32 s18, s31
	ds_load_b32 v35, v35
	s_wait_dscnt 0x0
	v_mul_f32_e32 v37, v36, v35
	v_mad_co_u64_u32 v[35:36], null, 0x70, s39, v[66:67]
	s_delay_alu instid0(VALU_DEP_2)
	v_movreld_b32_e32 v2, v37
	ds_store_b32 v35, v37
	s_cbranch_scc1 .LBB31_37
.LBB31_47:                              ;   Parent Loop BB31_3 Depth=1
                                        ;     Parent Loop BB31_35 Depth=2
                                        ;       Parent Loop BB31_38 Depth=3
                                        ; =>      This Loop Header: Depth=4
                                        ;           Child Loop BB31_49 Depth 5
	s_cmp_eq_u32 s18, 0
	s_cbranch_scc1 .LBB31_45
; %bb.48:                               ;   in Loop: Header=BB31_47 Depth=4
	s_sub_co_i32 s39, s3, s18
	s_mov_b64 s[20:21], 0
	s_wait_alu 0xfffe
	s_mov_b32 s40, s38
.LBB31_49:                              ;   Parent Loop BB31_3 Depth=1
                                        ;     Parent Loop BB31_35 Depth=2
                                        ;       Parent Loop BB31_38 Depth=3
                                        ;         Parent Loop BB31_47 Depth=4
                                        ; =>        This Inner Loop Header: Depth=5
	s_wait_alu 0xfffe
	v_mov_b32_e32 v35, s40
	s_mov_b32 m0, s20
	s_add_nc_u64 s[20:21], s[20:21], 1
	v_movrels_b32_e32 v36, v2
	s_mov_b32 m0, s18
	ds_load_b32 v35, v35
	v_movrels_b32_e32 v37, v2
	s_addk_co_i32 s40, 0xff90
	s_wait_alu 0xfffe
	s_cmp_eq_u32 s18, s20
	s_wait_dscnt 0x0
	v_fma_f32 v35, -v36, v35, v37
	s_delay_alu instid0(VALU_DEP_1)
	v_movreld_b32_e32 v2, v35
	s_cbranch_scc0 .LBB31_49
; %bb.50:                               ;   in Loop: Header=BB31_47 Depth=4
	s_mov_b64 s[20:21], s[18:19]
	s_branch .LBB31_46
.LBB31_51:                              ;   in Loop: Header=BB31_35 Depth=2
	s_cmp_gt_i32 s3, -1
	s_cselect_b32 s19, -1, 0
	s_add_co_i32 s18, s16, 1
	s_cmp_lt_u32 s16, 2
	s_cselect_b32 s16, -1, 0
	s_delay_alu instid0(SALU_CYCLE_1) | instskip(NEXT) | instid1(SALU_CYCLE_1)
	s_and_b32 s16, s19, s16
	s_and_not1_b32 vcc_lo, exec_lo, s16
	s_wait_alu 0xfffe
	s_cbranch_vccnz .LBB31_53
; %bb.52:                               ;   in Loop: Header=BB31_35 Depth=2
	s_mov_b32 s16, s18
	s_branch .LBB31_35
.LBB31_53:                              ;   in Loop: Header=BB31_3 Depth=1
	v_dual_mov_b32 v65, v33 :: v_dual_mov_b32 v64, v32
	v_dual_mov_b32 v63, v31 :: v_dual_mov_b32 v62, v30
	;; [unrolled: 1-line block ×16, first 2 shown]
.LBB31_54:                              ;   in Loop: Header=BB31_3 Depth=1
	; wave barrier
	s_wait_loadcnt_dscnt 0x0
	global_inv scope:SCOPE_SE
	s_and_saveexec_b32 s3, s29
	s_cbranch_execz .LBB31_2
; %bb.55:                               ;   in Loop: Header=BB31_3 Depth=1
	v_add_co_u32 v2, vcc_lo, v71, v67
	s_wait_alu 0xfffd
	v_add_co_ci_u32_e64 v3, null, v72, v68, vcc_lo
	v_mov_b32_e32 v4, v66
	s_mov_b32 s16, s25
.LBB31_56:                              ;   Parent Loop BB31_3 Depth=1
                                        ; =>  This Inner Loop Header: Depth=2
	ds_load_b32 v5, v4
	v_add_nc_u32_e32 v4, 0x70, v4
	s_add_co_i32 s16, s16, -1
	s_delay_alu instid0(SALU_CYCLE_1)
	s_cmp_lg_u32 s16, 0
	s_wait_dscnt 0x0
	flat_store_b32 v[2:3], v5
	v_add_co_u32 v2, vcc_lo, v2, 4
	s_wait_alu 0xfffd
	v_add_co_ci_u32_e64 v3, null, 0, v3, vcc_lo
	s_cbranch_scc1 .LBB31_56
	s_branch .LBB31_2
.LBB31_57:
	s_endpgm
	.section	.rodata,"a",@progbits
	.p2align	6, 0x0
	.amdhsa_kernel _ZL38rocblas_trsm_small_left_device_sharedBILi28ELi28ELb0EffPKPKfPKPfEv13rocblas_fill_18rocblas_operation_17rocblas_diagonal_iiT3_T4_lilT5_lili
		.amdhsa_group_segment_fixed_size 6272
		.amdhsa_private_segment_fixed_size 0
		.amdhsa_kernarg_size 352
		.amdhsa_user_sgpr_count 2
		.amdhsa_user_sgpr_dispatch_ptr 0
		.amdhsa_user_sgpr_queue_ptr 0
		.amdhsa_user_sgpr_kernarg_segment_ptr 1
		.amdhsa_user_sgpr_dispatch_id 0
		.amdhsa_user_sgpr_private_segment_size 0
		.amdhsa_wavefront_size32 1
		.amdhsa_uses_dynamic_stack 0
		.amdhsa_enable_private_segment 0
		.amdhsa_system_sgpr_workgroup_id_x 1
		.amdhsa_system_sgpr_workgroup_id_y 0
		.amdhsa_system_sgpr_workgroup_id_z 1
		.amdhsa_system_sgpr_workgroup_info 0
		.amdhsa_system_vgpr_workitem_id 0
		.amdhsa_next_free_vgpr 241
		.amdhsa_next_free_sgpr 43
		.amdhsa_reserve_vcc 1
		.amdhsa_float_round_mode_32 0
		.amdhsa_float_round_mode_16_64 0
		.amdhsa_float_denorm_mode_32 3
		.amdhsa_float_denorm_mode_16_64 3
		.amdhsa_fp16_overflow 0
		.amdhsa_workgroup_processor_mode 1
		.amdhsa_memory_ordered 1
		.amdhsa_forward_progress 1
		.amdhsa_inst_pref_size 23
		.amdhsa_round_robin_scheduling 0
		.amdhsa_exception_fp_ieee_invalid_op 0
		.amdhsa_exception_fp_denorm_src 0
		.amdhsa_exception_fp_ieee_div_zero 0
		.amdhsa_exception_fp_ieee_overflow 0
		.amdhsa_exception_fp_ieee_underflow 0
		.amdhsa_exception_fp_ieee_inexact 0
		.amdhsa_exception_int_div_zero 0
	.end_amdhsa_kernel
	.section	.text._ZL38rocblas_trsm_small_left_device_sharedBILi28ELi28ELb0EffPKPKfPKPfEv13rocblas_fill_18rocblas_operation_17rocblas_diagonal_iiT3_T4_lilT5_lili,"axG",@progbits,_ZL38rocblas_trsm_small_left_device_sharedBILi28ELi28ELb0EffPKPKfPKPfEv13rocblas_fill_18rocblas_operation_17rocblas_diagonal_iiT3_T4_lilT5_lili,comdat
.Lfunc_end31:
	.size	_ZL38rocblas_trsm_small_left_device_sharedBILi28ELi28ELb0EffPKPKfPKPfEv13rocblas_fill_18rocblas_operation_17rocblas_diagonal_iiT3_T4_lilT5_lili, .Lfunc_end31-_ZL38rocblas_trsm_small_left_device_sharedBILi28ELi28ELb0EffPKPKfPKPfEv13rocblas_fill_18rocblas_operation_17rocblas_diagonal_iiT3_T4_lilT5_lili
                                        ; -- End function
	.set _ZL38rocblas_trsm_small_left_device_sharedBILi28ELi28ELb0EffPKPKfPKPfEv13rocblas_fill_18rocblas_operation_17rocblas_diagonal_iiT3_T4_lilT5_lili.num_vgpr, 77
	.set _ZL38rocblas_trsm_small_left_device_sharedBILi28ELi28ELb0EffPKPKfPKPfEv13rocblas_fill_18rocblas_operation_17rocblas_diagonal_iiT3_T4_lilT5_lili.num_agpr, 0
	.set _ZL38rocblas_trsm_small_left_device_sharedBILi28ELi28ELb0EffPKPKfPKPfEv13rocblas_fill_18rocblas_operation_17rocblas_diagonal_iiT3_T4_lilT5_lili.numbered_sgpr, 43
	.set _ZL38rocblas_trsm_small_left_device_sharedBILi28ELi28ELb0EffPKPKfPKPfEv13rocblas_fill_18rocblas_operation_17rocblas_diagonal_iiT3_T4_lilT5_lili.num_named_barrier, 0
	.set _ZL38rocblas_trsm_small_left_device_sharedBILi28ELi28ELb0EffPKPKfPKPfEv13rocblas_fill_18rocblas_operation_17rocblas_diagonal_iiT3_T4_lilT5_lili.private_seg_size, 0
	.set _ZL38rocblas_trsm_small_left_device_sharedBILi28ELi28ELb0EffPKPKfPKPfEv13rocblas_fill_18rocblas_operation_17rocblas_diagonal_iiT3_T4_lilT5_lili.uses_vcc, 1
	.set _ZL38rocblas_trsm_small_left_device_sharedBILi28ELi28ELb0EffPKPKfPKPfEv13rocblas_fill_18rocblas_operation_17rocblas_diagonal_iiT3_T4_lilT5_lili.uses_flat_scratch, 0
	.set _ZL38rocblas_trsm_small_left_device_sharedBILi28ELi28ELb0EffPKPKfPKPfEv13rocblas_fill_18rocblas_operation_17rocblas_diagonal_iiT3_T4_lilT5_lili.has_dyn_sized_stack, 0
	.set _ZL38rocblas_trsm_small_left_device_sharedBILi28ELi28ELb0EffPKPKfPKPfEv13rocblas_fill_18rocblas_operation_17rocblas_diagonal_iiT3_T4_lilT5_lili.has_recursion, 0
	.set _ZL38rocblas_trsm_small_left_device_sharedBILi28ELi28ELb0EffPKPKfPKPfEv13rocblas_fill_18rocblas_operation_17rocblas_diagonal_iiT3_T4_lilT5_lili.has_indirect_call, 0
	.section	.AMDGPU.csdata,"",@progbits
; Kernel info:
; codeLenInByte = 2820
; TotalNumSgprs: 45
; NumVgprs: 77
; ScratchSize: 0
; MemoryBound: 0
; FloatMode: 240
; IeeeMode: 1
; LDSByteSize: 6272 bytes/workgroup (compile time only)
; SGPRBlocks: 0
; VGPRBlocks: 30
; NumSGPRsForWavesPerEU: 45
; NumVGPRsForWavesPerEU: 241
; Occupancy: 5
; WaveLimiterHint : 0
; COMPUTE_PGM_RSRC2:SCRATCH_EN: 0
; COMPUTE_PGM_RSRC2:USER_SGPR: 2
; COMPUTE_PGM_RSRC2:TRAP_HANDLER: 0
; COMPUTE_PGM_RSRC2:TGID_X_EN: 1
; COMPUTE_PGM_RSRC2:TGID_Y_EN: 0
; COMPUTE_PGM_RSRC2:TGID_Z_EN: 1
; COMPUTE_PGM_RSRC2:TIDIG_COMP_CNT: 0
	.section	.text._ZL30rocblas_trsm_small_left_deviceILi28ELi28ELb0EffPKPKfPKPfEv13rocblas_fill_18rocblas_operation_17rocblas_diagonal_iiT3_T4_lilT5_lili,"axG",@progbits,_ZL30rocblas_trsm_small_left_deviceILi28ELi28ELb0EffPKPKfPKPfEv13rocblas_fill_18rocblas_operation_17rocblas_diagonal_iiT3_T4_lilT5_lili,comdat
	.globl	_ZL30rocblas_trsm_small_left_deviceILi28ELi28ELb0EffPKPKfPKPfEv13rocblas_fill_18rocblas_operation_17rocblas_diagonal_iiT3_T4_lilT5_lili ; -- Begin function _ZL30rocblas_trsm_small_left_deviceILi28ELi28ELb0EffPKPKfPKPfEv13rocblas_fill_18rocblas_operation_17rocblas_diagonal_iiT3_T4_lilT5_lili
	.p2align	8
	.type	_ZL30rocblas_trsm_small_left_deviceILi28ELi28ELb0EffPKPKfPKPfEv13rocblas_fill_18rocblas_operation_17rocblas_diagonal_iiT3_T4_lilT5_lili,@function
_ZL30rocblas_trsm_small_left_deviceILi28ELi28ELb0EffPKPKfPKPfEv13rocblas_fill_18rocblas_operation_17rocblas_diagonal_iiT3_T4_lilT5_lili: ; @_ZL30rocblas_trsm_small_left_deviceILi28ELi28ELb0EffPKPKfPKPfEv13rocblas_fill_18rocblas_operation_17rocblas_diagonal_iiT3_T4_lilT5_lili
; %bb.0:
	s_load_b32 s33, s[0:1], 0x58
	s_lshr_b32 s2, ttmp7, 16
	s_wait_kmcnt 0x0
	s_cmp_ge_u32 s2, s33
	s_cbranch_scc1 .LBB32_53
; %bb.1:
	s_clause 0x6
	s_load_b32 s16, s[0:1], 0x28
	s_load_b128 s[12:15], s[0:1], 0x4
	s_load_b32 s3, s[0:1], 0x60
	s_load_b32 s18, s[0:1], 0x48
	s_load_b128 s[4:7], s[0:1], 0x18
	s_load_b128 s[8:11], s[0:1], 0x38
	s_load_b32 s34, s[0:1], 0x14
	v_mad_co_u64_u32 v[2:3], null, ttmp9, 28, v[0:1]
	s_mul_i32 s0, ttmp9, 0xffffffe4
	v_dual_mov_b32 v1, 0 :: v_dual_lshlrev_b32 v74, 2, v0
	v_mul_u32_u24_e32 v29, 0x70, v0
	s_mov_b32 s40, 0
	s_delay_alu instid0(VALU_DEP_2)
	v_dual_mov_b32 v4, v1 :: v_dual_mov_b32 v5, v1
	v_dual_mov_b32 v6, v1 :: v_dual_mov_b32 v7, v1
	s_wait_kmcnt 0x0
	s_ashr_i32 s17, s16, 31
	s_min_i32 s35, s14, 28
	s_add_co_i32 s3, s3, -1
	v_mad_co_i64_i32 v[2:3], null, s18, v2, 0
	s_wait_alu 0xfffe
	s_add_co_i32 s0, s15, s0
	s_add_co_i32 s36, s35, -1
	s_wait_alu 0xfffe
	s_cmp_ge_u32 ttmp9, s3
	v_dual_mov_b32 v8, v1 :: v_dual_mov_b32 v9, v1
	s_cselect_b32 s1, s0, 28
	s_cmp_lg_u32 s13, 0x84
	v_lshlrev_b64_e32 v[66:67], 2, v[2:3]
	s_cselect_b32 s37, -1, 0
	s_cmp_lg_u32 s12, 0x6f
	v_dual_mov_b32 v2, v1 :: v_dual_mov_b32 v3, v1
	s_cselect_b32 s38, -1, 0
	s_lshl_b64 s[10:11], s[10:11], 2
	v_dual_mov_b32 v10, v1 :: v_dual_mov_b32 v11, v1
	v_add_co_u32 v75, vcc_lo, v66, s10
	v_dual_mov_b32 v12, v1 :: v_dual_mov_b32 v13, v1
	v_dual_mov_b32 v14, v1 :: v_dual_mov_b32 v15, v1
	;; [unrolled: 1-line block ×8, first 2 shown]
	v_dual_mov_b32 v28, v1 :: v_dual_add_nc_u32 v77, v74, v29
	v_cmp_gt_i32_e64 s0, s35, v0
	s_wait_alu 0xfffe
	v_cmp_gt_i32_e64 s1, s1, v0
	v_dual_mov_b32 v33, v32 :: v_dual_lshlrev_b32 v0, 2, v0
	v_add_co_ci_u32_e64 v76, null, s11, v67, vcc_lo
	v_mov_b32_e32 v32, v31
	v_mov_b32_e32 v31, v30
	;; [unrolled: 1-line block ×31, first 2 shown]
	s_mul_i32 s39, s35, 0x70
	s_lshl_b64 s[12:13], s[16:17], 2
	s_mov_b32 s15, 0
	s_addk_co_i32 s39, 0xff90
	s_lshl_b64 s[6:7], s[6:7], 2
	s_branch .LBB32_5
.LBB32_2:                               ;   in Loop: Header=BB32_5 Depth=1
	v_dual_mov_b32 v65, v33 :: v_dual_mov_b32 v64, v32
	v_dual_mov_b32 v63, v31 :: v_dual_mov_b32 v62, v30
	;; [unrolled: 1-line block ×16, first 2 shown]
.LBB32_3:                               ;   in Loop: Header=BB32_5 Depth=1
	s_add_co_i32 s2, s2, 0x10000
	s_delay_alu instid0(SALU_CYCLE_1) | instskip(SKIP_1) | instid1(SALU_CYCLE_1)
	s_cmp_ge_u32 s2, s33
	s_cselect_b32 s14, -1, 0
	s_or_not1_b32 s14, s14, exec_lo
.LBB32_4:                               ;   in Loop: Header=BB32_5 Depth=1
	s_or_b32 exec_lo, exec_lo, s3
	v_dual_mov_b32 v2, v34 :: v_dual_mov_b32 v3, v35
	v_dual_mov_b32 v4, v36 :: v_dual_mov_b32 v5, v37
	;; [unrolled: 1-line block ×16, first 2 shown]
	s_and_b32 s3, exec_lo, s14
	s_delay_alu instid0(SALU_CYCLE_1) | instskip(NEXT) | instid1(SALU_CYCLE_1)
	s_or_b32 s40, s3, s40
	s_and_not1_b32 exec_lo, exec_lo, s40
	s_cbranch_execz .LBB32_53
.LBB32_5:                               ; =>This Loop Header: Depth=1
                                        ;     Child Loop BB32_7 Depth 2
                                        ;     Child Loop BB32_14 Depth 2
                                        ;       Child Loop BB32_17 Depth 3
                                        ;         Child Loop BB32_18 Depth 4
                                        ;         Child Loop BB32_21 Depth 4
                                        ;           Child Loop BB32_22 Depth 5
                                        ;         Child Loop BB32_27 Depth 4
                                        ;           Child Loop BB32_29 Depth 5
                                        ;     Child Loop BB32_35 Depth 2
                                        ;       Child Loop BB32_38 Depth 3
                                        ;         Child Loop BB32_39 Depth 4
                                        ;         Child Loop BB32_41 Depth 4
                                        ;           Child Loop BB32_42 Depth 5
                                        ;         Child Loop BB32_47 Depth 4
                                        ;           Child Loop BB32_49 Depth 5
	s_mov_b32 s3, s15
	s_delay_alu instid0(SALU_CYCLE_1) | instskip(NEXT) | instid1(SALU_CYCLE_1)
	s_lshl_b64 s[16:17], s[2:3], 3
	s_add_nc_u64 s[18:19], s[8:9], s[16:17]
	global_load_b64 v[68:69], v1, s[18:19]
	s_and_saveexec_b32 s3, s0
	s_cbranch_execz .LBB32_11
; %bb.6:                                ;   in Loop: Header=BB32_5 Depth=1
	s_add_nc_u64 s[16:17], s[4:5], s[16:17]
	v_mov_b32_e32 v36, v74
	global_load_b64 v[34:35], v1, s[16:17]
	s_mov_b32 s14, s35
	s_wait_loadcnt 0x0
	v_add_co_u32 v34, vcc_lo, v34, s6
	s_wait_alu 0xfffd
	v_add_co_ci_u32_e64 v35, null, s7, v35, vcc_lo
	s_delay_alu instid0(VALU_DEP_2) | instskip(SKIP_1) | instid1(VALU_DEP_2)
	v_add_co_u32 v34, vcc_lo, v34, v0
	s_wait_alu 0xfffd
	v_add_co_ci_u32_e64 v35, null, 0, v35, vcc_lo
.LBB32_7:                               ;   Parent Loop BB32_5 Depth=1
                                        ; =>  This Inner Loop Header: Depth=2
	flat_load_b32 v37, v[34:35]
	v_add_co_u32 v34, vcc_lo, v34, s12
	s_wait_alu 0xfffd
	v_add_co_ci_u32_e64 v35, null, s13, v35, vcc_lo
	s_add_co_i32 s14, s14, -1
	s_delay_alu instid0(SALU_CYCLE_1)
	s_cmp_eq_u32 s14, 0
	s_wait_loadcnt_dscnt 0x0
	ds_store_b32 v36, v37
	v_add_nc_u32_e32 v36, 0x70, v36
	s_cbranch_scc0 .LBB32_7
; %bb.8:                                ;   in Loop: Header=BB32_5 Depth=1
	v_mov_b32_e32 v34, 1.0
	s_and_b32 vcc_lo, exec_lo, s37
	s_wait_alu 0xfffe
	s_cbranch_vccz .LBB32_10
; %bb.9:                                ;   in Loop: Header=BB32_5 Depth=1
	ds_load_b32 v34, v77
	s_wait_dscnt 0x0
	v_div_scale_f32 v35, null, v34, v34, 1.0
	s_delay_alu instid0(VALU_DEP_1) | instskip(NEXT) | instid1(TRANS32_DEP_1)
	v_rcp_f32_e32 v36, v35
	v_fma_f32 v37, -v35, v36, 1.0
	s_delay_alu instid0(VALU_DEP_1) | instskip(SKIP_1) | instid1(VALU_DEP_1)
	v_fmac_f32_e32 v36, v37, v36
	v_div_scale_f32 v37, vcc_lo, 1.0, v34, 1.0
	v_mul_f32_e32 v38, v37, v36
	s_delay_alu instid0(VALU_DEP_1) | instskip(NEXT) | instid1(VALU_DEP_1)
	v_fma_f32 v39, -v35, v38, v37
	v_fmac_f32_e32 v38, v39, v36
	s_delay_alu instid0(VALU_DEP_1) | instskip(SKIP_1) | instid1(VALU_DEP_1)
	v_fma_f32 v35, -v35, v38, v37
	s_wait_alu 0xfffd
	v_div_fmas_f32 v35, v35, v36, v38
	s_delay_alu instid0(VALU_DEP_1)
	v_div_fixup_f32 v34, v35, v34, 1.0
.LBB32_10:                              ;   in Loop: Header=BB32_5 Depth=1
	ds_store_b32 v77, v34
.LBB32_11:                              ;   in Loop: Header=BB32_5 Depth=1
	s_or_b32 exec_lo, exec_lo, s3
	s_mov_b32 s14, -1
	; wave barrier
	s_wait_loadcnt_dscnt 0x0
	global_inv scope:SCOPE_SE
                                        ; implicit-def: $vgpr34_vgpr35_vgpr36_vgpr37_vgpr38_vgpr39_vgpr40_vgpr41_vgpr42_vgpr43_vgpr44_vgpr45_vgpr46_vgpr47_vgpr48_vgpr49_vgpr50_vgpr51_vgpr52_vgpr53_vgpr54_vgpr55_vgpr56_vgpr57_vgpr58_vgpr59_vgpr60_vgpr61_vgpr62_vgpr63_vgpr64_vgpr65
	s_and_saveexec_b32 s3, s1
	s_cbranch_execz .LBB32_4
; %bb.12:                               ;   in Loop: Header=BB32_5 Depth=1
	v_add_co_u32 v34, vcc_lo, v68, s10
	s_wait_alu 0xfffd
	v_add_co_ci_u32_e64 v35, null, s11, v69, vcc_lo
	s_delay_alu instid0(VALU_DEP_2) | instskip(SKIP_1) | instid1(VALU_DEP_2)
	v_add_co_u32 v78, vcc_lo, v34, v66
	s_wait_alu 0xfffd
	v_add_co_ci_u32_e64 v79, null, v35, v67, vcc_lo
	s_and_not1_b32 vcc_lo, exec_lo, s38
                                        ; implicit-def: $vgpr34_vgpr35_vgpr36_vgpr37_vgpr38_vgpr39_vgpr40_vgpr41_vgpr42_vgpr43_vgpr44_vgpr45_vgpr46_vgpr47_vgpr48_vgpr49_vgpr50_vgpr51_vgpr52_vgpr53_vgpr54_vgpr55_vgpr56_vgpr57_vgpr58_vgpr59_vgpr60_vgpr61_vgpr62_vgpr63_vgpr64_vgpr65
	s_wait_alu 0xfffe
	s_cbranch_vccnz .LBB32_33
; %bb.13:                               ;   in Loop: Header=BB32_5 Depth=1
	v_add_co_u32 v80, vcc_lo, v68, v75
	v_dual_mov_b32 v65, v33 :: v_dual_mov_b32 v64, v32
	v_dual_mov_b32 v63, v31 :: v_dual_mov_b32 v62, v30
	;; [unrolled: 1-line block ×16, first 2 shown]
	s_wait_alu 0xfffd
	v_add_co_ci_u32_e64 v81, null, v69, v76, vcc_lo
	s_mov_b32 s18, 0
	s_mov_b32 s16, 0
.LBB32_14:                              ;   Parent Loop BB32_5 Depth=1
                                        ; =>  This Loop Header: Depth=2
                                        ;       Child Loop BB32_17 Depth 3
                                        ;         Child Loop BB32_18 Depth 4
                                        ;         Child Loop BB32_21 Depth 4
                                        ;           Child Loop BB32_22 Depth 5
                                        ;         Child Loop BB32_27 Depth 4
                                        ;           Child Loop BB32_29 Depth 5
	s_mov_b32 s19, s15
	s_getpc_b64 s[20:21]
	s_wait_alu 0xfffe
	s_sext_i32_i16 s21, s21
	s_add_co_u32 s20, s20, __const._ZL30rocblas_trsm_small_left_deviceILi28ELi28ELb0EffPKPKfPKPfEv13rocblas_fill_18rocblas_operation_17rocblas_diagonal_iiT3_T4_lilT5_lili.step_sizes@rel32@lo+12
	s_wait_alu 0xfffe
	s_add_co_ci_u32 s21, s21, __const._ZL30rocblas_trsm_small_left_deviceILi28ELi28ELb0EffPKPKfPKPfEv13rocblas_fill_18rocblas_operation_17rocblas_diagonal_iiT3_T4_lilT5_lili.step_sizes@rel32@hi+24
	s_lshl_b64 s[22:23], s[18:19], 2
	s_wait_alu 0xfffe
	s_add_nc_u64 s[20:21], s[20:21], s[22:23]
	s_load_b32 s20, s[20:21], 0x0
	s_wait_kmcnt 0x0
	s_add_co_i32 s19, s20, -1
	s_wait_alu 0xfffe
	s_add_co_i32 s14, s19, s16
	s_delay_alu instid0(SALU_CYCLE_1)
	s_cmp_ge_i32 s14, s35
	s_cbranch_scc1 .LBB32_30
; %bb.15:                               ;   in Loop: Header=BB32_14 Depth=2
	s_ashr_i32 s17, s16, 31
	s_ashr_i32 s21, s20, 31
	s_lshl_b64 s[22:23], s[16:17], 2
	s_max_i32 s41, s20, 1
	s_wait_alu 0xfffe
	v_add_co_u32 v70, vcc_lo, v80, s22
	s_wait_alu 0xfffd
	v_add_co_ci_u32_e64 v71, null, s23, v81, vcc_lo
	s_lshl_b64 s[22:23], s[20:21], 2
	s_mul_i32 s17, s16, 0x70
	s_mul_i32 s21, s20, 0x70
	;; [unrolled: 1-line block ×4, first 2 shown]
	s_branch .LBB32_17
.LBB32_16:                              ;   in Loop: Header=BB32_17 Depth=3
	v_add_co_u32 v70, vcc_lo, v70, s22
	s_add_co_i32 s16, s16, s20
	s_wait_alu 0xfffd
	v_add_co_ci_u32_e64 v71, null, s23, v71, vcc_lo
	s_add_co_i32 s14, s19, s16
	s_add_co_i32 s17, s17, s21
	;; [unrolled: 1-line block ×3, first 2 shown]
	s_cmp_ge_i32 s14, s35
	s_cbranch_scc1 .LBB32_30
.LBB32_17:                              ;   Parent Loop BB32_5 Depth=1
                                        ;     Parent Loop BB32_14 Depth=2
                                        ; =>    This Loop Header: Depth=3
                                        ;         Child Loop BB32_18 Depth 4
                                        ;         Child Loop BB32_21 Depth 4
                                        ;           Child Loop BB32_22 Depth 5
                                        ;         Child Loop BB32_27 Depth 4
                                        ;           Child Loop BB32_29 Depth 5
	v_dual_mov_b32 v73, v71 :: v_dual_mov_b32 v72, v70
	s_mov_b64 s[24:25], 0
.LBB32_18:                              ;   Parent Loop BB32_5 Depth=1
                                        ;     Parent Loop BB32_14 Depth=2
                                        ;       Parent Loop BB32_17 Depth=3
                                        ; =>      This Inner Loop Header: Depth=4
	flat_load_b32 v82, v[72:73]
	v_add_co_u32 v72, vcc_lo, v72, 4
	s_wait_alu 0xfffd
	v_add_co_ci_u32_e64 v73, null, 0, v73, vcc_lo
	s_wait_alu 0xfffe
	s_mov_b32 m0, s24
	s_add_nc_u64 s[24:25], s[24:25], 1
	s_wait_alu 0xfffe
	s_cmp_eq_u32 s41, s24
	s_wait_loadcnt_dscnt 0x0
	v_mul_f32_e32 v82, s34, v82
	s_delay_alu instid0(VALU_DEP_1)
	v_movreld_b32_e32 v34, v82
	s_cbranch_scc0 .LBB32_18
; %bb.19:                               ;   in Loop: Header=BB32_17 Depth=3
	s_cmp_lt_i32 s16, 1
	s_cbranch_scc1 .LBB32_24
; %bb.20:                               ;   in Loop: Header=BB32_17 Depth=3
	s_mov_b32 s14, 0
	s_mov_b32 s26, s17
.LBB32_21:                              ;   Parent Loop BB32_5 Depth=1
                                        ;     Parent Loop BB32_14 Depth=2
                                        ;       Parent Loop BB32_17 Depth=3
                                        ; =>      This Loop Header: Depth=4
                                        ;           Child Loop BB32_22 Depth 5
	s_lshl_b64 s[24:25], s[14:15], 2
	s_wait_alu 0xfffe
	s_mov_b32 s27, s26
	v_add_co_u32 v72, vcc_lo, v78, s24
	s_wait_alu 0xfffd
	v_add_co_ci_u32_e64 v73, null, s25, v79, vcc_lo
	s_mov_b64 s[24:25], 0
	flat_load_b32 v72, v[72:73]
.LBB32_22:                              ;   Parent Loop BB32_5 Depth=1
                                        ;     Parent Loop BB32_14 Depth=2
                                        ;       Parent Loop BB32_17 Depth=3
                                        ;         Parent Loop BB32_21 Depth=4
                                        ; =>        This Inner Loop Header: Depth=5
	s_wait_alu 0xfffe
	v_mov_b32_e32 v73, s27
	s_mov_b32 m0, s24
	s_add_nc_u64 s[24:25], s[24:25], 1
	v_movrels_b32_e32 v82, v34
	s_addk_co_i32 s27, 0x70
	ds_load_b32 v73, v73
	s_wait_alu 0xfffe
	s_cmp_eq_u32 s41, s24
	s_wait_loadcnt_dscnt 0x0
	v_fma_f32 v73, -v72, v73, v82
	s_delay_alu instid0(VALU_DEP_1)
	v_movreld_b32_e32 v34, v73
	s_cbranch_scc0 .LBB32_22
; %bb.23:                               ;   in Loop: Header=BB32_21 Depth=4
	s_add_co_i32 s14, s14, 1
	s_add_co_i32 s26, s26, 4
	s_cmp_eq_u32 s14, s16
	s_cbranch_scc0 .LBB32_21
.LBB32_24:                              ;   in Loop: Header=BB32_17 Depth=3
	s_mov_b64 s[24:25], 0
	s_mov_b32 s14, s42
	s_branch .LBB32_27
.LBB32_25:                              ;   in Loop: Header=BB32_27 Depth=4
	s_mov_b32 s26, s16
	s_mov_b64 s[28:29], 0
.LBB32_26:                              ;   in Loop: Header=BB32_27 Depth=4
	s_wait_alu 0xfffe
	s_mul_i32 s27, s26, 0x74
	s_mov_b32 m0, s28
	s_wait_alu 0xfffe
	v_mov_b32_e32 v72, s27
	v_movrels_b32_e32 v73, v34
	s_ashr_i32 s27, s26, 31
	s_add_nc_u64 s[24:25], s[24:25], 1
	s_wait_alu 0xfffe
	s_lshl_b64 s[26:27], s[26:27], 2
	ds_load_b32 v72, v72
	s_addk_co_i32 s14, 0x70
	s_cmp_eq_u32 s24, s41
	s_wait_dscnt 0x0
	v_mul_f32_e32 v82, v73, v72
	s_wait_alu 0xfffe
	v_add_co_u32 v72, vcc_lo, v78, s26
	s_wait_alu 0xfffd
	v_add_co_ci_u32_e64 v73, null, s27, v79, vcc_lo
	v_movreld_b32_e32 v34, v82
	flat_store_b32 v[72:73], v82
	s_cbranch_scc1 .LBB32_16
.LBB32_27:                              ;   Parent Loop BB32_5 Depth=1
                                        ;     Parent Loop BB32_14 Depth=2
                                        ;       Parent Loop BB32_17 Depth=3
                                        ; =>      This Loop Header: Depth=4
                                        ;           Child Loop BB32_29 Depth 5
	s_wait_alu 0xfffe
	s_cmp_eq_u32 s24, 0
	s_cbranch_scc1 .LBB32_25
; %bb.28:                               ;   in Loop: Header=BB32_27 Depth=4
	s_add_co_i32 s26, s24, s16
	s_mov_b64 s[30:31], 0
	s_mov_b64 s[28:29], s[24:25]
	s_mov_b32 s27, s14
.LBB32_29:                              ;   Parent Loop BB32_5 Depth=1
                                        ;     Parent Loop BB32_14 Depth=2
                                        ;       Parent Loop BB32_17 Depth=3
                                        ;         Parent Loop BB32_27 Depth=4
                                        ; =>        This Inner Loop Header: Depth=5
	s_wait_alu 0xfffe
	v_mov_b32_e32 v72, s27
	s_mov_b32 m0, s30
	s_add_nc_u64 s[30:31], s[30:31], 1
	v_movrels_b32_e32 v73, v34
	s_mov_b32 m0, s24
	ds_load_b32 v72, v72
	v_movrels_b32_e32 v82, v34
	s_add_co_i32 s27, s27, 4
	s_cmp_eq_u32 s24, s30
	s_wait_dscnt 0x0
	s_delay_alu instid0(VALU_DEP_1) | instskip(NEXT) | instid1(VALU_DEP_1)
	v_fma_f32 v72, -v73, v72, v82
	v_movreld_b32_e32 v34, v72
	s_cbranch_scc0 .LBB32_29
	s_branch .LBB32_26
.LBB32_30:                              ;   in Loop: Header=BB32_14 Depth=2
	s_cmp_lt_i32 s16, s35
	s_cselect_b32 s17, -1, 0
	s_add_co_i32 s14, s18, 1
	s_cmp_lt_u32 s18, 2
	s_cselect_b32 s18, -1, 0
	s_wait_alu 0xfffe
	s_and_b32 s17, s17, s18
	s_delay_alu instid0(SALU_CYCLE_1)
	s_and_b32 vcc_lo, exec_lo, s17
	s_wait_alu 0xfffe
	s_cbranch_vccz .LBB32_32
; %bb.31:                               ;   in Loop: Header=BB32_14 Depth=2
	s_mov_b32 s18, s14
	s_branch .LBB32_14
.LBB32_32:                              ;   in Loop: Header=BB32_5 Depth=1
	s_mov_b32 s14, 0
.LBB32_33:                              ;   in Loop: Header=BB32_5 Depth=1
	s_delay_alu instid0(SALU_CYCLE_1)
	s_and_b32 vcc_lo, exec_lo, s14
	s_wait_alu 0xfffe
	s_cbranch_vccz .LBB32_3
; %bb.34:                               ;   in Loop: Header=BB32_5 Depth=1
	v_add_co_u32 v36, vcc_lo, v68, v75
	s_wait_alu 0xfffd
	v_add_co_ci_u32_e64 v37, null, v69, v76, vcc_lo
	s_mov_b32 s14, 0
	s_mov_b32 s16, s36
.LBB32_35:                              ;   Parent Loop BB32_5 Depth=1
                                        ; =>  This Loop Header: Depth=2
                                        ;       Child Loop BB32_38 Depth 3
                                        ;         Child Loop BB32_39 Depth 4
                                        ;         Child Loop BB32_41 Depth 4
                                        ;           Child Loop BB32_42 Depth 5
                                        ;         Child Loop BB32_47 Depth 4
                                        ;           Child Loop BB32_49 Depth 5
	s_getpc_b64 s[18:19]
	s_wait_alu 0xfffe
	s_sext_i32_i16 s19, s19
	s_add_co_u32 s18, s18, __const._ZL30rocblas_trsm_small_left_deviceILi28ELi28ELb0EffPKPKfPKPfEv13rocblas_fill_18rocblas_operation_17rocblas_diagonal_iiT3_T4_lilT5_lili.step_sizes@rel32@lo+12
	s_wait_alu 0xfffe
	s_add_co_ci_u32 s19, s19, __const._ZL30rocblas_trsm_small_left_deviceILi28ELi28ELb0EffPKPKfPKPfEv13rocblas_fill_18rocblas_operation_17rocblas_diagonal_iiT3_T4_lilT5_lili.step_sizes@rel32@hi+24
	s_lshl_b64 s[20:21], s[14:15], 2
	s_wait_alu 0xfffe
	s_add_nc_u64 s[18:19], s[18:19], s[20:21]
	s_load_b32 s26, s[18:19], 0x0
	s_wait_kmcnt 0x0
	s_add_co_i32 s27, s26, -1
	s_wait_alu 0xfffe
	s_cmp_lt_i32 s16, s27
	s_cbranch_scc1 .LBB32_51
; %bb.36:                               ;   in Loop: Header=BB32_35 Depth=2
	s_lshl_b32 s17, s16, 2
	s_lshl_b32 s18, s26, 2
	s_max_i32 s28, s26, 1
	s_add_co_i32 s29, s39, s17
	s_wait_alu 0xfffe
	s_sub_co_i32 s30, 0, s18
	s_mul_i32 s31, s16, 0x74
	s_mul_i32 s41, s26, 0xffffff8c
	s_branch .LBB32_38
.LBB32_37:                              ;   in Loop: Header=BB32_38 Depth=3
	s_sub_co_i32 s16, s16, s26
	s_add_co_i32 s29, s29, s30
	s_add_co_i32 s31, s31, s41
	s_cmp_lt_i32 s16, s27
	s_cbranch_scc1 .LBB32_51
.LBB32_38:                              ;   Parent Loop BB32_5 Depth=1
                                        ;     Parent Loop BB32_35 Depth=2
                                        ; =>    This Loop Header: Depth=3
                                        ;         Child Loop BB32_39 Depth 4
                                        ;         Child Loop BB32_41 Depth 4
                                        ;           Child Loop BB32_42 Depth 5
                                        ;         Child Loop BB32_47 Depth 4
                                        ;           Child Loop BB32_49 Depth 5
	s_ashr_i32 s17, s16, 31
	s_delay_alu instid0(SALU_CYCLE_1)
	s_lshl_b64 s[18:19], s[16:17], 2
	s_wait_alu 0xfffe
	v_add_co_u32 v34, vcc_lo, v36, s18
	s_wait_alu 0xfffd
	v_add_co_ci_u32_e64 v35, null, s19, v37, vcc_lo
	s_mov_b64 s[18:19], 0
.LBB32_39:                              ;   Parent Loop BB32_5 Depth=1
                                        ;     Parent Loop BB32_35 Depth=2
                                        ;       Parent Loop BB32_38 Depth=3
                                        ; =>      This Inner Loop Header: Depth=4
	flat_load_b32 v38, v[34:35]
	v_add_co_u32 v34, vcc_lo, v34, -4
	s_wait_alu 0xfffd
	v_add_co_ci_u32_e64 v35, null, -1, v35, vcc_lo
	s_wait_alu 0xfffe
	s_mov_b32 m0, s18
	s_add_nc_u64 s[18:19], s[18:19], 1
	s_wait_alu 0xfffe
	s_cmp_eq_u32 s28, s18
	s_wait_loadcnt_dscnt 0x0
	v_mul_f32_e32 v38, s34, v38
	s_delay_alu instid0(VALU_DEP_1)
	v_movreld_b32_e32 v2, v38
	s_cbranch_scc0 .LBB32_39
; %bb.40:                               ;   in Loop: Header=BB32_38 Depth=3
	s_cmp_le_i32 s36, s16
	s_mov_b32 s22, s29
	s_mov_b32 s18, s36
	s_cbranch_scc1 .LBB32_44
.LBB32_41:                              ;   Parent Loop BB32_5 Depth=1
                                        ;     Parent Loop BB32_35 Depth=2
                                        ;       Parent Loop BB32_38 Depth=3
                                        ; =>      This Loop Header: Depth=4
                                        ;           Child Loop BB32_42 Depth 5
	s_wait_alu 0xfffe
	s_ashr_i32 s19, s18, 31
	s_wait_alu 0xfffe
	s_lshl_b64 s[20:21], s[18:19], 2
	s_mov_b32 s19, s22
	s_wait_alu 0xfffe
	v_add_co_u32 v34, vcc_lo, v78, s20
	s_wait_alu 0xfffd
	v_add_co_ci_u32_e64 v35, null, s21, v79, vcc_lo
	s_mov_b64 s[20:21], 0
	flat_load_b32 v34, v[34:35]
.LBB32_42:                              ;   Parent Loop BB32_5 Depth=1
                                        ;     Parent Loop BB32_35 Depth=2
                                        ;       Parent Loop BB32_38 Depth=3
                                        ;         Parent Loop BB32_41 Depth=4
                                        ; =>        This Inner Loop Header: Depth=5
	s_wait_alu 0xfffe
	v_mov_b32_e32 v35, s19
	s_mov_b32 m0, s20
	s_add_nc_u64 s[20:21], s[20:21], 1
	v_movrels_b32_e32 v38, v2
	s_add_co_i32 s19, s19, -4
	ds_load_b32 v35, v35
	s_wait_alu 0xfffe
	s_cmp_eq_u32 s28, s20
	s_wait_loadcnt_dscnt 0x0
	v_fma_f32 v35, -v34, v35, v38
	s_delay_alu instid0(VALU_DEP_1)
	v_movreld_b32_e32 v2, v35
	s_cbranch_scc0 .LBB32_42
; %bb.43:                               ;   in Loop: Header=BB32_41 Depth=4
	s_add_co_i32 s18, s18, -1
	s_addk_co_i32 s22, 0xff90
	s_wait_alu 0xfffe
	s_cmp_le_i32 s18, s16
	s_cbranch_scc0 .LBB32_41
.LBB32_44:                              ;   in Loop: Header=BB32_38 Depth=3
	s_mov_b64 s[18:19], 0
	s_mov_b32 s42, s31
	s_branch .LBB32_47
.LBB32_45:                              ;   in Loop: Header=BB32_47 Depth=4
	s_mov_b32 s20, s16
	s_mov_b64 s[24:25], 0
	s_mov_b64 s[22:23], s[16:17]
.LBB32_46:                              ;   in Loop: Header=BB32_47 Depth=4
	s_wait_alu 0xfffe
	s_mulk_i32 s20, 0x74
	s_mov_b32 m0, s24
	s_wait_alu 0xfffe
	v_mov_b32_e32 v34, s20
	v_movrels_b32_e32 v35, v2
	s_lshl_b64 s[20:21], s[22:23], 2
	s_add_nc_u64 s[18:19], s[18:19], 1
	s_add_co_i32 s42, s42, -4
	ds_load_b32 v34, v34
	s_wait_alu 0xfffe
	s_cmp_eq_u32 s18, s28
	s_wait_dscnt 0x0
	v_mul_f32_e32 v38, v35, v34
	v_add_co_u32 v34, vcc_lo, v78, s20
	s_wait_alu 0xfffd
	v_add_co_ci_u32_e64 v35, null, s21, v79, vcc_lo
	s_delay_alu instid0(VALU_DEP_3)
	v_movreld_b32_e32 v2, v38
	flat_store_b32 v[34:35], v38
	s_cbranch_scc1 .LBB32_37
.LBB32_47:                              ;   Parent Loop BB32_5 Depth=1
                                        ;     Parent Loop BB32_35 Depth=2
                                        ;       Parent Loop BB32_38 Depth=3
                                        ; =>      This Loop Header: Depth=4
                                        ;           Child Loop BB32_49 Depth 5
	s_wait_alu 0xfffe
	s_cmp_eq_u32 s18, 0
	s_cbranch_scc1 .LBB32_45
; %bb.48:                               ;   in Loop: Header=BB32_47 Depth=4
	s_mov_b64 s[20:21], 0
	s_mov_b32 s22, s42
.LBB32_49:                              ;   Parent Loop BB32_5 Depth=1
                                        ;     Parent Loop BB32_35 Depth=2
                                        ;       Parent Loop BB32_38 Depth=3
                                        ;         Parent Loop BB32_47 Depth=4
                                        ; =>        This Inner Loop Header: Depth=5
	s_wait_alu 0xfffe
	v_mov_b32_e32 v34, s22
	s_mov_b32 m0, s20
	s_add_nc_u64 s[20:21], s[20:21], 1
	v_movrels_b32_e32 v35, v2
	s_mov_b32 m0, s18
	ds_load_b32 v34, v34
	v_movrels_b32_e32 v38, v2
	s_addk_co_i32 s22, 0xff90
	s_wait_alu 0xfffe
	s_cmp_eq_u32 s18, s20
	s_wait_dscnt 0x0
	v_fma_f32 v34, -v35, v34, v38
	s_delay_alu instid0(VALU_DEP_1)
	v_movreld_b32_e32 v2, v34
	s_cbranch_scc0 .LBB32_49
; %bb.50:                               ;   in Loop: Header=BB32_47 Depth=4
	s_sub_co_i32 s20, s16, s18
	s_mov_b64 s[24:25], s[18:19]
	s_wait_alu 0xfffe
	s_ashr_i32 s21, s20, 31
	s_wait_alu 0xfffe
	s_mov_b64 s[22:23], s[20:21]
	s_branch .LBB32_46
.LBB32_51:                              ;   in Loop: Header=BB32_35 Depth=2
	s_cmp_gt_i32 s16, -1
	s_cselect_b32 s18, -1, 0
	s_add_co_i32 s17, s14, 1
	s_cmp_lt_u32 s14, 2
	s_cselect_b32 s14, -1, 0
	s_wait_alu 0xfffe
	s_and_b32 s14, s18, s14
	s_delay_alu instid0(SALU_CYCLE_1)
	s_and_not1_b32 vcc_lo, exec_lo, s14
	s_wait_alu 0xfffe
	s_cbranch_vccnz .LBB32_2
; %bb.52:                               ;   in Loop: Header=BB32_35 Depth=2
	s_mov_b32 s14, s17
	s_branch .LBB32_35
.LBB32_53:
	s_endpgm
	.section	.rodata,"a",@progbits
	.p2align	6, 0x0
	.amdhsa_kernel _ZL30rocblas_trsm_small_left_deviceILi28ELi28ELb0EffPKPKfPKPfEv13rocblas_fill_18rocblas_operation_17rocblas_diagonal_iiT3_T4_lilT5_lili
		.amdhsa_group_segment_fixed_size 3136
		.amdhsa_private_segment_fixed_size 0
		.amdhsa_kernarg_size 352
		.amdhsa_user_sgpr_count 2
		.amdhsa_user_sgpr_dispatch_ptr 0
		.amdhsa_user_sgpr_queue_ptr 0
		.amdhsa_user_sgpr_kernarg_segment_ptr 1
		.amdhsa_user_sgpr_dispatch_id 0
		.amdhsa_user_sgpr_private_segment_size 0
		.amdhsa_wavefront_size32 1
		.amdhsa_uses_dynamic_stack 0
		.amdhsa_enable_private_segment 0
		.amdhsa_system_sgpr_workgroup_id_x 1
		.amdhsa_system_sgpr_workgroup_id_y 0
		.amdhsa_system_sgpr_workgroup_id_z 1
		.amdhsa_system_sgpr_workgroup_info 0
		.amdhsa_system_vgpr_workitem_id 0
		.amdhsa_next_free_vgpr 97
		.amdhsa_next_free_sgpr 44
		.amdhsa_reserve_vcc 1
		.amdhsa_float_round_mode_32 0
		.amdhsa_float_round_mode_16_64 0
		.amdhsa_float_denorm_mode_32 3
		.amdhsa_float_denorm_mode_16_64 3
		.amdhsa_fp16_overflow 0
		.amdhsa_workgroup_processor_mode 1
		.amdhsa_memory_ordered 1
		.amdhsa_forward_progress 1
		.amdhsa_inst_pref_size 23
		.amdhsa_round_robin_scheduling 0
		.amdhsa_exception_fp_ieee_invalid_op 0
		.amdhsa_exception_fp_denorm_src 0
		.amdhsa_exception_fp_ieee_div_zero 0
		.amdhsa_exception_fp_ieee_overflow 0
		.amdhsa_exception_fp_ieee_underflow 0
		.amdhsa_exception_fp_ieee_inexact 0
		.amdhsa_exception_int_div_zero 0
	.end_amdhsa_kernel
	.section	.text._ZL30rocblas_trsm_small_left_deviceILi28ELi28ELb0EffPKPKfPKPfEv13rocblas_fill_18rocblas_operation_17rocblas_diagonal_iiT3_T4_lilT5_lili,"axG",@progbits,_ZL30rocblas_trsm_small_left_deviceILi28ELi28ELb0EffPKPKfPKPfEv13rocblas_fill_18rocblas_operation_17rocblas_diagonal_iiT3_T4_lilT5_lili,comdat
.Lfunc_end32:
	.size	_ZL30rocblas_trsm_small_left_deviceILi28ELi28ELb0EffPKPKfPKPfEv13rocblas_fill_18rocblas_operation_17rocblas_diagonal_iiT3_T4_lilT5_lili, .Lfunc_end32-_ZL30rocblas_trsm_small_left_deviceILi28ELi28ELb0EffPKPKfPKPfEv13rocblas_fill_18rocblas_operation_17rocblas_diagonal_iiT3_T4_lilT5_lili
                                        ; -- End function
	.set _ZL30rocblas_trsm_small_left_deviceILi28ELi28ELb0EffPKPKfPKPfEv13rocblas_fill_18rocblas_operation_17rocblas_diagonal_iiT3_T4_lilT5_lili.num_vgpr, 83
	.set _ZL30rocblas_trsm_small_left_deviceILi28ELi28ELb0EffPKPKfPKPfEv13rocblas_fill_18rocblas_operation_17rocblas_diagonal_iiT3_T4_lilT5_lili.num_agpr, 0
	.set _ZL30rocblas_trsm_small_left_deviceILi28ELi28ELb0EffPKPKfPKPfEv13rocblas_fill_18rocblas_operation_17rocblas_diagonal_iiT3_T4_lilT5_lili.numbered_sgpr, 44
	.set _ZL30rocblas_trsm_small_left_deviceILi28ELi28ELb0EffPKPKfPKPfEv13rocblas_fill_18rocblas_operation_17rocblas_diagonal_iiT3_T4_lilT5_lili.num_named_barrier, 0
	.set _ZL30rocblas_trsm_small_left_deviceILi28ELi28ELb0EffPKPKfPKPfEv13rocblas_fill_18rocblas_operation_17rocblas_diagonal_iiT3_T4_lilT5_lili.private_seg_size, 0
	.set _ZL30rocblas_trsm_small_left_deviceILi28ELi28ELb0EffPKPKfPKPfEv13rocblas_fill_18rocblas_operation_17rocblas_diagonal_iiT3_T4_lilT5_lili.uses_vcc, 1
	.set _ZL30rocblas_trsm_small_left_deviceILi28ELi28ELb0EffPKPKfPKPfEv13rocblas_fill_18rocblas_operation_17rocblas_diagonal_iiT3_T4_lilT5_lili.uses_flat_scratch, 0
	.set _ZL30rocblas_trsm_small_left_deviceILi28ELi28ELb0EffPKPKfPKPfEv13rocblas_fill_18rocblas_operation_17rocblas_diagonal_iiT3_T4_lilT5_lili.has_dyn_sized_stack, 0
	.set _ZL30rocblas_trsm_small_left_deviceILi28ELi28ELb0EffPKPKfPKPfEv13rocblas_fill_18rocblas_operation_17rocblas_diagonal_iiT3_T4_lilT5_lili.has_recursion, 0
	.set _ZL30rocblas_trsm_small_left_deviceILi28ELi28ELb0EffPKPKfPKPfEv13rocblas_fill_18rocblas_operation_17rocblas_diagonal_iiT3_T4_lilT5_lili.has_indirect_call, 0
	.section	.AMDGPU.csdata,"",@progbits
; Kernel info:
; codeLenInByte = 2848
; TotalNumSgprs: 46
; NumVgprs: 83
; ScratchSize: 0
; MemoryBound: 0
; FloatMode: 240
; IeeeMode: 1
; LDSByteSize: 3136 bytes/workgroup (compile time only)
; SGPRBlocks: 0
; VGPRBlocks: 12
; NumSGPRsForWavesPerEU: 46
; NumVGPRsForWavesPerEU: 97
; Occupancy: 11
; WaveLimiterHint : 1
; COMPUTE_PGM_RSRC2:SCRATCH_EN: 0
; COMPUTE_PGM_RSRC2:USER_SGPR: 2
; COMPUTE_PGM_RSRC2:TRAP_HANDLER: 0
; COMPUTE_PGM_RSRC2:TGID_X_EN: 1
; COMPUTE_PGM_RSRC2:TGID_Y_EN: 0
; COMPUTE_PGM_RSRC2:TGID_Z_EN: 1
; COMPUTE_PGM_RSRC2:TIDIG_COMP_CNT: 0
	.section	.text._ZL38rocblas_trsm_small_left_device_sharedBILi28ELi28ELb1EffPKPKfPKPfEv13rocblas_fill_18rocblas_operation_17rocblas_diagonal_iiT3_T4_lilT5_lili,"axG",@progbits,_ZL38rocblas_trsm_small_left_device_sharedBILi28ELi28ELb1EffPKPKfPKPfEv13rocblas_fill_18rocblas_operation_17rocblas_diagonal_iiT3_T4_lilT5_lili,comdat
	.globl	_ZL38rocblas_trsm_small_left_device_sharedBILi28ELi28ELb1EffPKPKfPKPfEv13rocblas_fill_18rocblas_operation_17rocblas_diagonal_iiT3_T4_lilT5_lili ; -- Begin function _ZL38rocblas_trsm_small_left_device_sharedBILi28ELi28ELb1EffPKPKfPKPfEv13rocblas_fill_18rocblas_operation_17rocblas_diagonal_iiT3_T4_lilT5_lili
	.p2align	8
	.type	_ZL38rocblas_trsm_small_left_device_sharedBILi28ELi28ELb1EffPKPKfPKPfEv13rocblas_fill_18rocblas_operation_17rocblas_diagonal_iiT3_T4_lilT5_lili,@function
_ZL38rocblas_trsm_small_left_device_sharedBILi28ELi28ELb1EffPKPKfPKPfEv13rocblas_fill_18rocblas_operation_17rocblas_diagonal_iiT3_T4_lilT5_lili: ; @_ZL38rocblas_trsm_small_left_device_sharedBILi28ELi28ELb1EffPKPKfPKPfEv13rocblas_fill_18rocblas_operation_17rocblas_diagonal_iiT3_T4_lilT5_lili
; %bb.0:
	s_load_b32 s24, s[0:1], 0x58
	s_lshr_b32 s2, ttmp7, 16
	s_wait_kmcnt 0x0
	s_cmp_ge_u32 s2, s24
	s_cbranch_scc1 .LBB33_56
; %bb.1:
	s_clause 0x6
	s_load_b32 s18, s[0:1], 0x28
	s_load_b32 s20, s[0:1], 0x48
	s_load_b128 s[12:15], s[0:1], 0x4
	s_load_b32 s3, s[0:1], 0x60
	s_load_b128 s[4:7], s[0:1], 0x18
	s_load_b128 s[8:11], s[0:1], 0x38
	s_load_b32 s1, s[0:1], 0x14
	s_mul_i32 s0, ttmp9, 0xffffffe4
	s_mul_i32 s22, ttmp9, 28
	v_mov_b32_e32 v1, 0
	v_lshlrev_b32_e32 v69, 2, v0
	v_mul_u32_u24_e32 v31, 0x70, v0
	s_mov_b32 s17, 0
	s_delay_alu instid0(VALU_DEP_3) | instskip(NEXT) | instid1(VALU_DEP_3)
	v_mov_b32_e32 v2, v1
	v_dual_mov_b32 v3, v1 :: v_dual_add_nc_u32 v66, 0xc40, v69
	v_dual_mov_b32 v4, v1 :: v_dual_mov_b32 v5, v1
	v_mov_b32_e32 v6, v1
	s_wait_kmcnt 0x0
	s_ashr_i32 s19, s18, 31
	s_ashr_i32 s21, s20, 31
	s_min_i32 s25, s14, 28
	s_add_co_i32 s3, s3, -1
	s_add_co_i32 s15, s15, s0
	v_mad_co_i64_i32 v[29:30], null, s20, v0, 0
	s_add_co_i32 s26, s25, -1
	s_cmp_ge_u32 ttmp9, s3
	v_dual_mov_b32 v7, v1 :: v_dual_mov_b32 v8, v1
	s_cselect_b32 s3, s15, 28
	s_ashr_i32 s23, s22, 31
	s_cmp_lg_u32 s13, 0x84
	v_cmp_gt_i32_e32 vcc_lo, s3, v0
	s_cselect_b32 s27, -1, 0
	s_cmp_gt_i32 s14, 0
	v_dual_mov_b32 v9, v1 :: v_dual_mov_b32 v10, v1
	v_dual_mov_b32 v11, v1 :: v_dual_mov_b32 v12, v1
	;; [unrolled: 1-line block ×10, first 2 shown]
	v_cmp_gt_i32_e64 s0, s25, v0
	s_cselect_b32 s3, -1, 0
	s_cmp_lg_u32 s12, 0x6f
	v_lshlrev_b32_e32 v0, 2, v0
	v_add_nc_u32_e32 v70, v69, v31
	v_lshlrev_b64_e32 v[67:68], 2, v[29:30]
	v_mov_b32_e32 v33, v32
	v_mov_b32_e32 v32, v31
	;; [unrolled: 1-line block ×32, first 2 shown]
	s_mul_u64 s[20:21], s[20:21], s[22:23]
	s_cselect_b32 s28, -1, 0
	s_lshl_b32 s30, s25, 2
	s_wait_alu 0xfffe
	s_and_b32 s29, vcc_lo, s3
	s_lshl_b64 s[12:13], s[18:19], 2
	s_add_co_i32 s30, s30, -4
	s_lshl_b64 s[6:7], s[6:7], 2
	s_lshl_b64 s[10:11], s[10:11], 2
	;; [unrolled: 1-line block ×3, first 2 shown]
	s_branch .LBB33_3
.LBB33_2:                               ;   in Loop: Header=BB33_3 Depth=1
	s_wait_alu 0xfffe
	s_or_b32 exec_lo, exec_lo, s3
	v_dual_mov_b32 v2, v34 :: v_dual_mov_b32 v3, v35
	v_dual_mov_b32 v4, v36 :: v_dual_mov_b32 v5, v37
	;; [unrolled: 1-line block ×16, first 2 shown]
	s_add_co_i32 s2, s2, 0x10000
	s_wait_alu 0xfffe
	s_cmp_lt_u32 s2, s24
	s_cbranch_scc0 .LBB33_56
.LBB33_3:                               ; =>This Loop Header: Depth=1
                                        ;     Child Loop BB33_5 Depth 2
                                        ;     Child Loop BB33_11 Depth 2
	;; [unrolled: 1-line block ×3, first 2 shown]
                                        ;       Child Loop BB33_17 Depth 3
                                        ;         Child Loop BB33_18 Depth 4
                                        ;         Child Loop BB33_20 Depth 4
                                        ;           Child Loop BB33_21 Depth 5
                                        ;         Child Loop BB33_26 Depth 4
                                        ;           Child Loop BB33_28 Depth 5
                                        ;     Child Loop BB33_34 Depth 2
                                        ;       Child Loop BB33_37 Depth 3
                                        ;         Child Loop BB33_38 Depth 4
                                        ;         Child Loop BB33_41 Depth 4
                                        ;           Child Loop BB33_42 Depth 5
                                        ;         Child Loop BB33_47 Depth 4
                                        ;           Child Loop BB33_49 Depth 5
                                        ;     Child Loop BB33_55 Depth 2
	s_mov_b32 s3, s17
	s_wait_alu 0xfffe
	s_lshl_b64 s[18:19], s[2:3], 3
	s_wait_alu 0xfffe
	s_add_nc_u64 s[20:21], s[8:9], s[18:19]
	global_load_b64 v[34:35], v1, s[20:21]
	s_and_saveexec_b32 s3, s0
	s_cbranch_execz .LBB33_9
; %bb.4:                                ;   in Loop: Header=BB33_3 Depth=1
	s_add_nc_u64 s[18:19], s[4:5], s[18:19]
	v_mov_b32_e32 v38, v69
	global_load_b64 v[36:37], v1, s[18:19]
	s_mov_b32 s16, s25
	s_wait_loadcnt 0x0
	v_add_co_u32 v36, vcc_lo, v36, s6
	s_wait_alu 0xfffd
	v_add_co_ci_u32_e64 v37, null, s7, v37, vcc_lo
	s_delay_alu instid0(VALU_DEP_2) | instskip(SKIP_1) | instid1(VALU_DEP_2)
	v_add_co_u32 v36, vcc_lo, v36, v0
	s_wait_alu 0xfffd
	v_add_co_ci_u32_e64 v37, null, 0, v37, vcc_lo
.LBB33_5:                               ;   Parent Loop BB33_3 Depth=1
                                        ; =>  This Inner Loop Header: Depth=2
	flat_load_b32 v39, v[36:37]
	v_add_co_u32 v36, vcc_lo, v36, s12
	s_wait_alu 0xfffd
	v_add_co_ci_u32_e64 v37, null, s13, v37, vcc_lo
	s_add_co_i32 s16, s16, -1
	s_delay_alu instid0(SALU_CYCLE_1)
	s_cmp_eq_u32 s16, 0
	s_wait_loadcnt_dscnt 0x0
	ds_store_b32 v38, v39
	v_add_nc_u32_e32 v38, 0x70, v38
	s_cbranch_scc0 .LBB33_5
; %bb.6:                                ;   in Loop: Header=BB33_3 Depth=1
	v_mov_b32_e32 v36, 1.0
	s_and_b32 vcc_lo, exec_lo, s27
	s_wait_alu 0xfffe
	s_cbranch_vccz .LBB33_8
; %bb.7:                                ;   in Loop: Header=BB33_3 Depth=1
	ds_load_b32 v36, v70
	s_wait_dscnt 0x0
	v_div_scale_f32 v37, null, v36, v36, 1.0
	s_delay_alu instid0(VALU_DEP_1) | instskip(NEXT) | instid1(TRANS32_DEP_1)
	v_rcp_f32_e32 v38, v37
	v_fma_f32 v39, -v37, v38, 1.0
	s_delay_alu instid0(VALU_DEP_1) | instskip(SKIP_1) | instid1(VALU_DEP_1)
	v_fmac_f32_e32 v38, v39, v38
	v_div_scale_f32 v39, vcc_lo, 1.0, v36, 1.0
	v_mul_f32_e32 v40, v39, v38
	s_delay_alu instid0(VALU_DEP_1) | instskip(NEXT) | instid1(VALU_DEP_1)
	v_fma_f32 v41, -v37, v40, v39
	v_fmac_f32_e32 v40, v41, v38
	s_delay_alu instid0(VALU_DEP_1) | instskip(SKIP_1) | instid1(VALU_DEP_1)
	v_fma_f32 v37, -v37, v40, v39
	s_wait_alu 0xfffd
	v_div_fmas_f32 v37, v37, v38, v40
	s_delay_alu instid0(VALU_DEP_1)
	v_div_fixup_f32 v36, v37, v36, 1.0
.LBB33_8:                               ;   in Loop: Header=BB33_3 Depth=1
	ds_store_b32 v70, v36
.LBB33_9:                               ;   in Loop: Header=BB33_3 Depth=1
	s_wait_alu 0xfffe
	s_or_b32 exec_lo, exec_lo, s3
	s_wait_loadcnt 0x0
	v_add_co_u32 v34, vcc_lo, v34, s10
	s_wait_alu 0xfffd
	v_add_co_ci_u32_e64 v35, null, s11, v35, vcc_lo
	s_delay_alu instid0(VALU_DEP_2) | instskip(SKIP_1) | instid1(VALU_DEP_2)
	v_add_co_u32 v71, vcc_lo, v34, s14
	s_wait_alu 0xfffd
	v_add_co_ci_u32_e64 v72, null, s15, v35, vcc_lo
	s_and_saveexec_b32 s3, s29
	s_cbranch_execz .LBB33_12
; %bb.10:                               ;   in Loop: Header=BB33_3 Depth=1
	v_add_co_u32 v34, vcc_lo, v71, v67
	s_wait_alu 0xfffd
	v_add_co_ci_u32_e64 v35, null, v72, v68, vcc_lo
	v_mov_b32_e32 v36, v66
	s_mov_b32 s16, s25
.LBB33_11:                              ;   Parent Loop BB33_3 Depth=1
                                        ; =>  This Inner Loop Header: Depth=2
	flat_load_b32 v37, v[34:35]
	v_add_co_u32 v34, vcc_lo, v34, 4
	s_wait_alu 0xfffd
	v_add_co_ci_u32_e64 v35, null, 0, v35, vcc_lo
	s_add_co_i32 s16, s16, -1
	s_delay_alu instid0(SALU_CYCLE_1)
	s_cmp_lg_u32 s16, 0
	s_wait_loadcnt_dscnt 0x0
	v_mul_f32_e32 v37, s1, v37
	ds_store_b32 v36, v37
	v_add_nc_u32_e32 v36, 0x70, v36
	s_cbranch_scc1 .LBB33_11
.LBB33_12:                              ;   in Loop: Header=BB33_3 Depth=1
	s_wait_alu 0xfffe
	s_or_b32 exec_lo, exec_lo, s3
	s_delay_alu instid0(SALU_CYCLE_1)
	s_and_not1_b32 vcc_lo, exec_lo, s28
	s_mov_b32 s3, -1
	s_wait_dscnt 0x0
	; wave barrier
	global_inv scope:SCOPE_SE
                                        ; implicit-def: $vgpr34_vgpr35_vgpr36_vgpr37_vgpr38_vgpr39_vgpr40_vgpr41_vgpr42_vgpr43_vgpr44_vgpr45_vgpr46_vgpr47_vgpr48_vgpr49_vgpr50_vgpr51_vgpr52_vgpr53_vgpr54_vgpr55_vgpr56_vgpr57_vgpr58_vgpr59_vgpr60_vgpr61_vgpr62_vgpr63_vgpr64_vgpr65
	s_wait_alu 0xfffe
	s_cbranch_vccnz .LBB33_32
; %bb.13:                               ;   in Loop: Header=BB33_3 Depth=1
	v_dual_mov_b32 v65, v33 :: v_dual_mov_b32 v64, v32
	v_dual_mov_b32 v63, v31 :: v_dual_mov_b32 v62, v30
	;; [unrolled: 1-line block ×16, first 2 shown]
	s_mov_b32 s16, 0
	s_mov_b32 s3, s26
.LBB33_14:                              ;   Parent Loop BB33_3 Depth=1
                                        ; =>  This Loop Header: Depth=2
                                        ;       Child Loop BB33_17 Depth 3
                                        ;         Child Loop BB33_18 Depth 4
                                        ;         Child Loop BB33_20 Depth 4
                                        ;           Child Loop BB33_21 Depth 5
                                        ;         Child Loop BB33_26 Depth 4
                                        ;           Child Loop BB33_28 Depth 5
	s_getpc_b64 s[18:19]
	s_wait_alu 0xfffe
	s_sext_i32_i16 s19, s19
	s_add_co_u32 s18, s18, __const._ZL38rocblas_trsm_small_left_device_sharedBILi28ELi28ELb1EffPKPKfPKPfEv13rocblas_fill_18rocblas_operation_17rocblas_diagonal_iiT3_T4_lilT5_lili.step_sizes@rel32@lo+12
	s_wait_alu 0xfffe
	s_add_co_ci_u32 s19, s19, __const._ZL38rocblas_trsm_small_left_device_sharedBILi28ELi28ELb1EffPKPKfPKPfEv13rocblas_fill_18rocblas_operation_17rocblas_diagonal_iiT3_T4_lilT5_lili.step_sizes@rel32@hi+24
	s_lshl_b64 s[20:21], s[16:17], 2
	s_wait_alu 0xfffe
	s_add_nc_u64 s[18:19], s[18:19], s[20:21]
	s_load_b32 s31, s[18:19], 0x0
	s_wait_kmcnt 0x0
	s_add_co_i32 s33, s31, -1
	s_wait_alu 0xfffe
	s_cmp_lt_i32 s3, s33
	s_cbranch_scc1 .LBB33_29
; %bb.15:                               ;   in Loop: Header=BB33_14 Depth=2
	s_mul_i32 s18, s3, 0x70
	s_max_i32 s34, s31, 1
	s_wait_alu 0xfffe
	v_add_nc_u32_e32 v73, s18, v66
	s_mul_i32 s35, s31, 0xffffff90
	s_add_co_i32 s36, s30, s18
	s_mul_i32 s37, s3, 0x74
	s_mul_i32 s38, s31, 0xffffff8c
	s_branch .LBB33_17
.LBB33_16:                              ;   in Loop: Header=BB33_17 Depth=3
	v_add_nc_u32_e32 v73, s35, v73
	s_sub_co_i32 s3, s3, s31
	s_add_co_i32 s36, s36, s35
	s_add_co_i32 s37, s37, s38
	s_wait_alu 0xfffe
	s_cmp_lt_i32 s3, s33
	s_cbranch_scc1 .LBB33_29
.LBB33_17:                              ;   Parent Loop BB33_3 Depth=1
                                        ;     Parent Loop BB33_14 Depth=2
                                        ; =>    This Loop Header: Depth=3
                                        ;         Child Loop BB33_18 Depth 4
                                        ;         Child Loop BB33_20 Depth 4
                                        ;           Child Loop BB33_21 Depth 5
                                        ;         Child Loop BB33_26 Depth 4
                                        ;           Child Loop BB33_28 Depth 5
	v_mov_b32_e32 v74, v73
	s_mov_b64 s[18:19], 0
.LBB33_18:                              ;   Parent Loop BB33_3 Depth=1
                                        ;     Parent Loop BB33_14 Depth=2
                                        ;       Parent Loop BB33_17 Depth=3
                                        ; =>      This Inner Loop Header: Depth=4
	ds_load_b32 v75, v74
	v_add_nc_u32_e32 v74, 0xffffff90, v74
	s_wait_alu 0xfffe
	s_mov_b32 m0, s18
	s_add_nc_u64 s[18:19], s[18:19], 1
	s_wait_alu 0xfffe
	s_cmp_eq_u32 s34, s18
	s_wait_dscnt 0x0
	v_movreld_b32_e32 v34, v75
	s_cbranch_scc0 .LBB33_18
; %bb.19:                               ;   in Loop: Header=BB33_17 Depth=3
	s_cmp_le_i32 s26, s3
	s_mov_b32 s20, s36
	s_mov_b32 s21, s26
	s_cbranch_scc1 .LBB33_23
.LBB33_20:                              ;   Parent Loop BB33_3 Depth=1
                                        ;     Parent Loop BB33_14 Depth=2
                                        ;       Parent Loop BB33_17 Depth=3
                                        ; =>      This Loop Header: Depth=4
                                        ;           Child Loop BB33_21 Depth 5
	s_wait_alu 0xfffe
	v_mad_co_u64_u32 v[74:75], null, 0x70, s21, v[66:67]
	s_mov_b64 s[18:19], 0
	s_mov_b32 s22, s20
	ds_load_b32 v74, v74
.LBB33_21:                              ;   Parent Loop BB33_3 Depth=1
                                        ;     Parent Loop BB33_14 Depth=2
                                        ;       Parent Loop BB33_17 Depth=3
                                        ;         Parent Loop BB33_20 Depth=4
                                        ; =>        This Inner Loop Header: Depth=5
	s_wait_alu 0xfffe
	v_mov_b32_e32 v75, s22
	s_mov_b32 m0, s18
	s_add_nc_u64 s[18:19], s[18:19], 1
	v_movrels_b32_e32 v76, v34
	s_addk_co_i32 s22, 0xff90
	ds_load_b32 v75, v75
	s_wait_alu 0xfffe
	s_cmp_eq_u32 s34, s18
	s_wait_dscnt 0x0
	v_fma_f32 v75, -v74, v75, v76
	s_delay_alu instid0(VALU_DEP_1)
	v_movreld_b32_e32 v34, v75
	s_cbranch_scc0 .LBB33_21
; %bb.22:                               ;   in Loop: Header=BB33_20 Depth=4
	s_add_co_i32 s21, s21, -1
	s_add_co_i32 s20, s20, -4
	s_wait_alu 0xfffe
	s_cmp_le_i32 s21, s3
	s_cbranch_scc0 .LBB33_20
.LBB33_23:                              ;   in Loop: Header=BB33_17 Depth=3
	s_mul_i32 s39, s3, 0x70
	s_mov_b64 s[18:19], 0
	s_mov_b32 s40, s37
	s_branch .LBB33_26
.LBB33_24:                              ;   in Loop: Header=BB33_26 Depth=4
	s_mov_b32 s42, s3
	s_mov_b64 s[20:21], 0
	s_mov_b32 s41, s39
.LBB33_25:                              ;   in Loop: Header=BB33_26 Depth=4
	s_wait_alu 0xfffe
	s_mov_b32 m0, s20
	s_mul_i32 s20, s42, 0x74
	v_movrels_b32_e32 v75, v34
	s_wait_alu 0xfffe
	v_mov_b32_e32 v74, s20
	s_add_nc_u64 s[18:19], s[18:19], 1
	s_addk_co_i32 s40, 0xff90
	s_wait_alu 0xfffe
	s_cmp_eq_u32 s18, s34
	ds_load_b32 v74, v74
	s_wait_dscnt 0x0
	v_mul_f32_e32 v74, v75, v74
	v_add_nc_u32_e32 v75, s41, v66
	s_delay_alu instid0(VALU_DEP_2)
	v_movreld_b32_e32 v34, v74
	ds_store_b32 v75, v74
	s_cbranch_scc1 .LBB33_16
.LBB33_26:                              ;   Parent Loop BB33_3 Depth=1
                                        ;     Parent Loop BB33_14 Depth=2
                                        ;       Parent Loop BB33_17 Depth=3
                                        ; =>      This Loop Header: Depth=4
                                        ;           Child Loop BB33_28 Depth 5
	s_wait_alu 0xfffe
	s_cmp_eq_u32 s18, 0
	s_cbranch_scc1 .LBB33_24
; %bb.27:                               ;   in Loop: Header=BB33_26 Depth=4
	s_sub_co_i32 s42, s3, s18
	s_mov_b64 s[20:21], s[18:19]
	s_mov_b64 s[22:23], 0
	s_mul_i32 s41, s42, 0x70
	s_mov_b32 s21, s40
.LBB33_28:                              ;   Parent Loop BB33_3 Depth=1
                                        ;     Parent Loop BB33_14 Depth=2
                                        ;       Parent Loop BB33_17 Depth=3
                                        ;         Parent Loop BB33_26 Depth=4
                                        ; =>        This Inner Loop Header: Depth=5
	s_wait_alu 0xfffe
	v_mov_b32_e32 v74, s21
	s_mov_b32 m0, s22
	s_add_nc_u64 s[22:23], s[22:23], 1
	v_movrels_b32_e32 v75, v34
	s_mov_b32 m0, s18
	ds_load_b32 v74, v74
	v_movrels_b32_e32 v76, v34
	s_add_co_i32 s21, s21, -4
	s_wait_alu 0xfffe
	s_cmp_eq_u32 s18, s22
	s_wait_dscnt 0x0
	v_fma_f32 v74, -v75, v74, v76
	s_delay_alu instid0(VALU_DEP_1)
	v_movreld_b32_e32 v34, v74
	s_cbranch_scc0 .LBB33_28
	s_branch .LBB33_25
.LBB33_29:                              ;   in Loop: Header=BB33_14 Depth=2
	s_cmp_gt_i32 s3, -1
	s_cselect_b32 s19, -1, 0
	s_add_co_i32 s18, s16, 1
	s_cmp_lt_u32 s16, 2
	s_cselect_b32 s16, -1, 0
	s_wait_alu 0xfffe
	s_and_b32 s16, s19, s16
	s_delay_alu instid0(SALU_CYCLE_1)
	s_and_b32 vcc_lo, exec_lo, s16
	s_wait_alu 0xfffe
	s_cbranch_vccz .LBB33_31
; %bb.30:                               ;   in Loop: Header=BB33_14 Depth=2
	s_mov_b32 s16, s18
	s_branch .LBB33_14
.LBB33_31:                              ;   in Loop: Header=BB33_3 Depth=1
	s_mov_b32 s3, 0
.LBB33_32:                              ;   in Loop: Header=BB33_3 Depth=1
	s_wait_alu 0xfffe
	s_and_b32 vcc_lo, exec_lo, s3
	s_wait_alu 0xfffe
	s_cbranch_vccz .LBB33_53
; %bb.33:                               ;   in Loop: Header=BB33_3 Depth=1
	s_mov_b32 s3, 0
	s_wait_alu 0xfffe
	s_mov_b32 s16, s3
.LBB33_34:                              ;   Parent Loop BB33_3 Depth=1
                                        ; =>  This Loop Header: Depth=2
                                        ;       Child Loop BB33_37 Depth 3
                                        ;         Child Loop BB33_38 Depth 4
                                        ;         Child Loop BB33_41 Depth 4
                                        ;           Child Loop BB33_42 Depth 5
                                        ;         Child Loop BB33_47 Depth 4
                                        ;           Child Loop BB33_49 Depth 5
	s_getpc_b64 s[18:19]
	s_wait_alu 0xfffe
	s_sext_i32_i16 s19, s19
	s_add_co_u32 s18, s18, __const._ZL38rocblas_trsm_small_left_device_sharedBILi28ELi28ELb1EffPKPKfPKPfEv13rocblas_fill_18rocblas_operation_17rocblas_diagonal_iiT3_T4_lilT5_lili.step_sizes@rel32@lo+12
	s_wait_alu 0xfffe
	s_add_co_ci_u32 s19, s19, __const._ZL38rocblas_trsm_small_left_device_sharedBILi28ELi28ELb1EffPKPKfPKPfEv13rocblas_fill_18rocblas_operation_17rocblas_diagonal_iiT3_T4_lilT5_lili.step_sizes@rel32@hi+24
	s_lshl_b64 s[20:21], s[16:17], 2
	s_wait_alu 0xfffe
	s_add_nc_u64 s[18:19], s[18:19], s[20:21]
	s_load_b32 s22, s[18:19], 0x0
	s_wait_kmcnt 0x0
	s_add_co_i32 s23, s22, -1
	s_wait_alu 0xfffe
	s_add_co_i32 s18, s23, s3
	s_wait_alu 0xfffe
	s_cmp_ge_i32 s18, s25
	s_cbranch_scc1 .LBB33_50
; %bb.35:                               ;   in Loop: Header=BB33_34 Depth=2
	v_mad_co_u64_u32 v[34:35], null, 0x70, s3, v[66:67]
	s_max_i32 s31, s22, 1
	s_mul_i32 s33, s22, 0x70
	s_lshl_b32 s34, s3, 2
	s_lshl_b32 s35, s22, 2
	s_mul_i32 s36, s3, 0x74
	s_mul_i32 s37, s22, 0x74
	s_branch .LBB33_37
.LBB33_36:                              ;   in Loop: Header=BB33_37 Depth=3
	s_add_co_i32 s3, s3, s22
	v_add_nc_u32_e32 v34, s33, v34
	s_wait_alu 0xfffe
	s_add_co_i32 s18, s23, s3
	s_add_co_i32 s34, s34, s35
	;; [unrolled: 1-line block ×3, first 2 shown]
	s_wait_alu 0xfffe
	s_cmp_ge_i32 s18, s25
	s_cbranch_scc1 .LBB33_50
.LBB33_37:                              ;   Parent Loop BB33_3 Depth=1
                                        ;     Parent Loop BB33_34 Depth=2
                                        ; =>    This Loop Header: Depth=3
                                        ;         Child Loop BB33_38 Depth 4
                                        ;         Child Loop BB33_41 Depth 4
                                        ;           Child Loop BB33_42 Depth 5
                                        ;         Child Loop BB33_47 Depth 4
                                        ;           Child Loop BB33_49 Depth 5
	v_mov_b32_e32 v35, v34
	s_mov_b64 s[18:19], 0
.LBB33_38:                              ;   Parent Loop BB33_3 Depth=1
                                        ;     Parent Loop BB33_34 Depth=2
                                        ;       Parent Loop BB33_37 Depth=3
                                        ; =>      This Inner Loop Header: Depth=4
	ds_load_b32 v36, v35
	v_add_nc_u32_e32 v35, 0x70, v35
	s_wait_alu 0xfffe
	s_mov_b32 m0, s18
	s_add_nc_u64 s[18:19], s[18:19], 1
	s_wait_alu 0xfffe
	s_cmp_eq_u32 s31, s18
	s_wait_dscnt 0x0
	v_movreld_b32_e32 v2, v36
	s_cbranch_scc0 .LBB33_38
; %bb.39:                               ;   in Loop: Header=BB33_37 Depth=3
	s_cmp_lt_i32 s3, 1
	s_cbranch_scc1 .LBB33_44
; %bb.40:                               ;   in Loop: Header=BB33_37 Depth=3
	s_mov_b32 s20, 0
	s_mov_b32 s21, s34
.LBB33_41:                              ;   Parent Loop BB33_3 Depth=1
                                        ;     Parent Loop BB33_34 Depth=2
                                        ;       Parent Loop BB33_37 Depth=3
                                        ; =>      This Loop Header: Depth=4
                                        ;           Child Loop BB33_42 Depth 5
	s_wait_alu 0xfffe
	v_mad_co_u64_u32 v[35:36], null, 0x70, s20, v[66:67]
	s_mov_b64 s[18:19], 0
	s_mov_b32 s38, s21
	ds_load_b32 v35, v35
.LBB33_42:                              ;   Parent Loop BB33_3 Depth=1
                                        ;     Parent Loop BB33_34 Depth=2
                                        ;       Parent Loop BB33_37 Depth=3
                                        ;         Parent Loop BB33_41 Depth=4
                                        ; =>        This Inner Loop Header: Depth=5
	s_wait_alu 0xfffe
	v_mov_b32_e32 v36, s38
	s_mov_b32 m0, s18
	s_add_nc_u64 s[18:19], s[18:19], 1
	v_movrels_b32_e32 v37, v2
	s_add_co_i32 s38, s38, 4
	ds_load_b32 v36, v36
	s_wait_alu 0xfffe
	s_cmp_eq_u32 s31, s18
	s_wait_dscnt 0x0
	v_fma_f32 v36, -v35, v36, v37
	s_delay_alu instid0(VALU_DEP_1)
	v_movreld_b32_e32 v2, v36
	s_cbranch_scc0 .LBB33_42
; %bb.43:                               ;   in Loop: Header=BB33_41 Depth=4
	s_add_co_i32 s20, s20, 1
	s_addk_co_i32 s21, 0x70
	s_wait_alu 0xfffe
	s_cmp_eq_u32 s20, s3
	s_cbranch_scc0 .LBB33_41
.LBB33_44:                              ;   in Loop: Header=BB33_37 Depth=3
	s_mov_b64 s[18:19], 0
	s_mov_b32 s38, s36
	s_branch .LBB33_47
.LBB33_45:                              ;   in Loop: Header=BB33_47 Depth=4
	s_mov_b64 s[20:21], s[18:19]
.LBB33_46:                              ;   in Loop: Header=BB33_47 Depth=4
	s_wait_alu 0xfffe
	s_mov_b32 m0, s20
	s_add_co_i32 s20, s18, s3
	v_movrels_b32_e32 v36, v2
	s_wait_alu 0xfffe
	s_mul_i32 s21, s20, 0x74
	s_add_nc_u64 s[18:19], s[18:19], 1
	s_wait_alu 0xfffe
	v_mov_b32_e32 v35, s21
	s_add_co_i32 s38, s38, 4
	s_cmp_eq_u32 s18, s31
	ds_load_b32 v35, v35
	s_wait_dscnt 0x0
	v_mul_f32_e32 v37, v36, v35
	v_mad_co_u64_u32 v[35:36], null, 0x70, s20, v[66:67]
	s_delay_alu instid0(VALU_DEP_2)
	v_movreld_b32_e32 v2, v37
	ds_store_b32 v35, v37
	s_cbranch_scc1 .LBB33_36
.LBB33_47:                              ;   Parent Loop BB33_3 Depth=1
                                        ;     Parent Loop BB33_34 Depth=2
                                        ;       Parent Loop BB33_37 Depth=3
                                        ; =>      This Loop Header: Depth=4
                                        ;           Child Loop BB33_49 Depth 5
	s_mov_b64 s[20:21], 0
	s_wait_alu 0xfffe
	s_cmp_eq_u32 s18, 0
	s_cbranch_scc1 .LBB33_46
; %bb.48:                               ;   in Loop: Header=BB33_47 Depth=4
	s_mov_b32 s39, s38
.LBB33_49:                              ;   Parent Loop BB33_3 Depth=1
                                        ;     Parent Loop BB33_34 Depth=2
                                        ;       Parent Loop BB33_37 Depth=3
                                        ;         Parent Loop BB33_47 Depth=4
                                        ; =>        This Inner Loop Header: Depth=5
	s_wait_alu 0xfffe
	v_mov_b32_e32 v35, s39
	s_mov_b32 m0, s20
	s_add_nc_u64 s[20:21], s[20:21], 1
	v_movrels_b32_e32 v36, v2
	s_mov_b32 m0, s18
	ds_load_b32 v35, v35
	v_movrels_b32_e32 v37, v2
	s_addk_co_i32 s39, 0x70
	s_wait_alu 0xfffe
	s_cmp_eq_u32 s18, s20
	s_wait_dscnt 0x0
	v_fma_f32 v35, -v36, v35, v37
	s_delay_alu instid0(VALU_DEP_1)
	v_movreld_b32_e32 v2, v35
	s_cbranch_scc0 .LBB33_49
	s_branch .LBB33_45
.LBB33_50:                              ;   in Loop: Header=BB33_34 Depth=2
	s_cmp_lt_i32 s3, s25
	s_cselect_b32 s19, -1, 0
	s_add_co_i32 s18, s16, 1
	s_cmp_lt_u32 s16, 2
	s_cselect_b32 s16, -1, 0
	s_wait_alu 0xfffe
	s_and_b32 s16, s19, s16
	s_delay_alu instid0(SALU_CYCLE_1)
	s_and_not1_b32 vcc_lo, exec_lo, s16
	s_wait_alu 0xfffe
	s_cbranch_vccnz .LBB33_52
; %bb.51:                               ;   in Loop: Header=BB33_34 Depth=2
	s_mov_b32 s16, s18
	s_branch .LBB33_34
.LBB33_52:                              ;   in Loop: Header=BB33_3 Depth=1
	v_dual_mov_b32 v65, v33 :: v_dual_mov_b32 v64, v32
	v_dual_mov_b32 v63, v31 :: v_dual_mov_b32 v62, v30
	;; [unrolled: 1-line block ×16, first 2 shown]
.LBB33_53:                              ;   in Loop: Header=BB33_3 Depth=1
	; wave barrier
	s_wait_loadcnt_dscnt 0x0
	global_inv scope:SCOPE_SE
	s_and_saveexec_b32 s3, s29
	s_cbranch_execz .LBB33_2
; %bb.54:                               ;   in Loop: Header=BB33_3 Depth=1
	v_add_co_u32 v2, vcc_lo, v71, v67
	s_wait_alu 0xfffd
	v_add_co_ci_u32_e64 v3, null, v72, v68, vcc_lo
	v_mov_b32_e32 v4, v66
	s_mov_b32 s16, s25
.LBB33_55:                              ;   Parent Loop BB33_3 Depth=1
                                        ; =>  This Inner Loop Header: Depth=2
	ds_load_b32 v5, v4
	v_add_nc_u32_e32 v4, 0x70, v4
	s_add_co_i32 s16, s16, -1
	s_delay_alu instid0(SALU_CYCLE_1)
	s_cmp_lg_u32 s16, 0
	s_wait_dscnt 0x0
	flat_store_b32 v[2:3], v5
	v_add_co_u32 v2, vcc_lo, v2, 4
	s_wait_alu 0xfffd
	v_add_co_ci_u32_e64 v3, null, 0, v3, vcc_lo
	s_cbranch_scc1 .LBB33_55
	s_branch .LBB33_2
.LBB33_56:
	s_endpgm
	.section	.rodata,"a",@progbits
	.p2align	6, 0x0
	.amdhsa_kernel _ZL38rocblas_trsm_small_left_device_sharedBILi28ELi28ELb1EffPKPKfPKPfEv13rocblas_fill_18rocblas_operation_17rocblas_diagonal_iiT3_T4_lilT5_lili
		.amdhsa_group_segment_fixed_size 6272
		.amdhsa_private_segment_fixed_size 0
		.amdhsa_kernarg_size 352
		.amdhsa_user_sgpr_count 2
		.amdhsa_user_sgpr_dispatch_ptr 0
		.amdhsa_user_sgpr_queue_ptr 0
		.amdhsa_user_sgpr_kernarg_segment_ptr 1
		.amdhsa_user_sgpr_dispatch_id 0
		.amdhsa_user_sgpr_private_segment_size 0
		.amdhsa_wavefront_size32 1
		.amdhsa_uses_dynamic_stack 0
		.amdhsa_enable_private_segment 0
		.amdhsa_system_sgpr_workgroup_id_x 1
		.amdhsa_system_sgpr_workgroup_id_y 0
		.amdhsa_system_sgpr_workgroup_id_z 1
		.amdhsa_system_sgpr_workgroup_info 0
		.amdhsa_system_vgpr_workitem_id 0
		.amdhsa_next_free_vgpr 241
		.amdhsa_next_free_sgpr 43
		.amdhsa_reserve_vcc 1
		.amdhsa_float_round_mode_32 0
		.amdhsa_float_round_mode_16_64 0
		.amdhsa_float_denorm_mode_32 3
		.amdhsa_float_denorm_mode_16_64 3
		.amdhsa_fp16_overflow 0
		.amdhsa_workgroup_processor_mode 1
		.amdhsa_memory_ordered 1
		.amdhsa_forward_progress 1
		.amdhsa_inst_pref_size 23
		.amdhsa_round_robin_scheduling 0
		.amdhsa_exception_fp_ieee_invalid_op 0
		.amdhsa_exception_fp_denorm_src 0
		.amdhsa_exception_fp_ieee_div_zero 0
		.amdhsa_exception_fp_ieee_overflow 0
		.amdhsa_exception_fp_ieee_underflow 0
		.amdhsa_exception_fp_ieee_inexact 0
		.amdhsa_exception_int_div_zero 0
	.end_amdhsa_kernel
	.section	.text._ZL38rocblas_trsm_small_left_device_sharedBILi28ELi28ELb1EffPKPKfPKPfEv13rocblas_fill_18rocblas_operation_17rocblas_diagonal_iiT3_T4_lilT5_lili,"axG",@progbits,_ZL38rocblas_trsm_small_left_device_sharedBILi28ELi28ELb1EffPKPKfPKPfEv13rocblas_fill_18rocblas_operation_17rocblas_diagonal_iiT3_T4_lilT5_lili,comdat
.Lfunc_end33:
	.size	_ZL38rocblas_trsm_small_left_device_sharedBILi28ELi28ELb1EffPKPKfPKPfEv13rocblas_fill_18rocblas_operation_17rocblas_diagonal_iiT3_T4_lilT5_lili, .Lfunc_end33-_ZL38rocblas_trsm_small_left_device_sharedBILi28ELi28ELb1EffPKPKfPKPfEv13rocblas_fill_18rocblas_operation_17rocblas_diagonal_iiT3_T4_lilT5_lili
                                        ; -- End function
	.set _ZL38rocblas_trsm_small_left_device_sharedBILi28ELi28ELb1EffPKPKfPKPfEv13rocblas_fill_18rocblas_operation_17rocblas_diagonal_iiT3_T4_lilT5_lili.num_vgpr, 77
	.set _ZL38rocblas_trsm_small_left_device_sharedBILi28ELi28ELb1EffPKPKfPKPfEv13rocblas_fill_18rocblas_operation_17rocblas_diagonal_iiT3_T4_lilT5_lili.num_agpr, 0
	.set _ZL38rocblas_trsm_small_left_device_sharedBILi28ELi28ELb1EffPKPKfPKPfEv13rocblas_fill_18rocblas_operation_17rocblas_diagonal_iiT3_T4_lilT5_lili.numbered_sgpr, 43
	.set _ZL38rocblas_trsm_small_left_device_sharedBILi28ELi28ELb1EffPKPKfPKPfEv13rocblas_fill_18rocblas_operation_17rocblas_diagonal_iiT3_T4_lilT5_lili.num_named_barrier, 0
	.set _ZL38rocblas_trsm_small_left_device_sharedBILi28ELi28ELb1EffPKPKfPKPfEv13rocblas_fill_18rocblas_operation_17rocblas_diagonal_iiT3_T4_lilT5_lili.private_seg_size, 0
	.set _ZL38rocblas_trsm_small_left_device_sharedBILi28ELi28ELb1EffPKPKfPKPfEv13rocblas_fill_18rocblas_operation_17rocblas_diagonal_iiT3_T4_lilT5_lili.uses_vcc, 1
	.set _ZL38rocblas_trsm_small_left_device_sharedBILi28ELi28ELb1EffPKPKfPKPfEv13rocblas_fill_18rocblas_operation_17rocblas_diagonal_iiT3_T4_lilT5_lili.uses_flat_scratch, 0
	.set _ZL38rocblas_trsm_small_left_device_sharedBILi28ELi28ELb1EffPKPKfPKPfEv13rocblas_fill_18rocblas_operation_17rocblas_diagonal_iiT3_T4_lilT5_lili.has_dyn_sized_stack, 0
	.set _ZL38rocblas_trsm_small_left_device_sharedBILi28ELi28ELb1EffPKPKfPKPfEv13rocblas_fill_18rocblas_operation_17rocblas_diagonal_iiT3_T4_lilT5_lili.has_recursion, 0
	.set _ZL38rocblas_trsm_small_left_device_sharedBILi28ELi28ELb1EffPKPKfPKPfEv13rocblas_fill_18rocblas_operation_17rocblas_diagonal_iiT3_T4_lilT5_lili.has_indirect_call, 0
	.section	.AMDGPU.csdata,"",@progbits
; Kernel info:
; codeLenInByte = 2844
; TotalNumSgprs: 45
; NumVgprs: 77
; ScratchSize: 0
; MemoryBound: 0
; FloatMode: 240
; IeeeMode: 1
; LDSByteSize: 6272 bytes/workgroup (compile time only)
; SGPRBlocks: 0
; VGPRBlocks: 30
; NumSGPRsForWavesPerEU: 45
; NumVGPRsForWavesPerEU: 241
; Occupancy: 5
; WaveLimiterHint : 0
; COMPUTE_PGM_RSRC2:SCRATCH_EN: 0
; COMPUTE_PGM_RSRC2:USER_SGPR: 2
; COMPUTE_PGM_RSRC2:TRAP_HANDLER: 0
; COMPUTE_PGM_RSRC2:TGID_X_EN: 1
; COMPUTE_PGM_RSRC2:TGID_Y_EN: 0
; COMPUTE_PGM_RSRC2:TGID_Z_EN: 1
; COMPUTE_PGM_RSRC2:TIDIG_COMP_CNT: 0
	.section	.text._ZL30rocblas_trsm_small_left_deviceILi28ELi28ELb1EffPKPKfPKPfEv13rocblas_fill_18rocblas_operation_17rocblas_diagonal_iiT3_T4_lilT5_lili,"axG",@progbits,_ZL30rocblas_trsm_small_left_deviceILi28ELi28ELb1EffPKPKfPKPfEv13rocblas_fill_18rocblas_operation_17rocblas_diagonal_iiT3_T4_lilT5_lili,comdat
	.globl	_ZL30rocblas_trsm_small_left_deviceILi28ELi28ELb1EffPKPKfPKPfEv13rocblas_fill_18rocblas_operation_17rocblas_diagonal_iiT3_T4_lilT5_lili ; -- Begin function _ZL30rocblas_trsm_small_left_deviceILi28ELi28ELb1EffPKPKfPKPfEv13rocblas_fill_18rocblas_operation_17rocblas_diagonal_iiT3_T4_lilT5_lili
	.p2align	8
	.type	_ZL30rocblas_trsm_small_left_deviceILi28ELi28ELb1EffPKPKfPKPfEv13rocblas_fill_18rocblas_operation_17rocblas_diagonal_iiT3_T4_lilT5_lili,@function
_ZL30rocblas_trsm_small_left_deviceILi28ELi28ELb1EffPKPKfPKPfEv13rocblas_fill_18rocblas_operation_17rocblas_diagonal_iiT3_T4_lilT5_lili: ; @_ZL30rocblas_trsm_small_left_deviceILi28ELi28ELb1EffPKPKfPKPfEv13rocblas_fill_18rocblas_operation_17rocblas_diagonal_iiT3_T4_lilT5_lili
; %bb.0:
	s_load_b32 s28, s[0:1], 0x58
	s_lshr_b32 s2, ttmp7, 16
	s_wait_kmcnt 0x0
	s_cmp_ge_u32 s2, s28
	s_cbranch_scc1 .LBB34_53
; %bb.1:
	s_clause 0x6
	s_load_b32 s16, s[0:1], 0x28
	s_load_b128 s[12:15], s[0:1], 0x4
	s_load_b32 s3, s[0:1], 0x60
	s_load_b32 s18, s[0:1], 0x48
	s_load_b128 s[4:7], s[0:1], 0x18
	s_load_b128 s[8:11], s[0:1], 0x38
	s_load_b32 s29, s[0:1], 0x14
	v_mad_co_u64_u32 v[2:3], null, ttmp9, 28, v[0:1]
	s_mul_i32 s0, ttmp9, 0xffffffe4
	v_dual_mov_b32 v1, 0 :: v_dual_lshlrev_b32 v72, 2, v0
	v_mul_u32_u24_e32 v29, 0x70, v0
	s_mov_b32 s36, 0
	s_delay_alu instid0(VALU_DEP_2)
	v_dual_mov_b32 v4, v1 :: v_dual_mov_b32 v5, v1
	v_dual_mov_b32 v6, v1 :: v_dual_mov_b32 v7, v1
	s_wait_kmcnt 0x0
	s_ashr_i32 s17, s16, 31
	s_min_i32 s30, s14, 28
	s_add_co_i32 s3, s3, -1
	v_mad_co_i64_i32 v[2:3], null, s18, v2, 0
	s_wait_alu 0xfffe
	s_add_co_i32 s0, s15, s0
	s_add_co_i32 s31, s30, -1
	s_wait_alu 0xfffe
	s_cmp_ge_u32 ttmp9, s3
	v_dual_mov_b32 v8, v1 :: v_dual_mov_b32 v9, v1
	s_cselect_b32 s1, s0, 28
	s_cmp_lg_u32 s13, 0x84
	v_lshlrev_b64_e32 v[66:67], 2, v[2:3]
	s_cselect_b32 s33, -1, 0
	s_cmp_lg_u32 s12, 0x6f
	v_dual_mov_b32 v2, v1 :: v_dual_mov_b32 v3, v1
	s_cselect_b32 s34, -1, 0
	s_lshl_b64 s[10:11], s[10:11], 2
	v_dual_mov_b32 v10, v1 :: v_dual_mov_b32 v11, v1
	v_add_co_u32 v73, vcc_lo, v66, s10
	v_dual_mov_b32 v12, v1 :: v_dual_mov_b32 v13, v1
	v_dual_mov_b32 v14, v1 :: v_dual_mov_b32 v15, v1
	v_dual_mov_b32 v16, v1 :: v_dual_mov_b32 v17, v1
	v_dual_mov_b32 v18, v1 :: v_dual_mov_b32 v19, v1
	v_dual_mov_b32 v20, v1 :: v_dual_mov_b32 v21, v1
	v_dual_mov_b32 v22, v1 :: v_dual_mov_b32 v23, v1
	v_dual_mov_b32 v24, v1 :: v_dual_mov_b32 v25, v1
	v_dual_mov_b32 v26, v1 :: v_dual_mov_b32 v27, v1
	v_dual_mov_b32 v28, v1 :: v_dual_add_nc_u32 v75, v72, v29
	v_cmp_gt_i32_e64 s0, s30, v0
	s_wait_alu 0xfffe
	v_cmp_gt_i32_e64 s1, s1, v0
	v_dual_mov_b32 v33, v32 :: v_dual_lshlrev_b32 v0, 2, v0
	v_add_co_ci_u32_e64 v74, null, s11, v67, vcc_lo
	v_mov_b32_e32 v32, v31
	v_mov_b32_e32 v31, v30
	;; [unrolled: 1-line block ×31, first 2 shown]
	s_lshl_b32 s35, s30, 2
	s_lshl_b64 s[12:13], s[16:17], 2
	s_mov_b32 s15, 0
	s_add_co_i32 s35, s35, -4
	s_lshl_b64 s[6:7], s[6:7], 2
	s_branch .LBB34_5
.LBB34_2:                               ;   in Loop: Header=BB34_5 Depth=1
	v_dual_mov_b32 v65, v33 :: v_dual_mov_b32 v64, v32
	v_dual_mov_b32 v63, v31 :: v_dual_mov_b32 v62, v30
	;; [unrolled: 1-line block ×16, first 2 shown]
.LBB34_3:                               ;   in Loop: Header=BB34_5 Depth=1
	s_add_co_i32 s2, s2, 0x10000
	s_delay_alu instid0(SALU_CYCLE_1) | instskip(SKIP_1) | instid1(SALU_CYCLE_1)
	s_cmp_ge_u32 s2, s28
	s_cselect_b32 s14, -1, 0
	s_or_not1_b32 s14, s14, exec_lo
.LBB34_4:                               ;   in Loop: Header=BB34_5 Depth=1
	s_or_b32 exec_lo, exec_lo, s3
	v_dual_mov_b32 v2, v34 :: v_dual_mov_b32 v3, v35
	v_dual_mov_b32 v4, v36 :: v_dual_mov_b32 v5, v37
	;; [unrolled: 1-line block ×16, first 2 shown]
	s_and_b32 s3, exec_lo, s14
	s_delay_alu instid0(SALU_CYCLE_1) | instskip(NEXT) | instid1(SALU_CYCLE_1)
	s_or_b32 s36, s3, s36
	s_and_not1_b32 exec_lo, exec_lo, s36
	s_cbranch_execz .LBB34_53
.LBB34_5:                               ; =>This Loop Header: Depth=1
                                        ;     Child Loop BB34_7 Depth 2
                                        ;     Child Loop BB34_14 Depth 2
                                        ;       Child Loop BB34_17 Depth 3
                                        ;         Child Loop BB34_18 Depth 4
                                        ;         Child Loop BB34_20 Depth 4
                                        ;           Child Loop BB34_21 Depth 5
                                        ;         Child Loop BB34_26 Depth 4
                                        ;           Child Loop BB34_28 Depth 5
                                        ;     Child Loop BB34_35 Depth 2
                                        ;       Child Loop BB34_38 Depth 3
                                        ;         Child Loop BB34_39 Depth 4
                                        ;         Child Loop BB34_42 Depth 4
                                        ;           Child Loop BB34_43 Depth 5
                                        ;         Child Loop BB34_48 Depth 4
                                        ;           Child Loop BB34_50 Depth 5
	s_mov_b32 s3, s15
	s_delay_alu instid0(SALU_CYCLE_1) | instskip(NEXT) | instid1(SALU_CYCLE_1)
	s_lshl_b64 s[16:17], s[2:3], 3
	s_add_nc_u64 s[18:19], s[8:9], s[16:17]
	global_load_b64 v[68:69], v1, s[18:19]
	s_and_saveexec_b32 s3, s0
	s_cbranch_execz .LBB34_11
; %bb.6:                                ;   in Loop: Header=BB34_5 Depth=1
	s_add_nc_u64 s[16:17], s[4:5], s[16:17]
	v_mov_b32_e32 v36, v72
	global_load_b64 v[34:35], v1, s[16:17]
	s_mov_b32 s14, s30
	s_wait_loadcnt 0x0
	v_add_co_u32 v34, vcc_lo, v34, s6
	s_wait_alu 0xfffd
	v_add_co_ci_u32_e64 v35, null, s7, v35, vcc_lo
	s_delay_alu instid0(VALU_DEP_2) | instskip(SKIP_1) | instid1(VALU_DEP_2)
	v_add_co_u32 v34, vcc_lo, v34, v0
	s_wait_alu 0xfffd
	v_add_co_ci_u32_e64 v35, null, 0, v35, vcc_lo
.LBB34_7:                               ;   Parent Loop BB34_5 Depth=1
                                        ; =>  This Inner Loop Header: Depth=2
	flat_load_b32 v37, v[34:35]
	v_add_co_u32 v34, vcc_lo, v34, s12
	s_wait_alu 0xfffd
	v_add_co_ci_u32_e64 v35, null, s13, v35, vcc_lo
	s_add_co_i32 s14, s14, -1
	s_delay_alu instid0(SALU_CYCLE_1)
	s_cmp_eq_u32 s14, 0
	s_wait_loadcnt_dscnt 0x0
	ds_store_b32 v36, v37
	v_add_nc_u32_e32 v36, 0x70, v36
	s_cbranch_scc0 .LBB34_7
; %bb.8:                                ;   in Loop: Header=BB34_5 Depth=1
	v_mov_b32_e32 v34, 1.0
	s_and_b32 vcc_lo, exec_lo, s33
	s_wait_alu 0xfffe
	s_cbranch_vccz .LBB34_10
; %bb.9:                                ;   in Loop: Header=BB34_5 Depth=1
	ds_load_b32 v34, v75
	s_wait_dscnt 0x0
	v_div_scale_f32 v35, null, v34, v34, 1.0
	s_delay_alu instid0(VALU_DEP_1) | instskip(NEXT) | instid1(TRANS32_DEP_1)
	v_rcp_f32_e32 v36, v35
	v_fma_f32 v37, -v35, v36, 1.0
	s_delay_alu instid0(VALU_DEP_1) | instskip(SKIP_1) | instid1(VALU_DEP_1)
	v_fmac_f32_e32 v36, v37, v36
	v_div_scale_f32 v37, vcc_lo, 1.0, v34, 1.0
	v_mul_f32_e32 v38, v37, v36
	s_delay_alu instid0(VALU_DEP_1) | instskip(NEXT) | instid1(VALU_DEP_1)
	v_fma_f32 v39, -v35, v38, v37
	v_fmac_f32_e32 v38, v39, v36
	s_delay_alu instid0(VALU_DEP_1) | instskip(SKIP_1) | instid1(VALU_DEP_1)
	v_fma_f32 v35, -v35, v38, v37
	s_wait_alu 0xfffd
	v_div_fmas_f32 v35, v35, v36, v38
	s_delay_alu instid0(VALU_DEP_1)
	v_div_fixup_f32 v34, v35, v34, 1.0
.LBB34_10:                              ;   in Loop: Header=BB34_5 Depth=1
	ds_store_b32 v75, v34
.LBB34_11:                              ;   in Loop: Header=BB34_5 Depth=1
	s_or_b32 exec_lo, exec_lo, s3
	s_mov_b32 s14, -1
	; wave barrier
	s_wait_loadcnt_dscnt 0x0
	global_inv scope:SCOPE_SE
                                        ; implicit-def: $vgpr34_vgpr35_vgpr36_vgpr37_vgpr38_vgpr39_vgpr40_vgpr41_vgpr42_vgpr43_vgpr44_vgpr45_vgpr46_vgpr47_vgpr48_vgpr49_vgpr50_vgpr51_vgpr52_vgpr53_vgpr54_vgpr55_vgpr56_vgpr57_vgpr58_vgpr59_vgpr60_vgpr61_vgpr62_vgpr63_vgpr64_vgpr65
	s_and_saveexec_b32 s3, s1
	s_cbranch_execz .LBB34_4
; %bb.12:                               ;   in Loop: Header=BB34_5 Depth=1
	v_add_co_u32 v34, vcc_lo, v68, s10
	s_wait_alu 0xfffd
	v_add_co_ci_u32_e64 v35, null, s11, v69, vcc_lo
	s_delay_alu instid0(VALU_DEP_2) | instskip(SKIP_1) | instid1(VALU_DEP_2)
	v_add_co_u32 v76, vcc_lo, v34, v66
	s_wait_alu 0xfffd
	v_add_co_ci_u32_e64 v77, null, v35, v67, vcc_lo
	s_and_not1_b32 vcc_lo, exec_lo, s34
                                        ; implicit-def: $vgpr34_vgpr35_vgpr36_vgpr37_vgpr38_vgpr39_vgpr40_vgpr41_vgpr42_vgpr43_vgpr44_vgpr45_vgpr46_vgpr47_vgpr48_vgpr49_vgpr50_vgpr51_vgpr52_vgpr53_vgpr54_vgpr55_vgpr56_vgpr57_vgpr58_vgpr59_vgpr60_vgpr61_vgpr62_vgpr63_vgpr64_vgpr65
	s_wait_alu 0xfffe
	s_cbranch_vccnz .LBB34_33
; %bb.13:                               ;   in Loop: Header=BB34_5 Depth=1
	v_add_co_u32 v78, vcc_lo, v68, v73
	v_dual_mov_b32 v65, v33 :: v_dual_mov_b32 v64, v32
	v_dual_mov_b32 v63, v31 :: v_dual_mov_b32 v62, v30
	;; [unrolled: 1-line block ×16, first 2 shown]
	s_wait_alu 0xfffd
	v_add_co_ci_u32_e64 v79, null, v69, v74, vcc_lo
	s_mov_b32 s14, 0
	s_mov_b32 s16, s31
.LBB34_14:                              ;   Parent Loop BB34_5 Depth=1
                                        ; =>  This Loop Header: Depth=2
                                        ;       Child Loop BB34_17 Depth 3
                                        ;         Child Loop BB34_18 Depth 4
                                        ;         Child Loop BB34_20 Depth 4
                                        ;           Child Loop BB34_21 Depth 5
                                        ;         Child Loop BB34_26 Depth 4
                                        ;           Child Loop BB34_28 Depth 5
	s_getpc_b64 s[18:19]
	s_wait_alu 0xfffe
	s_sext_i32_i16 s19, s19
	s_add_co_u32 s18, s18, __const._ZL30rocblas_trsm_small_left_deviceILi28ELi28ELb1EffPKPKfPKPfEv13rocblas_fill_18rocblas_operation_17rocblas_diagonal_iiT3_T4_lilT5_lili.step_sizes@rel32@lo+12
	s_wait_alu 0xfffe
	s_add_co_ci_u32 s19, s19, __const._ZL30rocblas_trsm_small_left_deviceILi28ELi28ELb1EffPKPKfPKPfEv13rocblas_fill_18rocblas_operation_17rocblas_diagonal_iiT3_T4_lilT5_lili.step_sizes@rel32@hi+24
	s_lshl_b64 s[20:21], s[14:15], 2
	s_wait_alu 0xfffe
	s_add_nc_u64 s[18:19], s[18:19], s[20:21]
	s_load_b32 s26, s[18:19], 0x0
	s_wait_kmcnt 0x0
	s_add_co_i32 s27, s26, -1
	s_wait_alu 0xfffe
	s_cmp_lt_i32 s16, s27
	s_cbranch_scc1 .LBB34_30
; %bb.15:                               ;   in Loop: Header=BB34_14 Depth=2
	s_mul_i32 s17, s16, 0x70
	s_max_i32 s37, s26, 1
	s_add_co_i32 s38, s35, s17
	s_mul_i32 s39, s26, 0xffffff90
	s_mul_i32 s40, s16, 0x74
	s_mul_i32 s41, s26, 0xffffff8c
	s_branch .LBB34_17
.LBB34_16:                              ;   in Loop: Header=BB34_17 Depth=3
	s_sub_co_i32 s16, s16, s26
	s_add_co_i32 s38, s38, s39
	s_add_co_i32 s40, s40, s41
	s_cmp_lt_i32 s16, s27
	s_cbranch_scc1 .LBB34_30
.LBB34_17:                              ;   Parent Loop BB34_5 Depth=1
                                        ;     Parent Loop BB34_14 Depth=2
                                        ; =>    This Loop Header: Depth=3
                                        ;         Child Loop BB34_18 Depth 4
                                        ;         Child Loop BB34_20 Depth 4
                                        ;           Child Loop BB34_21 Depth 5
                                        ;         Child Loop BB34_26 Depth 4
                                        ;           Child Loop BB34_28 Depth 5
	s_ashr_i32 s17, s16, 31
	s_delay_alu instid0(SALU_CYCLE_1)
	s_lshl_b64 s[18:19], s[16:17], 2
	s_wait_alu 0xfffe
	v_add_co_u32 v70, vcc_lo, v78, s18
	s_wait_alu 0xfffd
	v_add_co_ci_u32_e64 v71, null, s19, v79, vcc_lo
	s_mov_b64 s[18:19], 0
.LBB34_18:                              ;   Parent Loop BB34_5 Depth=1
                                        ;     Parent Loop BB34_14 Depth=2
                                        ;       Parent Loop BB34_17 Depth=3
                                        ; =>      This Inner Loop Header: Depth=4
	flat_load_b32 v80, v[70:71]
	v_add_co_u32 v70, vcc_lo, v70, -4
	s_wait_alu 0xfffd
	v_add_co_ci_u32_e64 v71, null, -1, v71, vcc_lo
	s_wait_alu 0xfffe
	s_mov_b32 m0, s18
	s_add_nc_u64 s[18:19], s[18:19], 1
	s_wait_alu 0xfffe
	s_cmp_eq_u32 s37, s18
	s_wait_loadcnt_dscnt 0x0
	v_mul_f32_e32 v80, s29, v80
	s_delay_alu instid0(VALU_DEP_1)
	v_movreld_b32_e32 v34, v80
	s_cbranch_scc0 .LBB34_18
; %bb.19:                               ;   in Loop: Header=BB34_17 Depth=3
	s_cmp_le_i32 s31, s16
	s_mov_b32 s22, s38
	s_mov_b32 s18, s31
	s_cbranch_scc1 .LBB34_23
.LBB34_20:                              ;   Parent Loop BB34_5 Depth=1
                                        ;     Parent Loop BB34_14 Depth=2
                                        ;       Parent Loop BB34_17 Depth=3
                                        ; =>      This Loop Header: Depth=4
                                        ;           Child Loop BB34_21 Depth 5
	s_wait_alu 0xfffe
	s_ashr_i32 s19, s18, 31
	s_wait_alu 0xfffe
	s_lshl_b64 s[20:21], s[18:19], 2
	s_mov_b32 s19, s22
	s_wait_alu 0xfffe
	v_add_co_u32 v70, vcc_lo, v76, s20
	s_wait_alu 0xfffd
	v_add_co_ci_u32_e64 v71, null, s21, v77, vcc_lo
	s_mov_b64 s[20:21], 0
	flat_load_b32 v70, v[70:71]
.LBB34_21:                              ;   Parent Loop BB34_5 Depth=1
                                        ;     Parent Loop BB34_14 Depth=2
                                        ;       Parent Loop BB34_17 Depth=3
                                        ;         Parent Loop BB34_20 Depth=4
                                        ; =>        This Inner Loop Header: Depth=5
	s_wait_alu 0xfffe
	v_mov_b32_e32 v71, s19
	s_mov_b32 m0, s20
	s_add_nc_u64 s[20:21], s[20:21], 1
	v_movrels_b32_e32 v80, v34
	s_addk_co_i32 s19, 0xff90
	ds_load_b32 v71, v71
	s_wait_alu 0xfffe
	s_cmp_eq_u32 s37, s20
	s_wait_loadcnt_dscnt 0x0
	v_fma_f32 v71, -v70, v71, v80
	s_delay_alu instid0(VALU_DEP_1)
	v_movreld_b32_e32 v34, v71
	s_cbranch_scc0 .LBB34_21
; %bb.22:                               ;   in Loop: Header=BB34_20 Depth=4
	s_add_co_i32 s18, s18, -1
	s_add_co_i32 s22, s22, -4
	s_wait_alu 0xfffe
	s_cmp_le_i32 s18, s16
	s_cbranch_scc0 .LBB34_20
.LBB34_23:                              ;   in Loop: Header=BB34_17 Depth=3
	s_mov_b64 s[18:19], 0
	s_mov_b32 s42, s40
	s_branch .LBB34_26
.LBB34_24:                              ;   in Loop: Header=BB34_26 Depth=4
	s_mov_b32 s22, s16
	s_mov_b64 s[20:21], 0
	s_mov_b64 s[24:25], s[16:17]
.LBB34_25:                              ;   in Loop: Header=BB34_26 Depth=4
	s_wait_alu 0xfffe
	s_mov_b32 m0, s20
	s_mul_i32 s20, s22, 0x74
	v_movrels_b32_e32 v71, v34
	s_wait_alu 0xfffe
	v_mov_b32_e32 v70, s20
	s_lshl_b64 s[20:21], s[24:25], 2
	s_add_nc_u64 s[18:19], s[18:19], 1
	s_addk_co_i32 s42, 0xff90
	s_wait_alu 0xfffe
	s_cmp_eq_u32 s18, s37
	ds_load_b32 v70, v70
	s_wait_dscnt 0x0
	v_mul_f32_e32 v80, v71, v70
	v_add_co_u32 v70, vcc_lo, v76, s20
	s_wait_alu 0xfffd
	v_add_co_ci_u32_e64 v71, null, s21, v77, vcc_lo
	s_delay_alu instid0(VALU_DEP_3)
	v_movreld_b32_e32 v34, v80
	flat_store_b32 v[70:71], v80
	s_cbranch_scc1 .LBB34_16
.LBB34_26:                              ;   Parent Loop BB34_5 Depth=1
                                        ;     Parent Loop BB34_14 Depth=2
                                        ;       Parent Loop BB34_17 Depth=3
                                        ; =>      This Loop Header: Depth=4
                                        ;           Child Loop BB34_28 Depth 5
	s_wait_alu 0xfffe
	s_cmp_eq_u32 s18, 0
	s_cbranch_scc1 .LBB34_24
; %bb.27:                               ;   in Loop: Header=BB34_26 Depth=4
	s_mov_b64 s[20:21], s[18:19]
	s_mov_b64 s[22:23], 0
	s_mov_b32 s21, s42
.LBB34_28:                              ;   Parent Loop BB34_5 Depth=1
                                        ;     Parent Loop BB34_14 Depth=2
                                        ;       Parent Loop BB34_17 Depth=3
                                        ;         Parent Loop BB34_26 Depth=4
                                        ; =>        This Inner Loop Header: Depth=5
	s_wait_alu 0xfffe
	v_mov_b32_e32 v70, s21
	s_mov_b32 m0, s22
	s_add_nc_u64 s[22:23], s[22:23], 1
	v_movrels_b32_e32 v71, v34
	s_mov_b32 m0, s18
	ds_load_b32 v70, v70
	v_movrels_b32_e32 v80, v34
	s_add_co_i32 s21, s21, -4
	s_wait_alu 0xfffe
	s_cmp_eq_u32 s18, s22
	s_wait_dscnt 0x0
	v_fma_f32 v70, -v71, v70, v80
	s_delay_alu instid0(VALU_DEP_1)
	v_movreld_b32_e32 v34, v70
	s_cbranch_scc0 .LBB34_28
; %bb.29:                               ;   in Loop: Header=BB34_26 Depth=4
	s_sub_co_i32 s22, s16, s18
	s_wait_alu 0xfffe
	s_ashr_i32 s23, s22, 31
	s_wait_alu 0xfffe
	s_mov_b64 s[24:25], s[22:23]
	s_branch .LBB34_25
.LBB34_30:                              ;   in Loop: Header=BB34_14 Depth=2
	s_cmp_gt_i32 s16, -1
	s_cselect_b32 s18, -1, 0
	s_add_co_i32 s17, s14, 1
	s_cmp_lt_u32 s14, 2
	s_cselect_b32 s14, -1, 0
	s_wait_alu 0xfffe
	s_and_b32 s14, s18, s14
	s_delay_alu instid0(SALU_CYCLE_1)
	s_and_b32 vcc_lo, exec_lo, s14
	s_wait_alu 0xfffe
	s_cbranch_vccz .LBB34_32
; %bb.31:                               ;   in Loop: Header=BB34_14 Depth=2
	s_mov_b32 s14, s17
	s_branch .LBB34_14
.LBB34_32:                              ;   in Loop: Header=BB34_5 Depth=1
	s_mov_b32 s14, 0
.LBB34_33:                              ;   in Loop: Header=BB34_5 Depth=1
	s_delay_alu instid0(SALU_CYCLE_1)
	s_and_b32 vcc_lo, exec_lo, s14
	s_wait_alu 0xfffe
	s_cbranch_vccz .LBB34_3
; %bb.34:                               ;   in Loop: Header=BB34_5 Depth=1
	v_add_co_u32 v38, vcc_lo, v68, v73
	s_wait_alu 0xfffd
	v_add_co_ci_u32_e64 v39, null, v69, v74, vcc_lo
	s_mov_b32 s16, 0
	s_mov_b32 s18, 0
.LBB34_35:                              ;   Parent Loop BB34_5 Depth=1
                                        ; =>  This Loop Header: Depth=2
                                        ;       Child Loop BB34_38 Depth 3
                                        ;         Child Loop BB34_39 Depth 4
                                        ;         Child Loop BB34_42 Depth 4
                                        ;           Child Loop BB34_43 Depth 5
                                        ;         Child Loop BB34_48 Depth 4
                                        ;           Child Loop BB34_50 Depth 5
	s_mov_b32 s19, s15
	s_getpc_b64 s[20:21]
	s_wait_alu 0xfffe
	s_sext_i32_i16 s21, s21
	s_add_co_u32 s20, s20, __const._ZL30rocblas_trsm_small_left_deviceILi28ELi28ELb1EffPKPKfPKPfEv13rocblas_fill_18rocblas_operation_17rocblas_diagonal_iiT3_T4_lilT5_lili.step_sizes@rel32@lo+12
	s_wait_alu 0xfffe
	s_add_co_ci_u32 s21, s21, __const._ZL30rocblas_trsm_small_left_deviceILi28ELi28ELb1EffPKPKfPKPfEv13rocblas_fill_18rocblas_operation_17rocblas_diagonal_iiT3_T4_lilT5_lili.step_sizes@rel32@hi+24
	s_lshl_b64 s[22:23], s[18:19], 2
	s_wait_alu 0xfffe
	s_add_nc_u64 s[20:21], s[20:21], s[22:23]
	s_load_b32 s20, s[20:21], 0x0
	s_wait_kmcnt 0x0
	s_add_co_i32 s19, s20, -1
	s_wait_alu 0xfffe
	s_add_co_i32 s14, s19, s16
	s_delay_alu instid0(SALU_CYCLE_1)
	s_cmp_ge_i32 s14, s30
	s_cbranch_scc1 .LBB34_51
; %bb.36:                               ;   in Loop: Header=BB34_35 Depth=2
	s_ashr_i32 s17, s16, 31
	s_ashr_i32 s21, s20, 31
	s_lshl_b64 s[22:23], s[16:17], 2
	s_max_i32 s37, s20, 1
	s_wait_alu 0xfffe
	v_add_co_u32 v34, vcc_lo, v38, s22
	s_wait_alu 0xfffd
	v_add_co_ci_u32_e64 v35, null, s23, v39, vcc_lo
	s_lshl_b64 s[22:23], s[20:21], 2
	s_lshl_b32 s17, s16, 2
	s_lshl_b32 s21, s20, 2
	s_mul_i32 s38, s16, 0x74
	s_mul_i32 s39, s20, 0x74
	s_branch .LBB34_38
.LBB34_37:                              ;   in Loop: Header=BB34_38 Depth=3
	v_add_co_u32 v34, vcc_lo, v34, s22
	s_add_co_i32 s16, s16, s20
	s_wait_alu 0xfffd
	v_add_co_ci_u32_e64 v35, null, s23, v35, vcc_lo
	s_add_co_i32 s14, s19, s16
	s_add_co_i32 s17, s17, s21
	;; [unrolled: 1-line block ×3, first 2 shown]
	s_cmp_ge_i32 s14, s30
	s_cbranch_scc1 .LBB34_51
.LBB34_38:                              ;   Parent Loop BB34_5 Depth=1
                                        ;     Parent Loop BB34_35 Depth=2
                                        ; =>    This Loop Header: Depth=3
                                        ;         Child Loop BB34_39 Depth 4
                                        ;         Child Loop BB34_42 Depth 4
                                        ;           Child Loop BB34_43 Depth 5
                                        ;         Child Loop BB34_48 Depth 4
                                        ;           Child Loop BB34_50 Depth 5
	v_dual_mov_b32 v37, v35 :: v_dual_mov_b32 v36, v34
	s_mov_b64 s[24:25], 0
.LBB34_39:                              ;   Parent Loop BB34_5 Depth=1
                                        ;     Parent Loop BB34_35 Depth=2
                                        ;       Parent Loop BB34_38 Depth=3
                                        ; =>      This Inner Loop Header: Depth=4
	flat_load_b32 v40, v[36:37]
	v_add_co_u32 v36, vcc_lo, v36, 4
	s_wait_alu 0xfffd
	v_add_co_ci_u32_e64 v37, null, 0, v37, vcc_lo
	s_wait_alu 0xfffe
	s_mov_b32 m0, s24
	s_add_nc_u64 s[24:25], s[24:25], 1
	s_wait_alu 0xfffe
	s_cmp_eq_u32 s37, s24
	s_wait_loadcnt_dscnt 0x0
	v_mul_f32_e32 v40, s29, v40
	s_delay_alu instid0(VALU_DEP_1)
	v_movreld_b32_e32 v2, v40
	s_cbranch_scc0 .LBB34_39
; %bb.40:                               ;   in Loop: Header=BB34_38 Depth=3
	s_cmp_lt_i32 s16, 1
	s_cbranch_scc1 .LBB34_45
; %bb.41:                               ;   in Loop: Header=BB34_38 Depth=3
	s_mov_b32 s14, 0
	s_mov_b32 s26, s17
.LBB34_42:                              ;   Parent Loop BB34_5 Depth=1
                                        ;     Parent Loop BB34_35 Depth=2
                                        ;       Parent Loop BB34_38 Depth=3
                                        ; =>      This Loop Header: Depth=4
                                        ;           Child Loop BB34_43 Depth 5
	s_lshl_b64 s[24:25], s[14:15], 2
	s_wait_alu 0xfffe
	s_mov_b32 s27, s26
	v_add_co_u32 v36, vcc_lo, v76, s24
	s_wait_alu 0xfffd
	v_add_co_ci_u32_e64 v37, null, s25, v77, vcc_lo
	s_mov_b64 s[24:25], 0
	flat_load_b32 v36, v[36:37]
.LBB34_43:                              ;   Parent Loop BB34_5 Depth=1
                                        ;     Parent Loop BB34_35 Depth=2
                                        ;       Parent Loop BB34_38 Depth=3
                                        ;         Parent Loop BB34_42 Depth=4
                                        ; =>        This Inner Loop Header: Depth=5
	s_wait_alu 0xfffe
	v_mov_b32_e32 v37, s27
	s_mov_b32 m0, s24
	s_add_nc_u64 s[24:25], s[24:25], 1
	v_movrels_b32_e32 v40, v2
	s_add_co_i32 s27, s27, 4
	ds_load_b32 v37, v37
	s_wait_alu 0xfffe
	s_cmp_eq_u32 s37, s24
	s_wait_loadcnt_dscnt 0x0
	v_fma_f32 v37, -v36, v37, v40
	s_delay_alu instid0(VALU_DEP_1)
	v_movreld_b32_e32 v2, v37
	s_cbranch_scc0 .LBB34_43
; %bb.44:                               ;   in Loop: Header=BB34_42 Depth=4
	s_add_co_i32 s14, s14, 1
	s_addk_co_i32 s26, 0x70
	s_cmp_eq_u32 s14, s16
	s_cbranch_scc0 .LBB34_42
.LBB34_45:                              ;   in Loop: Header=BB34_38 Depth=3
	s_mov_b64 s[24:25], 0
	s_mov_b32 s14, s38
	s_branch .LBB34_48
.LBB34_46:                              ;   in Loop: Header=BB34_48 Depth=4
	s_mov_b64 s[26:27], s[24:25]
.LBB34_47:                              ;   in Loop: Header=BB34_48 Depth=4
	s_wait_alu 0xfffe
	s_mov_b32 m0, s26
	s_add_co_i32 s26, s24, s16
	v_movrels_b32_e32 v37, v2
	s_wait_alu 0xfffe
	s_mul_i32 s27, s26, 0x74
	s_add_nc_u64 s[24:25], s[24:25], 1
	s_wait_alu 0xfffe
	v_mov_b32_e32 v36, s27
	s_ashr_i32 s27, s26, 31
	s_add_co_i32 s14, s14, 4
	s_wait_alu 0xfffe
	s_lshl_b64 s[26:27], s[26:27], 2
	s_cmp_eq_u32 s24, s37
	ds_load_b32 v36, v36
	s_wait_dscnt 0x0
	v_mul_f32_e32 v40, v37, v36
	s_wait_alu 0xfffe
	v_add_co_u32 v36, vcc_lo, v76, s26
	s_wait_alu 0xfffd
	v_add_co_ci_u32_e64 v37, null, s27, v77, vcc_lo
	v_movreld_b32_e32 v2, v40
	flat_store_b32 v[36:37], v40
	s_cbranch_scc1 .LBB34_37
.LBB34_48:                              ;   Parent Loop BB34_5 Depth=1
                                        ;     Parent Loop BB34_35 Depth=2
                                        ;       Parent Loop BB34_38 Depth=3
                                        ; =>      This Loop Header: Depth=4
                                        ;           Child Loop BB34_50 Depth 5
	s_mov_b64 s[26:27], 0
	s_wait_alu 0xfffe
	s_cmp_eq_u32 s24, 0
	s_cbranch_scc1 .LBB34_47
; %bb.49:                               ;   in Loop: Header=BB34_48 Depth=4
	s_mov_b32 s40, s14
.LBB34_50:                              ;   Parent Loop BB34_5 Depth=1
                                        ;     Parent Loop BB34_35 Depth=2
                                        ;       Parent Loop BB34_38 Depth=3
                                        ;         Parent Loop BB34_48 Depth=4
                                        ; =>        This Inner Loop Header: Depth=5
	s_wait_alu 0xfffe
	v_mov_b32_e32 v36, s40
	s_mov_b32 m0, s26
	s_add_nc_u64 s[26:27], s[26:27], 1
	v_movrels_b32_e32 v37, v2
	s_mov_b32 m0, s24
	ds_load_b32 v36, v36
	v_movrels_b32_e32 v40, v2
	s_addk_co_i32 s40, 0x70
	s_wait_alu 0xfffe
	s_cmp_eq_u32 s24, s26
	s_wait_dscnt 0x0
	v_fma_f32 v36, -v37, v36, v40
	s_delay_alu instid0(VALU_DEP_1)
	v_movreld_b32_e32 v2, v36
	s_cbranch_scc0 .LBB34_50
	s_branch .LBB34_46
.LBB34_51:                              ;   in Loop: Header=BB34_35 Depth=2
	s_cmp_lt_i32 s16, s30
	s_cselect_b32 s17, -1, 0
	s_add_co_i32 s14, s18, 1
	s_cmp_lt_u32 s18, 2
	s_cselect_b32 s18, -1, 0
	s_wait_alu 0xfffe
	s_and_b32 s17, s17, s18
	s_delay_alu instid0(SALU_CYCLE_1)
	s_and_not1_b32 vcc_lo, exec_lo, s17
	s_wait_alu 0xfffe
	s_cbranch_vccnz .LBB34_2
; %bb.52:                               ;   in Loop: Header=BB34_35 Depth=2
	s_mov_b32 s18, s14
	s_branch .LBB34_35
.LBB34_53:
	s_endpgm
	.section	.rodata,"a",@progbits
	.p2align	6, 0x0
	.amdhsa_kernel _ZL30rocblas_trsm_small_left_deviceILi28ELi28ELb1EffPKPKfPKPfEv13rocblas_fill_18rocblas_operation_17rocblas_diagonal_iiT3_T4_lilT5_lili
		.amdhsa_group_segment_fixed_size 3136
		.amdhsa_private_segment_fixed_size 0
		.amdhsa_kernarg_size 352
		.amdhsa_user_sgpr_count 2
		.amdhsa_user_sgpr_dispatch_ptr 0
		.amdhsa_user_sgpr_queue_ptr 0
		.amdhsa_user_sgpr_kernarg_segment_ptr 1
		.amdhsa_user_sgpr_dispatch_id 0
		.amdhsa_user_sgpr_private_segment_size 0
		.amdhsa_wavefront_size32 1
		.amdhsa_uses_dynamic_stack 0
		.amdhsa_enable_private_segment 0
		.amdhsa_system_sgpr_workgroup_id_x 1
		.amdhsa_system_sgpr_workgroup_id_y 0
		.amdhsa_system_sgpr_workgroup_id_z 1
		.amdhsa_system_sgpr_workgroup_info 0
		.amdhsa_system_vgpr_workitem_id 0
		.amdhsa_next_free_vgpr 97
		.amdhsa_next_free_sgpr 43
		.amdhsa_reserve_vcc 1
		.amdhsa_float_round_mode_32 0
		.amdhsa_float_round_mode_16_64 0
		.amdhsa_float_denorm_mode_32 3
		.amdhsa_float_denorm_mode_16_64 3
		.amdhsa_fp16_overflow 0
		.amdhsa_workgroup_processor_mode 1
		.amdhsa_memory_ordered 1
		.amdhsa_forward_progress 1
		.amdhsa_inst_pref_size 23
		.amdhsa_round_robin_scheduling 0
		.amdhsa_exception_fp_ieee_invalid_op 0
		.amdhsa_exception_fp_denorm_src 0
		.amdhsa_exception_fp_ieee_div_zero 0
		.amdhsa_exception_fp_ieee_overflow 0
		.amdhsa_exception_fp_ieee_underflow 0
		.amdhsa_exception_fp_ieee_inexact 0
		.amdhsa_exception_int_div_zero 0
	.end_amdhsa_kernel
	.section	.text._ZL30rocblas_trsm_small_left_deviceILi28ELi28ELb1EffPKPKfPKPfEv13rocblas_fill_18rocblas_operation_17rocblas_diagonal_iiT3_T4_lilT5_lili,"axG",@progbits,_ZL30rocblas_trsm_small_left_deviceILi28ELi28ELb1EffPKPKfPKPfEv13rocblas_fill_18rocblas_operation_17rocblas_diagonal_iiT3_T4_lilT5_lili,comdat
.Lfunc_end34:
	.size	_ZL30rocblas_trsm_small_left_deviceILi28ELi28ELb1EffPKPKfPKPfEv13rocblas_fill_18rocblas_operation_17rocblas_diagonal_iiT3_T4_lilT5_lili, .Lfunc_end34-_ZL30rocblas_trsm_small_left_deviceILi28ELi28ELb1EffPKPKfPKPfEv13rocblas_fill_18rocblas_operation_17rocblas_diagonal_iiT3_T4_lilT5_lili
                                        ; -- End function
	.set _ZL30rocblas_trsm_small_left_deviceILi28ELi28ELb1EffPKPKfPKPfEv13rocblas_fill_18rocblas_operation_17rocblas_diagonal_iiT3_T4_lilT5_lili.num_vgpr, 81
	.set _ZL30rocblas_trsm_small_left_deviceILi28ELi28ELb1EffPKPKfPKPfEv13rocblas_fill_18rocblas_operation_17rocblas_diagonal_iiT3_T4_lilT5_lili.num_agpr, 0
	.set _ZL30rocblas_trsm_small_left_deviceILi28ELi28ELb1EffPKPKfPKPfEv13rocblas_fill_18rocblas_operation_17rocblas_diagonal_iiT3_T4_lilT5_lili.numbered_sgpr, 43
	.set _ZL30rocblas_trsm_small_left_deviceILi28ELi28ELb1EffPKPKfPKPfEv13rocblas_fill_18rocblas_operation_17rocblas_diagonal_iiT3_T4_lilT5_lili.num_named_barrier, 0
	.set _ZL30rocblas_trsm_small_left_deviceILi28ELi28ELb1EffPKPKfPKPfEv13rocblas_fill_18rocblas_operation_17rocblas_diagonal_iiT3_T4_lilT5_lili.private_seg_size, 0
	.set _ZL30rocblas_trsm_small_left_deviceILi28ELi28ELb1EffPKPKfPKPfEv13rocblas_fill_18rocblas_operation_17rocblas_diagonal_iiT3_T4_lilT5_lili.uses_vcc, 1
	.set _ZL30rocblas_trsm_small_left_deviceILi28ELi28ELb1EffPKPKfPKPfEv13rocblas_fill_18rocblas_operation_17rocblas_diagonal_iiT3_T4_lilT5_lili.uses_flat_scratch, 0
	.set _ZL30rocblas_trsm_small_left_deviceILi28ELi28ELb1EffPKPKfPKPfEv13rocblas_fill_18rocblas_operation_17rocblas_diagonal_iiT3_T4_lilT5_lili.has_dyn_sized_stack, 0
	.set _ZL30rocblas_trsm_small_left_deviceILi28ELi28ELb1EffPKPKfPKPfEv13rocblas_fill_18rocblas_operation_17rocblas_diagonal_iiT3_T4_lilT5_lili.has_recursion, 0
	.set _ZL30rocblas_trsm_small_left_deviceILi28ELi28ELb1EffPKPKfPKPfEv13rocblas_fill_18rocblas_operation_17rocblas_diagonal_iiT3_T4_lilT5_lili.has_indirect_call, 0
	.section	.AMDGPU.csdata,"",@progbits
; Kernel info:
; codeLenInByte = 2840
; TotalNumSgprs: 45
; NumVgprs: 81
; ScratchSize: 0
; MemoryBound: 0
; FloatMode: 240
; IeeeMode: 1
; LDSByteSize: 3136 bytes/workgroup (compile time only)
; SGPRBlocks: 0
; VGPRBlocks: 12
; NumSGPRsForWavesPerEU: 45
; NumVGPRsForWavesPerEU: 97
; Occupancy: 11
; WaveLimiterHint : 1
; COMPUTE_PGM_RSRC2:SCRATCH_EN: 0
; COMPUTE_PGM_RSRC2:USER_SGPR: 2
; COMPUTE_PGM_RSRC2:TRAP_HANDLER: 0
; COMPUTE_PGM_RSRC2:TGID_X_EN: 1
; COMPUTE_PGM_RSRC2:TGID_Y_EN: 0
; COMPUTE_PGM_RSRC2:TGID_Z_EN: 1
; COMPUTE_PGM_RSRC2:TIDIG_COMP_CNT: 0
	.section	.text._ZL31rocblas_trsm_small_right_deviceIffPKPKfPKPfLi28EEv13rocblas_fill_18rocblas_operation_17rocblas_diagonal_iiT0_T1_lilT2_lili,"axG",@progbits,_ZL31rocblas_trsm_small_right_deviceIffPKPKfPKPfLi28EEv13rocblas_fill_18rocblas_operation_17rocblas_diagonal_iiT0_T1_lilT2_lili,comdat
	.globl	_ZL31rocblas_trsm_small_right_deviceIffPKPKfPKPfLi28EEv13rocblas_fill_18rocblas_operation_17rocblas_diagonal_iiT0_T1_lilT2_lili ; -- Begin function _ZL31rocblas_trsm_small_right_deviceIffPKPKfPKPfLi28EEv13rocblas_fill_18rocblas_operation_17rocblas_diagonal_iiT0_T1_lilT2_lili
	.p2align	8
	.type	_ZL31rocblas_trsm_small_right_deviceIffPKPKfPKPfLi28EEv13rocblas_fill_18rocblas_operation_17rocblas_diagonal_iiT0_T1_lilT2_lili,@function
_ZL31rocblas_trsm_small_right_deviceIffPKPKfPKPfLi28EEv13rocblas_fill_18rocblas_operation_17rocblas_diagonal_iiT0_T1_lilT2_lili: ; @_ZL31rocblas_trsm_small_right_deviceIffPKPKfPKPfLi28EEv13rocblas_fill_18rocblas_operation_17rocblas_diagonal_iiT0_T1_lilT2_lili
; %bb.0:
	s_load_b32 s22, s[0:1], 0x58
	s_lshr_b32 s2, ttmp7, 16
	s_wait_kmcnt 0x0
	s_cmp_ge_u32 s2, s22
	s_cbranch_scc1 .LBB35_82
; %bb.1:
	s_clause 0x6
	s_load_b32 s20, s[0:1], 0x28
	s_load_b32 s30, s[0:1], 0x48
	s_load_b128 s[16:19], s[0:1], 0x0
	s_load_b64 s[12:13], s[0:1], 0x10
	s_load_b32 s3, s[0:1], 0x60
	s_load_b128 s[4:7], s[0:1], 0x18
	s_load_b128 s[8:11], s[0:1], 0x38
	s_mul_i32 s0, ttmp9, 0xffffffe4
	v_dual_mov_b32 v7, 0 :: v_dual_lshlrev_b32 v6, 2, v0
	v_mul_u32_u24_e32 v2, 0x70, v0
	v_mov_b32_e32 v11, 1.0
	s_mov_b32 s14, ttmp9
	s_delay_alu instid0(VALU_DEP_3) | instskip(NEXT) | instid1(VALU_DEP_3)
	v_add_nc_u32_e32 v1, 0xc40, v6
	v_add_nc_u32_e32 v10, v6, v2
	s_wait_kmcnt 0x0
	s_ashr_i32 s21, s20, 31
	s_ashr_i32 s31, s30, 31
	s_cmp_lg_u32 s16, 0x7a
	s_cselect_b32 s25, -1, 0
	s_min_i32 s1, s12, 28
	s_add_co_i32 s3, s3, -1
	s_add_co_i32 s0, s19, s0
	s_add_co_i32 s23, s1, -1
	s_cmp_ge_u32 ttmp9, s3
	s_mul_i32 s33, s1, 0x74
	s_cselect_b32 s19, s0, 28
	s_ashr_i32 s15, ttmp9, 31
	s_cmp_eq_u32 s18, 0x84
	v_cmp_gt_i32_e32 vcc_lo, s19, v0
	s_cselect_b32 s24, -1, 0
	s_cmp_gt_i32 s12, 0
	v_cmp_gt_i32_e64 s0, s1, v0
	s_cselect_b32 s18, -1, 0
	s_cmp_lg_u32 s17, 0x6f
	v_lshlrev_b32_e32 v0, 2, v0
	s_cselect_b32 s17, -1, 0
	s_cmp_lg_u32 s16, 0x79
	s_mov_b32 s3, 0
	s_cselect_b32 s16, -1, 0
	s_or_b32 s25, s25, s17
	s_or_b32 s26, s16, s17
	s_cmp_gt_i32 s12, 3
	v_cndmask_b32_e64 v8, 0, 1, s16
	s_cselect_b32 s27, -1, 0
	s_wait_alu 0xfffe
	s_and_b32 s28, vcc_lo, s18
	s_lshl_b64 s[18:19], s[30:31], 2
	s_mul_i32 s31, s1, 0x70
	s_lshl_b32 s35, s1, 2
	v_add3_u32 v9, s31, v6, 0xbd0
	s_mul_u64 s[14:15], s[14:15], 0x70
	s_lshl_b64 s[16:17], s[20:21], 2
	s_add_co_i32 s29, s33, 0xffffff80
	s_add_co_i32 s30, s31, 0xffffff90
	s_addk_co_i32 s31, 0xff8c
	s_addk_co_i32 s33, 0xfe3c
	s_add_co_i32 s34, s35, -4
	s_addk_co_i32 s35, 0xff8c
	s_lshl_b64 s[6:7], s[6:7], 2
	s_lshl_b64 s[10:11], s[10:11], 2
	s_branch .LBB35_3
.LBB35_2:                               ;   in Loop: Header=BB35_3 Depth=1
	s_wait_alu 0xfffe
	s_or_b32 exec_lo, exec_lo, s20
	s_add_co_i32 s2, s2, 0x10000
	s_delay_alu instid0(SALU_CYCLE_1)
	s_cmp_lt_u32 s2, s22
	s_cbranch_scc0 .LBB35_82
.LBB35_3:                               ; =>This Loop Header: Depth=1
                                        ;     Child Loop BB35_5 Depth 2
                                        ;     Child Loop BB35_10 Depth 2
	;; [unrolled: 1-line block ×3, first 2 shown]
                                        ;       Child Loop BB35_17 Depth 3
                                        ;     Child Loop BB35_23 Depth 2
                                        ;       Child Loop BB35_24 Depth 3
                                        ;     Child Loop BB35_28 Depth 2
	;; [unrolled: 2-line block ×3, first 2 shown]
                                        ;     Child Loop BB35_42 Depth 2
                                        ;       Child Loop BB35_43 Depth 3
                                        ;       Child Loop BB35_45 Depth 3
                                        ;     Child Loop BB35_49 Depth 2
                                        ;       Child Loop BB35_50 Depth 3
                                        ;     Child Loop BB35_57 Depth 2
                                        ;     Child Loop BB35_62 Depth 2
                                        ;       Child Loop BB35_63 Depth 3
                                        ;       Child Loop BB35_65 Depth 3
                                        ;     Child Loop BB35_70 Depth 2
                                        ;       Child Loop BB35_71 Depth 3
                                        ;     Child Loop BB35_77 Depth 2
                                        ;       Child Loop BB35_78 Depth 3
                                        ;     Child Loop BB35_81 Depth 2
	s_lshl_b64 s[20:21], s[2:3], 3
	s_wait_alu 0xfffe
	s_add_nc_u64 s[36:37], s[8:9], s[20:21]
	global_load_b64 v[2:3], v7, s[36:37]
	s_and_saveexec_b32 s36, s0
	s_cbranch_execz .LBB35_8
; %bb.4:                                ;   in Loop: Header=BB35_3 Depth=1
	s_add_nc_u64 s[20:21], s[4:5], s[20:21]
	v_mov_b32_e32 v12, v6
	global_load_b64 v[4:5], v7, s[20:21]
	s_mov_b32 s20, s1
	s_wait_loadcnt 0x0
	v_add_co_u32 v4, vcc_lo, v4, s6
	s_wait_alu 0xfffd
	v_add_co_ci_u32_e64 v5, null, s7, v5, vcc_lo
	s_delay_alu instid0(VALU_DEP_2) | instskip(SKIP_1) | instid1(VALU_DEP_2)
	v_add_co_u32 v4, vcc_lo, v4, v0
	s_wait_alu 0xfffd
	v_add_co_ci_u32_e64 v5, null, 0, v5, vcc_lo
.LBB35_5:                               ;   Parent Loop BB35_3 Depth=1
                                        ; =>  This Inner Loop Header: Depth=2
	flat_load_b32 v13, v[4:5]
	s_wait_alu 0xfffe
	v_add_co_u32 v4, vcc_lo, v4, s16
	s_wait_alu 0xfffd
	v_add_co_ci_u32_e64 v5, null, s17, v5, vcc_lo
	s_add_co_i32 s20, s20, -1
	s_wait_alu 0xfffe
	s_cmp_eq_u32 s20, 0
	s_wait_loadcnt_dscnt 0x0
	ds_store_b32 v12, v13
	v_add_nc_u32_e32 v12, 0x70, v12
	s_cbranch_scc0 .LBB35_5
; %bb.6:                                ;   in Loop: Header=BB35_3 Depth=1
	s_and_b32 vcc_lo, exec_lo, s24
	s_wait_alu 0xfffe
	s_cbranch_vccz .LBB35_8
; %bb.7:                                ;   in Loop: Header=BB35_3 Depth=1
	ds_store_b32 v10, v11
.LBB35_8:                               ;   in Loop: Header=BB35_3 Depth=1
	s_wait_alu 0xfffe
	s_or_b32 exec_lo, exec_lo, s36
	s_wait_loadcnt 0x0
	v_add_co_u32 v2, vcc_lo, v2, s10
	s_wait_alu 0xfffd
	v_add_co_ci_u32_e64 v3, null, s11, v3, vcc_lo
	s_delay_alu instid0(VALU_DEP_2) | instskip(SKIP_1) | instid1(VALU_DEP_2)
	v_add_co_u32 v12, vcc_lo, v2, s14
	s_wait_alu 0xfffd
	v_add_co_ci_u32_e64 v13, null, s15, v3, vcc_lo
	s_and_saveexec_b32 s20, s28
	s_cbranch_execz .LBB35_11
; %bb.9:                                ;   in Loop: Header=BB35_3 Depth=1
	v_add_co_u32 v2, vcc_lo, v12, v0
	s_wait_alu 0xfffd
	v_add_co_ci_u32_e64 v3, null, 0, v13, vcc_lo
	v_mov_b32_e32 v4, v1
	s_mov_b32 s21, s12
.LBB35_10:                              ;   Parent Loop BB35_3 Depth=1
                                        ; =>  This Inner Loop Header: Depth=2
	flat_load_b32 v5, v[2:3]
	s_wait_alu 0xfffe
	v_add_co_u32 v2, vcc_lo, v2, s18
	s_wait_alu 0xfffd
	v_add_co_ci_u32_e64 v3, null, s19, v3, vcc_lo
	s_add_co_i32 s21, s21, -1
	s_wait_alu 0xfffe
	s_cmp_lg_u32 s21, 0
	s_wait_loadcnt_dscnt 0x0
	v_mul_f32_e32 v5, s13, v5
	ds_store_b32 v4, v5
	v_add_nc_u32_e32 v4, 0x70, v4
	s_cbranch_scc1 .LBB35_10
.LBB35_11:                              ;   in Loop: Header=BB35_3 Depth=1
	s_wait_alu 0xfffe
	s_or_b32 exec_lo, exec_lo, s20
	s_delay_alu instid0(SALU_CYCLE_1)
	s_and_b32 vcc_lo, exec_lo, s26
	s_mov_b32 s20, -1
	s_wait_dscnt 0x0
	; wave barrier
	global_inv scope:SCOPE_SE
	s_wait_alu 0xfffe
	s_cbranch_vccz .LBB35_67
; %bb.12:                               ;   in Loop: Header=BB35_3 Depth=1
	s_and_b32 vcc_lo, exec_lo, s25
	s_wait_alu 0xfffe
	s_cbranch_vccz .LBB35_47
; %bb.13:                               ;   in Loop: Header=BB35_3 Depth=1
	v_cmp_ne_u32_e32 vcc_lo, 1, v8
	s_cbranch_vccnz .LBB35_26
; %bb.14:                               ;   in Loop: Header=BB35_3 Depth=1
	s_and_not1_b32 vcc_lo, exec_lo, s27
	s_mov_b32 s36, 0
	s_wait_alu 0xfffe
	s_cbranch_vccnz .LBB35_20
; %bb.15:                               ;   in Loop: Header=BB35_3 Depth=1
	s_mov_b32 s20, 0
	s_mov_b32 s21, 0
.LBB35_16:                              ;   Parent Loop BB35_3 Depth=1
                                        ; =>  This Loop Header: Depth=2
                                        ;       Child Loop BB35_17 Depth 3
	s_wait_alu 0xfffe
	v_mad_co_u64_u32 v[2:3], null, 0x70, s21, v[1:2]
	s_or_b32 s36, s21, 3
	s_cmp_eq_u32 s21, 0
	s_wait_alu 0xfffe
	s_mulk_i32 s36, 0x70
	s_wait_alu 0xfffe
	v_dual_mov_b32 v16, v1 :: v_dual_add_nc_u32 v5, s36, v1
	s_mov_b32 s36, s20
	ds_load_2addr_b32 v[3:4], v2 offset1:28
	ds_load_b32 v15, v2 offset:224
	ds_load_b32 v14, v5
	s_mov_b32 s37, s21
	s_cbranch_scc1 .LBB35_18
.LBB35_17:                              ;   Parent Loop BB35_3 Depth=1
                                        ;     Parent Loop BB35_16 Depth=2
                                        ; =>    This Inner Loop Header: Depth=3
	s_wait_alu 0xfffe
	v_mov_b32_e32 v17, s36
	s_add_co_i32 s37, s37, -1
	s_addk_co_i32 s36, 0x70
	s_wait_alu 0xfffe
	s_cmp_eq_u32 s37, 0
	ds_load_b32 v21, v16
	ds_load_b128 v[17:20], v17
	v_add_nc_u32_e32 v16, 0x70, v16
	s_wait_dscnt 0x0
	v_fma_f32 v3, -v21, v17, v3
	v_fma_f32 v4, -v21, v18, v4
	;; [unrolled: 1-line block ×4, first 2 shown]
	s_cbranch_scc0 .LBB35_17
.LBB35_18:                              ;   in Loop: Header=BB35_16 Depth=2
	s_lshl_b32 s36, s21, 2
	s_mul_i32 s37, s21, 0x70
	s_wait_alu 0xfffe
	s_or_b32 s38, s36, 4
	s_add_co_i32 s37, s36, s37
	s_add_co_i32 s20, s20, 16
	s_wait_alu 0xfffe
	v_mov_b32_e32 v22, s37
	s_addk_co_i32 s37, 0x74
	ds_load_b128 v[16:19], v22
	ds_load_2addr_b32 v[20:21], v22 offset0:29 offset1:30
	s_wait_alu 0xfffe
	s_sub_co_i32 s37, s37, s38
	s_wait_alu 0xfffe
	s_add_co_i32 s36, s37, s36
	s_wait_dscnt 0x1
	v_div_scale_f32 v23, null, v16, v16, v3
	v_div_scale_f32 v26, vcc_lo, v3, v16, v3
	s_delay_alu instid0(VALU_DEP_2) | instskip(NEXT) | instid1(TRANS32_DEP_1)
	v_rcp_f32_e32 v24, v23
	v_fma_f32 v25, -v23, v24, 1.0
	s_delay_alu instid0(VALU_DEP_1) | instskip(NEXT) | instid1(VALU_DEP_1)
	v_fmac_f32_e32 v24, v25, v24
	v_mul_f32_e32 v25, v26, v24
	s_delay_alu instid0(VALU_DEP_1) | instskip(NEXT) | instid1(VALU_DEP_1)
	v_fma_f32 v27, -v23, v25, v26
	v_fmac_f32_e32 v25, v27, v24
	s_delay_alu instid0(VALU_DEP_1) | instskip(SKIP_1) | instid1(VALU_DEP_1)
	v_fma_f32 v23, -v23, v25, v26
	s_wait_alu 0xfffd
	v_div_fmas_f32 v23, v23, v24, v25
	s_delay_alu instid0(VALU_DEP_1) | instskip(NEXT) | instid1(VALU_DEP_1)
	v_div_fixup_f32 v16, v23, v16, v3
	v_fma_f32 v17, -v16, v17, v4
	v_fma_f32 v15, -v16, v18, v15
	;; [unrolled: 1-line block ×3, first 2 shown]
	ds_load_b32 v18, v22 offset:348
	s_wait_dscnt 0x1
	v_div_scale_f32 v23, null, v20, v20, v17
	v_div_scale_f32 v25, vcc_lo, v17, v20, v17
	s_delay_alu instid0(VALU_DEP_2) | instskip(NEXT) | instid1(TRANS32_DEP_1)
	v_rcp_f32_e32 v24, v23
	v_fma_f32 v3, -v23, v24, 1.0
	s_delay_alu instid0(VALU_DEP_1) | instskip(NEXT) | instid1(VALU_DEP_1)
	v_fmac_f32_e32 v24, v3, v24
	v_mul_f32_e32 v26, v25, v24
	s_delay_alu instid0(VALU_DEP_1) | instskip(NEXT) | instid1(VALU_DEP_1)
	v_fma_f32 v3, -v23, v26, v25
	v_fmac_f32_e32 v26, v3, v24
	ds_load_b64 v[3:4], v22 offset:232
	v_fma_f32 v23, -v23, v26, v25
	s_wait_alu 0xfffd
	s_delay_alu instid0(VALU_DEP_1) | instskip(NEXT) | instid1(VALU_DEP_1)
	v_div_fmas_f32 v23, v23, v24, v26
	v_div_fixup_f32 v17, v23, v20, v17
	s_delay_alu instid0(VALU_DEP_1) | instskip(SKIP_4) | instid1(VALU_DEP_2)
	v_fma_f32 v15, -v17, v21, v15
	ds_store_2addr_b32 v2, v16, v17 offset1:28
	s_wait_dscnt 0x1
	v_div_scale_f32 v20, null, v3, v3, v15
	v_div_scale_f32 v23, vcc_lo, v15, v3, v15
	v_rcp_f32_e32 v21, v20
	s_delay_alu instid0(TRANS32_DEP_1) | instskip(SKIP_1) | instid1(VALU_DEP_1)
	v_fma_f32 v22, -v20, v21, 1.0
	s_wait_alu 0xfffe
	v_dual_fmac_f32 v21, v22, v21 :: v_dual_mov_b32 v22, s36
	s_add_co_i32 s36, s21, 4
	s_add_co_i32 s21, s21, 7
	s_delay_alu instid0(VALU_DEP_1) | instskip(SKIP_4) | instid1(VALU_DEP_1)
	v_mul_f32_e32 v24, v23, v21
	ds_load_b32 v22, v22 offset:12
	s_wait_alu 0xfffe
	s_cmp_ge_i32 s21, s1
	v_fma_f32 v25, -v20, v24, v23
	v_fmac_f32_e32 v24, v25, v21
	s_delay_alu instid0(VALU_DEP_1) | instskip(SKIP_1) | instid1(VALU_DEP_1)
	v_fma_f32 v20, -v20, v24, v23
	s_wait_alu 0xfffd
	v_div_fmas_f32 v19, v20, v21, v24
	s_wait_dscnt 0x0
	v_fma_f32 v14, -v17, v22, v14
	s_delay_alu instid0(VALU_DEP_2) | instskip(NEXT) | instid1(VALU_DEP_1)
	v_div_fixup_f32 v3, v19, v3, v15
	v_fma_f32 v4, -v3, v4, v14
	s_delay_alu instid0(VALU_DEP_1) | instskip(SKIP_1) | instid1(VALU_DEP_2)
	v_div_scale_f32 v14, null, v18, v18, v4
	v_div_scale_f32 v20, vcc_lo, v4, v18, v4
	v_rcp_f32_e32 v15, v14
	s_delay_alu instid0(TRANS32_DEP_1) | instskip(NEXT) | instid1(VALU_DEP_1)
	v_fma_f32 v19, -v14, v15, 1.0
	v_fmac_f32_e32 v15, v19, v15
	s_delay_alu instid0(VALU_DEP_1) | instskip(NEXT) | instid1(VALU_DEP_1)
	v_mul_f32_e32 v19, v20, v15
	v_fma_f32 v21, -v14, v19, v20
	s_delay_alu instid0(VALU_DEP_1) | instskip(NEXT) | instid1(VALU_DEP_1)
	v_fmac_f32_e32 v19, v21, v15
	v_fma_f32 v14, -v14, v19, v20
	s_wait_alu 0xfffd
	s_delay_alu instid0(VALU_DEP_1) | instskip(NEXT) | instid1(VALU_DEP_1)
	v_div_fmas_f32 v14, v14, v15, v19
	v_div_fixup_f32 v4, v14, v18, v4
	ds_store_b32 v2, v3 offset:224
	ds_store_b32 v5, v4
	s_cbranch_scc1 .LBB35_20
; %bb.19:                               ;   in Loop: Header=BB35_16 Depth=2
	s_mov_b32 s21, s36
	s_branch .LBB35_16
.LBB35_20:                              ;   in Loop: Header=BB35_3 Depth=1
	s_cmp_ge_i32 s36, s1
	s_cbranch_scc1 .LBB35_25
; %bb.21:                               ;   in Loop: Header=BB35_3 Depth=1
	s_lshl_b32 s20, s36, 2
	s_branch .LBB35_23
.LBB35_22:                              ;   in Loop: Header=BB35_23 Depth=2
	s_lshl_b32 s37, s36, 2
	s_add_co_i32 s36, s36, 1
	s_wait_alu 0xfffe
	s_add_co_i32 s21, s37, s21
	s_add_co_i32 s20, s20, 4
	s_wait_alu 0xfffe
	v_mov_b32_e32 v4, s21
	s_cmp_ge_i32 s36, s1
	ds_load_b32 v4, v4
	s_wait_dscnt 0x0
	v_div_scale_f32 v5, null, v4, v4, v3
	s_delay_alu instid0(VALU_DEP_1) | instskip(NEXT) | instid1(TRANS32_DEP_1)
	v_rcp_f32_e32 v14, v5
	v_fma_f32 v15, -v5, v14, 1.0
	s_delay_alu instid0(VALU_DEP_1) | instskip(SKIP_1) | instid1(VALU_DEP_1)
	v_fmac_f32_e32 v14, v15, v14
	v_div_scale_f32 v15, vcc_lo, v3, v4, v3
	v_mul_f32_e32 v16, v15, v14
	s_delay_alu instid0(VALU_DEP_1) | instskip(NEXT) | instid1(VALU_DEP_1)
	v_fma_f32 v17, -v5, v16, v15
	v_fmac_f32_e32 v16, v17, v14
	s_delay_alu instid0(VALU_DEP_1) | instskip(SKIP_1) | instid1(VALU_DEP_1)
	v_fma_f32 v5, -v5, v16, v15
	s_wait_alu 0xfffd
	v_div_fmas_f32 v5, v5, v14, v16
	s_delay_alu instid0(VALU_DEP_1)
	v_div_fixup_f32 v3, v5, v4, v3
	ds_store_b32 v2, v3
	s_cbranch_scc1 .LBB35_25
.LBB35_23:                              ;   Parent Loop BB35_3 Depth=1
                                        ; =>  This Loop Header: Depth=2
                                        ;       Child Loop BB35_24 Depth 3
	s_mul_i32 s21, s36, 0x70
	v_mov_b32_e32 v4, v1
	s_wait_alu 0xfffe
	v_add_nc_u32_e32 v2, s21, v1
	s_cmp_eq_u32 s36, 0
	s_mov_b32 s37, s20
	s_mov_b32 s38, s36
	ds_load_b32 v3, v2
	s_cbranch_scc1 .LBB35_22
.LBB35_24:                              ;   Parent Loop BB35_3 Depth=1
                                        ;     Parent Loop BB35_23 Depth=2
                                        ; =>    This Inner Loop Header: Depth=3
	s_wait_alu 0xfffe
	v_mov_b32_e32 v5, s37
	s_add_co_i32 s38, s38, -1
	s_addk_co_i32 s37, 0x70
	s_wait_alu 0xfffe
	s_cmp_eq_u32 s38, 0
	ds_load_b32 v14, v4
	ds_load_b32 v5, v5
	v_add_nc_u32_e32 v4, 0x70, v4
	s_wait_dscnt 0x0
	v_fma_f32 v3, -v14, v5, v3
	s_cbranch_scc0 .LBB35_24
	s_branch .LBB35_22
.LBB35_25:                              ;   in Loop: Header=BB35_3 Depth=1
	s_mov_b32 s20, 0
.LBB35_26:                              ;   in Loop: Header=BB35_3 Depth=1
	s_wait_alu 0xfffe
	s_and_b32 vcc_lo, exec_lo, s20
	s_wait_alu 0xfffe
	s_cbranch_vccz .LBB35_46
; %bb.27:                               ;   in Loop: Header=BB35_3 Depth=1
	s_mov_b32 s36, s23
	s_and_not1_b32 vcc_lo, exec_lo, s27
	s_mov_b32 s20, s29
	s_mov_b32 s21, s23
	s_wait_alu 0xfffe
	s_cbranch_vccnz .LBB35_33
.LBB35_28:                              ;   Parent Loop BB35_3 Depth=1
                                        ; =>  This Loop Header: Depth=2
                                        ;       Child Loop BB35_29 Depth 3
	s_wait_alu 0xfffe
	s_mul_i32 s37, s21, 0x70
	s_mov_b32 s38, s20
	s_wait_alu 0xfffe
	v_add_nc_u32_e32 v2, s37, v1
	s_add_co_i32 s36, s37, 0xfffffeb0
	s_cmp_le_i32 s23, s21
	s_wait_alu 0xfffe
	v_add_nc_u32_e32 v5, s36, v1
	s_mov_b32 s39, s23
	v_dual_mov_b32 v18, v9 :: v_dual_add_nc_u32 v3, 0xffffff90, v2
	v_add_nc_u32_e32 v4, 0xffffff20, v2
	ds_load_b32 v17, v2
	ds_load_b32 v16, v3
	;; [unrolled: 1-line block ×4, first 2 shown]
	s_cbranch_scc1 .LBB35_30
.LBB35_29:                              ;   Parent Loop BB35_3 Depth=1
                                        ;     Parent Loop BB35_28 Depth=2
                                        ; =>    This Inner Loop Header: Depth=3
	v_mov_b32_e32 v21, s38
	s_wait_alu 0xfffe
	s_add_co_i32 s39, s39, -1
	s_addk_co_i32 s38, 0xff90
	s_wait_alu 0xfffe
	s_cmp_le_i32 s39, s21
	ds_load_b32 v23, v18
	ds_load_2addr_b32 v[19:20], v21 offset0:2 offset1:3
	ds_load_2addr_b32 v[21:22], v21 offset1:1
	v_add_nc_u32_e32 v18, 0xffffff90, v18
	s_wait_dscnt 0x1
	v_fma_f32 v17, -v23, v20, v17
	v_fma_f32 v16, -v23, v19, v16
	s_wait_dscnt 0x0
	v_fma_f32 v15, -v23, v22, v15
	v_fma_f32 v14, -v23, v21, v14
	s_cbranch_scc0 .LBB35_29
.LBB35_30:                              ;   in Loop: Header=BB35_28 Depth=2
	s_add_co_i32 s38, s21, -3
; %bb.31:                               ;   in Loop: Header=BB35_28 Depth=2
	s_lshl_b32 s39, s21, 2
	s_wait_alu 0xfffe
	s_lshl_b32 s38, s38, 2
	s_add_co_i32 s40, s39, s37
	s_wait_alu 0xfffe
	s_add_co_i32 s37, s37, s38
	s_add_co_i32 s41, s40, -4
	s_add_co_i32 s38, s40, 0xffffff8c
	s_add_co_i32 s40, s40, -12
	s_wait_alu 0xfffe
	v_dual_mov_b32 v18, s41 :: v_dual_mov_b32 v21, s40
	s_add_co_i32 s41, s37, 0xffffff90
	s_addk_co_i32 s37, 0xff20
	s_add_co_i32 s36, s39, s36
	ds_load_2addr_b32 v[18:19], v18 offset1:1
	s_wait_alu 0xfffe
	s_add_co_i32 s36, s36, -12
	s_add_co_i32 s20, s20, -16
	s_wait_dscnt 0x0
	v_div_scale_f32 v25, null, v19, v19, v17
	v_div_scale_f32 v28, vcc_lo, v17, v19, v17
	s_delay_alu instid0(VALU_DEP_2) | instskip(NEXT) | instid1(TRANS32_DEP_1)
	v_rcp_f32_e32 v26, v25
	v_fma_f32 v27, -v25, v26, 1.0
	s_delay_alu instid0(VALU_DEP_1) | instskip(NEXT) | instid1(VALU_DEP_1)
	v_fmac_f32_e32 v26, v27, v26
	v_dual_mov_b32 v20, s38 :: v_dual_mul_f32 v27, v28, v26
	s_delay_alu instid0(VALU_DEP_1) | instskip(NEXT) | instid1(VALU_DEP_1)
	v_fma_f32 v29, -v25, v27, v28
	v_dual_mov_b32 v22, s41 :: v_dual_fmac_f32 v27, v29, v26
	ds_load_b32 v24, v20
	ds_load_2addr_b32 v[20:21], v21 offset1:1
	ds_load_2addr_b32 v[22:23], v22 offset1:1
	v_fma_f32 v25, -v25, v27, v28
	s_wait_alu 0xfffd
	s_delay_alu instid0(VALU_DEP_1) | instskip(NEXT) | instid1(VALU_DEP_1)
	v_div_fmas_f32 v25, v25, v26, v27
	v_div_fixup_f32 v19, v25, v19, v17
	v_mov_b32_e32 v17, s37
	s_delay_alu instid0(VALU_DEP_2)
	v_fma_f32 v18, -v19, v18, v16
	s_wait_dscnt 0x1
	v_fma_f32 v15, -v19, v21, v15
	v_fma_f32 v14, -v19, v20, v14
	s_wait_alu 0xfffe
	v_mov_b32_e32 v21, s36
	s_add_co_i32 s36, s21, -4
	v_div_scale_f32 v25, null, v24, v24, v18
	v_div_scale_f32 v27, vcc_lo, v18, v24, v18
	s_cmp_lt_i32 s21, 7
	v_rcp_f32_e32 v26, v25
	ds_load_b32 v21, v21
	v_fma_f32 v16, -v25, v26, 1.0
	s_delay_alu instid0(VALU_DEP_1) | instskip(NEXT) | instid1(VALU_DEP_1)
	v_fmac_f32_e32 v26, v16, v26
	v_mul_f32_e32 v28, v27, v26
	s_delay_alu instid0(VALU_DEP_1) | instskip(NEXT) | instid1(VALU_DEP_1)
	v_fma_f32 v16, -v25, v28, v27
	v_fmac_f32_e32 v28, v16, v26
	ds_load_2addr_b32 v[16:17], v17 offset1:1
	v_fma_f32 v25, -v25, v28, v27
	s_wait_alu 0xfffd
	s_delay_alu instid0(VALU_DEP_1) | instskip(NEXT) | instid1(VALU_DEP_1)
	v_div_fmas_f32 v25, v25, v26, v28
	v_div_fixup_f32 v18, v25, v24, v18
	s_wait_dscnt 0x2
	s_delay_alu instid0(VALU_DEP_1) | instskip(SKIP_2) | instid1(VALU_DEP_2)
	v_fma_f32 v15, -v18, v23, v15
	v_fma_f32 v14, -v18, v22, v14
	s_wait_dscnt 0x0
	v_div_scale_f32 v23, null, v17, v17, v15
	v_div_scale_f32 v26, vcc_lo, v15, v17, v15
	s_delay_alu instid0(VALU_DEP_2) | instskip(NEXT) | instid1(TRANS32_DEP_1)
	v_rcp_f32_e32 v24, v23
	v_fma_f32 v25, -v23, v24, 1.0
	s_delay_alu instid0(VALU_DEP_1) | instskip(NEXT) | instid1(VALU_DEP_1)
	v_fmac_f32_e32 v24, v25, v24
	v_mul_f32_e32 v25, v26, v24
	s_delay_alu instid0(VALU_DEP_1) | instskip(NEXT) | instid1(VALU_DEP_1)
	v_fma_f32 v27, -v23, v25, v26
	v_fmac_f32_e32 v25, v27, v24
	s_delay_alu instid0(VALU_DEP_1) | instskip(SKIP_1) | instid1(VALU_DEP_1)
	v_fma_f32 v23, -v23, v25, v26
	s_wait_alu 0xfffd
	v_div_fmas_f32 v20, v23, v24, v25
	s_delay_alu instid0(VALU_DEP_1) | instskip(NEXT) | instid1(VALU_DEP_1)
	v_div_fixup_f32 v15, v20, v17, v15
	v_fma_f32 v14, -v15, v16, v14
	s_delay_alu instid0(VALU_DEP_1) | instskip(SKIP_1) | instid1(VALU_DEP_2)
	v_div_scale_f32 v16, null, v21, v21, v14
	v_div_scale_f32 v22, vcc_lo, v14, v21, v14
	v_rcp_f32_e32 v17, v16
	s_delay_alu instid0(TRANS32_DEP_1) | instskip(NEXT) | instid1(VALU_DEP_1)
	v_fma_f32 v20, -v16, v17, 1.0
	v_fmac_f32_e32 v17, v20, v17
	s_delay_alu instid0(VALU_DEP_1) | instskip(NEXT) | instid1(VALU_DEP_1)
	v_mul_f32_e32 v20, v22, v17
	v_fma_f32 v23, -v16, v20, v22
	s_delay_alu instid0(VALU_DEP_1) | instskip(NEXT) | instid1(VALU_DEP_1)
	v_fmac_f32_e32 v20, v23, v17
	v_fma_f32 v16, -v16, v20, v22
	s_wait_alu 0xfffd
	s_delay_alu instid0(VALU_DEP_1) | instskip(NEXT) | instid1(VALU_DEP_1)
	v_div_fmas_f32 v16, v16, v17, v20
	v_div_fixup_f32 v14, v16, v21, v14
	ds_store_b32 v2, v19
	ds_store_b32 v3, v18
	;; [unrolled: 1-line block ×4, first 2 shown]
	s_cbranch_scc1 .LBB35_33
; %bb.32:                               ;   in Loop: Header=BB35_28 Depth=2
	s_wait_alu 0xfffe
	s_mov_b32 s21, s36
	s_branch .LBB35_28
.LBB35_33:                              ;   in Loop: Header=BB35_3 Depth=1
	s_wait_alu 0xfffe
	s_cmp_lt_i32 s36, 0
	s_cbranch_scc1 .LBB35_46
; %bb.34:                               ;   in Loop: Header=BB35_3 Depth=1
	s_bitcmp1_b32 s36, 0
	s_cselect_b32 s20, -1, 0
	s_wait_alu 0xfffe
	s_and_b32 vcc_lo, exec_lo, s20
	s_mov_b32 s20, s36
	s_wait_alu 0xfffe
	s_cbranch_vccnz .LBB35_39
; %bb.35:                               ;   in Loop: Header=BB35_3 Depth=1
	s_mul_i32 s20, s36, 0x70
	s_cmp_le_i32 s23, s36
	s_wait_alu 0xfffe
	v_add_nc_u32_e32 v2, s20, v1
	ds_load_b32 v3, v2
	s_cbranch_scc1 .LBB35_38
; %bb.36:                               ;   in Loop: Header=BB35_3 Depth=1
	v_mov_b32_e32 v4, v9
	s_lshl_b32 s21, s36, 2
	s_mov_b32 s37, s23
	s_wait_alu 0xfffe
	s_add_co_i32 s21, s30, s21
.LBB35_37:                              ;   Parent Loop BB35_3 Depth=1
                                        ; =>  This Inner Loop Header: Depth=2
	s_wait_alu 0xfffe
	v_mov_b32_e32 v5, s21
	s_add_co_i32 s37, s37, -1
	s_addk_co_i32 s21, 0xff90
	s_wait_alu 0xfffe
	s_cmp_gt_i32 s37, s36
	ds_load_b32 v14, v4
	ds_load_b32 v5, v5
	v_add_nc_u32_e32 v4, 0xffffff90, v4
	s_wait_dscnt 0x0
	v_fma_f32 v3, -v14, v5, v3
	s_cbranch_scc1 .LBB35_37
.LBB35_38:                              ;   in Loop: Header=BB35_3 Depth=1
	s_lshl_b32 s21, s36, 2
	s_wait_alu 0xfffe
	s_add_co_i32 s20, s21, s20
	s_wait_alu 0xfffe
	v_mov_b32_e32 v4, s20
	s_add_co_i32 s20, s36, -1
	ds_load_b32 v4, v4
	s_wait_dscnt 0x0
	v_div_scale_f32 v5, null, v4, v4, v3
	s_delay_alu instid0(VALU_DEP_1) | instskip(NEXT) | instid1(TRANS32_DEP_1)
	v_rcp_f32_e32 v14, v5
	v_fma_f32 v15, -v5, v14, 1.0
	s_delay_alu instid0(VALU_DEP_1) | instskip(SKIP_1) | instid1(VALU_DEP_1)
	v_fmac_f32_e32 v14, v15, v14
	v_div_scale_f32 v15, vcc_lo, v3, v4, v3
	v_mul_f32_e32 v16, v15, v14
	s_delay_alu instid0(VALU_DEP_1) | instskip(NEXT) | instid1(VALU_DEP_1)
	v_fma_f32 v17, -v5, v16, v15
	v_fmac_f32_e32 v16, v17, v14
	s_delay_alu instid0(VALU_DEP_1) | instskip(SKIP_1) | instid1(VALU_DEP_1)
	v_fma_f32 v5, -v5, v16, v15
	s_wait_alu 0xfffd
	v_div_fmas_f32 v5, v5, v14, v16
	s_delay_alu instid0(VALU_DEP_1)
	v_div_fixup_f32 v3, v5, v4, v3
	ds_store_b32 v2, v3
.LBB35_39:                              ;   in Loop: Header=BB35_3 Depth=1
	s_cmp_eq_u32 s36, 0
	s_cbranch_scc1 .LBB35_46
; %bb.40:                               ;   in Loop: Header=BB35_3 Depth=1
	s_wait_alu 0xfffe
	s_lshl_b32 s36, s20, 2
	s_wait_alu 0xfffe
	s_add_co_i32 s21, s30, s36
	s_add_co_i32 s36, s31, s36
	s_branch .LBB35_42
.LBB35_41:                              ;   in Loop: Header=BB35_42 Depth=2
	s_addk_co_i32 s37, 0xff8c
	s_add_co_i32 s21, s21, -8
	s_wait_alu 0xfffe
	v_mov_b32_e32 v2, s37
	s_add_co_i32 s37, s20, -2
	s_add_co_i32 s36, s36, -8
	s_cmp_lt_i32 s20, 2
	s_wait_alu 0xfffe
	s_mov_b32 s20, s37
	ds_load_b32 v2, v2
	s_wait_dscnt 0x0
	v_div_scale_f32 v4, null, v2, v2, v5
	v_div_scale_f32 v16, vcc_lo, v5, v2, v5
	s_delay_alu instid0(VALU_DEP_2) | instskip(NEXT) | instid1(TRANS32_DEP_1)
	v_rcp_f32_e32 v14, v4
	v_fma_f32 v15, -v4, v14, 1.0
	s_delay_alu instid0(VALU_DEP_1) | instskip(NEXT) | instid1(VALU_DEP_1)
	v_fmac_f32_e32 v14, v15, v14
	v_mul_f32_e32 v15, v16, v14
	s_delay_alu instid0(VALU_DEP_1) | instskip(NEXT) | instid1(VALU_DEP_1)
	v_fma_f32 v17, -v4, v15, v16
	v_fmac_f32_e32 v15, v17, v14
	s_delay_alu instid0(VALU_DEP_1) | instskip(SKIP_1) | instid1(VALU_DEP_1)
	v_fma_f32 v4, -v4, v15, v16
	s_wait_alu 0xfffd
	v_div_fmas_f32 v4, v4, v14, v15
	s_delay_alu instid0(VALU_DEP_1)
	v_div_fixup_f32 v2, v4, v2, v5
	ds_store_b32 v3, v2
	s_cbranch_scc1 .LBB35_46
.LBB35_42:                              ;   Parent Loop BB35_3 Depth=1
                                        ; =>  This Loop Header: Depth=2
                                        ;       Child Loop BB35_43 Depth 3
                                        ;       Child Loop BB35_45 Depth 3
	s_wait_alu 0xfffe
	s_mul_i32 s38, s20, 0x70
	s_cmp_le_i32 s23, s20
	s_wait_alu 0xfffe
	v_dual_mov_b32 v3, v9 :: v_dual_add_nc_u32 v2, s38, v1
	s_mov_b32 s37, s21
	s_mov_b32 s39, s23
	ds_load_b32 v4, v2
	s_cbranch_scc1 .LBB35_44
.LBB35_43:                              ;   Parent Loop BB35_3 Depth=1
                                        ;     Parent Loop BB35_42 Depth=2
                                        ; =>    This Inner Loop Header: Depth=3
	s_wait_alu 0xfffe
	v_mov_b32_e32 v5, s37
	s_add_co_i32 s39, s39, -1
	s_addk_co_i32 s37, 0xff90
	s_wait_alu 0xfffe
	s_cmp_le_i32 s39, s20
	ds_load_b32 v14, v3
	ds_load_b32 v5, v5
	v_add_nc_u32_e32 v3, 0xffffff90, v3
	s_wait_dscnt 0x0
	v_fma_f32 v4, -v14, v5, v4
	s_cbranch_scc0 .LBB35_43
.LBB35_44:                              ;   in Loop: Header=BB35_42 Depth=2
	s_lshl_b32 s37, s20, 2
	s_mov_b32 s39, s1
	s_wait_alu 0xfffe
	s_add_co_i32 s37, s37, s38
	s_addk_co_i32 s38, 0xff90
	s_wait_alu 0xfffe
	v_mov_b32_e32 v3, s37
	s_cmp_le_i32 s1, s20
	ds_load_b32 v14, v3
	s_wait_dscnt 0x0
	v_div_scale_f32 v15, null, v14, v14, v4
	s_delay_alu instid0(VALU_DEP_1) | instskip(NEXT) | instid1(TRANS32_DEP_1)
	v_rcp_f32_e32 v16, v15
	v_fma_f32 v17, -v15, v16, 1.0
	s_delay_alu instid0(VALU_DEP_1) | instskip(SKIP_3) | instid1(VALU_DEP_2)
	v_fmac_f32_e32 v16, v17, v16
	v_div_scale_f32 v17, vcc_lo, v4, v14, v4
	v_add_nc_u32_e32 v3, s38, v1
	s_mov_b32 s38, s36
	v_mul_f32_e32 v18, v17, v16
	ds_load_b32 v5, v3
	v_fma_f32 v19, -v15, v18, v17
	s_delay_alu instid0(VALU_DEP_1) | instskip(NEXT) | instid1(VALU_DEP_1)
	v_fmac_f32_e32 v18, v19, v16
	v_fma_f32 v15, -v15, v18, v17
	s_wait_alu 0xfffd
	s_delay_alu instid0(VALU_DEP_1) | instskip(NEXT) | instid1(VALU_DEP_1)
	v_div_fmas_f32 v15, v15, v16, v18
	v_div_fixup_f32 v14, v15, v14, v4
	v_mov_b32_e32 v4, v9
	ds_store_b32 v2, v14
	s_cbranch_scc1 .LBB35_41
.LBB35_45:                              ;   Parent Loop BB35_3 Depth=1
                                        ;     Parent Loop BB35_42 Depth=2
                                        ; =>    This Inner Loop Header: Depth=3
	s_wait_alu 0xfffe
	v_mov_b32_e32 v2, s38
	s_add_co_i32 s39, s39, -1
	s_addk_co_i32 s38, 0xff90
	s_wait_alu 0xfffe
	s_cmp_gt_i32 s39, s20
	ds_load_b32 v14, v4
	ds_load_b32 v2, v2
	v_add_nc_u32_e32 v4, 0xffffff90, v4
	s_wait_dscnt 0x0
	v_fma_f32 v5, -v14, v2, v5
	s_cbranch_scc1 .LBB35_45
	s_branch .LBB35_41
.LBB35_46:                              ;   in Loop: Header=BB35_3 Depth=1
	s_mov_b32 s20, 0
.LBB35_47:                              ;   in Loop: Header=BB35_3 Depth=1
	s_wait_alu 0xfffe
	s_and_not1_b32 vcc_lo, exec_lo, s20
	s_wait_alu 0xfffe
	s_cbranch_vccnz .LBB35_66
; %bb.48:                               ;   in Loop: Header=BB35_3 Depth=1
	s_mov_b32 s36, s23
	s_and_not1_b32 vcc_lo, exec_lo, s27
	s_mov_b32 s20, s33
	s_mov_b32 s21, s23
	s_wait_alu 0xfffe
	s_cbranch_vccnz .LBB35_53
.LBB35_49:                              ;   Parent Loop BB35_3 Depth=1
                                        ; =>  This Loop Header: Depth=2
                                        ;       Child Loop BB35_50 Depth 3
	s_wait_alu 0xfffe
	s_mul_i32 s36, s21, 28
	s_cmp_le_i32 s23, s21
	s_wait_alu 0xfffe
	v_lshl_add_u32 v2, s36, 2, v1
	s_mov_b32 s37, s20
	s_mov_b32 s38, s23
	s_delay_alu instid0(VALU_DEP_1)
	v_dual_mov_b32 v18, v9 :: v_dual_add_nc_u32 v3, 0xffffff90, v2
	v_add_nc_u32_e32 v4, 0xffffff20, v2
	v_add_nc_u32_e32 v5, 0xfffffeb0, v2
	ds_load_b32 v17, v2
	ds_load_b32 v16, v3
	;; [unrolled: 1-line block ×4, first 2 shown]
	s_cbranch_scc1 .LBB35_51
.LBB35_50:                              ;   Parent Loop BB35_3 Depth=1
                                        ;     Parent Loop BB35_49 Depth=2
                                        ; =>    This Inner Loop Header: Depth=3
	s_wait_alu 0xfffe
	v_mov_b32_e32 v21, s37
	s_add_co_i32 s38, s38, -1
	s_add_co_i32 s37, s37, -4
	s_wait_alu 0xfffe
	s_cmp_le_i32 s38, s21
	ds_load_b32 v23, v18
	ds_load_2addr_b32 v[19:20], v21 offset0:56 offset1:84
	ds_load_2addr_b32 v[21:22], v21 offset1:28
	v_add_nc_u32_e32 v18, 0xffffff90, v18
	s_wait_dscnt 0x1
	v_fma_f32 v17, -v23, v20, v17
	v_fma_f32 v16, -v23, v19, v16
	s_wait_dscnt 0x0
	v_fma_f32 v15, -v23, v22, v15
	v_fma_f32 v14, -v23, v21, v14
	s_cbranch_scc0 .LBB35_50
.LBB35_51:                              ;   in Loop: Header=BB35_49 Depth=2
	s_mul_i32 s37, s21, 0x74
	s_lshl_b32 s36, s36, 2
	s_wait_alu 0xfffe
	v_mov_b32_e32 v18, s37
	s_lshl_b32 s37, s21, 2
	s_addk_co_i32 s20, 0xfe40
	s_wait_alu 0xfffe
	s_add_co_i32 s36, s36, s37
	s_wait_alu 0xfffe
	s_add_co_i32 s39, s36, 0xffffff18
	s_add_co_i32 s37, s36, 0xffffff8c
	s_wait_alu 0xfffe
	v_mov_b32_e32 v21, s39
	ds_load_b32 v22, v18
	s_add_co_i32 s38, s36, 0xffffff20
	s_wait_alu 0xfffe
	v_mov_b32_e32 v20, s38
	s_wait_dscnt 0x0
	v_div_scale_f32 v24, null, v22, v22, v17
	v_div_scale_f32 v27, vcc_lo, v17, v22, v17
	s_delay_alu instid0(VALU_DEP_2) | instskip(NEXT) | instid1(TRANS32_DEP_1)
	v_rcp_f32_e32 v25, v24
	v_fma_f32 v26, -v24, v25, 1.0
	v_mov_b32_e32 v18, s37
	s_add_co_i32 s37, s36, 0xfffffeac
	s_addk_co_i32 s36, 0xfea4
	s_delay_alu instid0(VALU_DEP_2) | instskip(SKIP_4) | instid1(VALU_DEP_1)
	v_fmac_f32_e32 v25, v26, v25
	ds_load_2addr_b32 v[18:19], v18 offset1:1
	ds_load_b32 v23, v20
	ds_load_2addr_b32 v[20:21], v21 offset1:1
	v_mul_f32_e32 v26, v27, v25
	v_fma_f32 v28, -v24, v26, v27
	s_delay_alu instid0(VALU_DEP_1) | instskip(NEXT) | instid1(VALU_DEP_1)
	v_fmac_f32_e32 v26, v28, v25
	v_fma_f32 v24, -v24, v26, v27
	s_wait_alu 0xfffd
	s_delay_alu instid0(VALU_DEP_1) | instskip(NEXT) | instid1(VALU_DEP_1)
	v_div_fmas_f32 v24, v24, v25, v26
	v_div_fixup_f32 v22, v24, v22, v17
	s_wait_dscnt 0x2
	s_delay_alu instid0(VALU_DEP_1) | instskip(SKIP_2) | instid1(VALU_DEP_2)
	v_fma_f32 v16, -v22, v19, v16
	s_wait_dscnt 0x1
	v_fma_f32 v15, -v22, v23, v15
	v_div_scale_f32 v17, null, v18, v18, v16
	v_div_scale_f32 v25, vcc_lo, v16, v18, v16
	s_delay_alu instid0(VALU_DEP_2) | instskip(NEXT) | instid1(TRANS32_DEP_1)
	v_rcp_f32_e32 v19, v17
	v_fma_f32 v24, -v17, v19, 1.0
	s_delay_alu instid0(VALU_DEP_1) | instskip(NEXT) | instid1(VALU_DEP_1)
	v_fmac_f32_e32 v19, v24, v19
	v_mul_f32_e32 v24, v25, v19
	s_delay_alu instid0(VALU_DEP_1) | instskip(NEXT) | instid1(VALU_DEP_1)
	v_fma_f32 v26, -v17, v24, v25
	v_fmac_f32_e32 v24, v26, v19
	s_delay_alu instid0(VALU_DEP_1) | instskip(SKIP_1) | instid1(VALU_DEP_1)
	v_fma_f32 v17, -v17, v24, v25
	s_wait_alu 0xfffd
	v_div_fmas_f32 v17, v17, v19, v24
	s_delay_alu instid0(VALU_DEP_1)
	v_div_fixup_f32 v19, v17, v18, v16
	s_wait_alu 0xfffe
	v_dual_mov_b32 v16, s37 :: v_dual_mov_b32 v17, s36
	s_add_co_i32 s36, s21, -4
	s_cmp_lt_i32 s21, 7
	s_wait_dscnt 0x0
	v_fma_f32 v21, -v19, v21, v15
	ds_load_2addr_b32 v[17:18], v17 offset1:1
	v_div_scale_f32 v23, null, v20, v20, v21
	v_div_scale_f32 v25, vcc_lo, v21, v20, v21
	s_delay_alu instid0(VALU_DEP_2) | instskip(NEXT) | instid1(TRANS32_DEP_1)
	v_rcp_f32_e32 v24, v23
	v_fma_f32 v15, -v23, v24, 1.0
	s_delay_alu instid0(VALU_DEP_1) | instskip(SKIP_2) | instid1(VALU_DEP_1)
	v_fmac_f32_e32 v24, v15, v24
	ds_load_2addr_b32 v[15:16], v16 offset1:1
	v_mul_f32_e32 v26, v25, v24
	v_fma_f32 v27, -v23, v26, v25
	s_delay_alu instid0(VALU_DEP_1) | instskip(NEXT) | instid1(VALU_DEP_1)
	v_fmac_f32_e32 v26, v27, v24
	v_fma_f32 v23, -v23, v26, v25
	s_wait_dscnt 0x0
	v_fma_f32 v14, -v22, v16, v14
	s_wait_alu 0xfffd
	s_delay_alu instid0(VALU_DEP_2) | instskip(NEXT) | instid1(VALU_DEP_2)
	v_div_fmas_f32 v16, v23, v24, v26
	v_fma_f32 v14, -v19, v15, v14
	s_delay_alu instid0(VALU_DEP_2) | instskip(NEXT) | instid1(VALU_DEP_1)
	v_div_fixup_f32 v15, v16, v20, v21
	v_fma_f32 v14, -v15, v18, v14
	s_delay_alu instid0(VALU_DEP_1) | instskip(SKIP_1) | instid1(VALU_DEP_2)
	v_div_scale_f32 v16, null, v17, v17, v14
	v_div_scale_f32 v21, vcc_lo, v14, v17, v14
	v_rcp_f32_e32 v18, v16
	s_delay_alu instid0(TRANS32_DEP_1) | instskip(NEXT) | instid1(VALU_DEP_1)
	v_fma_f32 v20, -v16, v18, 1.0
	v_fmac_f32_e32 v18, v20, v18
	s_delay_alu instid0(VALU_DEP_1) | instskip(NEXT) | instid1(VALU_DEP_1)
	v_mul_f32_e32 v20, v21, v18
	v_fma_f32 v23, -v16, v20, v21
	s_delay_alu instid0(VALU_DEP_1) | instskip(NEXT) | instid1(VALU_DEP_1)
	v_fmac_f32_e32 v20, v23, v18
	v_fma_f32 v16, -v16, v20, v21
	s_wait_alu 0xfffd
	s_delay_alu instid0(VALU_DEP_1) | instskip(NEXT) | instid1(VALU_DEP_1)
	v_div_fmas_f32 v16, v16, v18, v20
	v_div_fixup_f32 v14, v16, v17, v14
	ds_store_b32 v2, v22
	ds_store_b32 v3, v19
	;; [unrolled: 1-line block ×4, first 2 shown]
	s_cbranch_scc1 .LBB35_53
; %bb.52:                               ;   in Loop: Header=BB35_49 Depth=2
	s_wait_alu 0xfffe
	s_mov_b32 s21, s36
	s_branch .LBB35_49
.LBB35_53:                              ;   in Loop: Header=BB35_3 Depth=1
	s_wait_alu 0xfffe
	s_cmp_lt_i32 s36, 0
	s_cbranch_scc1 .LBB35_66
; %bb.54:                               ;   in Loop: Header=BB35_3 Depth=1
	s_bitcmp1_b32 s36, 0
	s_cselect_b32 s20, -1, 0
	s_wait_alu 0xfffe
	s_and_b32 vcc_lo, exec_lo, s20
	s_mov_b32 s20, s36
	s_wait_alu 0xfffe
	s_cbranch_vccnz .LBB35_59
; %bb.55:                               ;   in Loop: Header=BB35_3 Depth=1
	v_mad_co_u64_u32 v[2:3], null, 0x70, s36, v[1:2]
	s_cmp_le_i32 s23, s36
	ds_load_b32 v3, v2
	s_cbranch_scc1 .LBB35_58
; %bb.56:                               ;   in Loop: Header=BB35_3 Depth=1
	v_mov_b32_e32 v4, v9
	s_mul_i32 s20, s36, 0x70
	s_mov_b32 s21, s23
	s_wait_alu 0xfffe
	s_add_co_i32 s20, s34, s20
.LBB35_57:                              ;   Parent Loop BB35_3 Depth=1
                                        ; =>  This Inner Loop Header: Depth=2
	s_wait_alu 0xfffe
	v_mov_b32_e32 v5, s20
	s_add_co_i32 s21, s21, -1
	s_add_co_i32 s20, s20, -4
	s_wait_alu 0xfffe
	s_cmp_gt_u32 s21, s36
	ds_load_b32 v14, v4
	ds_load_b32 v5, v5
	v_add_nc_u32_e32 v4, 0xffffff90, v4
	s_wait_dscnt 0x0
	v_fma_f32 v3, -v14, v5, v3
	s_cbranch_scc1 .LBB35_57
.LBB35_58:                              ;   in Loop: Header=BB35_3 Depth=1
	s_mul_i32 s20, s36, 0x74
	s_wait_alu 0xfffe
	v_mov_b32_e32 v4, s20
	s_add_co_i32 s20, s36, -1
	ds_load_b32 v4, v4
	s_wait_dscnt 0x0
	v_div_scale_f32 v5, null, v4, v4, v3
	s_delay_alu instid0(VALU_DEP_1) | instskip(NEXT) | instid1(TRANS32_DEP_1)
	v_rcp_f32_e32 v14, v5
	v_fma_f32 v15, -v5, v14, 1.0
	s_delay_alu instid0(VALU_DEP_1) | instskip(SKIP_1) | instid1(VALU_DEP_1)
	v_fmac_f32_e32 v14, v15, v14
	v_div_scale_f32 v15, vcc_lo, v3, v4, v3
	v_mul_f32_e32 v16, v15, v14
	s_delay_alu instid0(VALU_DEP_1) | instskip(NEXT) | instid1(VALU_DEP_1)
	v_fma_f32 v17, -v5, v16, v15
	v_fmac_f32_e32 v16, v17, v14
	s_delay_alu instid0(VALU_DEP_1) | instskip(SKIP_1) | instid1(VALU_DEP_1)
	v_fma_f32 v5, -v5, v16, v15
	s_wait_alu 0xfffd
	v_div_fmas_f32 v5, v5, v14, v16
	s_delay_alu instid0(VALU_DEP_1)
	v_div_fixup_f32 v3, v5, v4, v3
	ds_store_b32 v2, v3
.LBB35_59:                              ;   in Loop: Header=BB35_3 Depth=1
	s_cmp_eq_u32 s36, 0
	s_cbranch_scc1 .LBB35_66
; %bb.60:                               ;   in Loop: Header=BB35_3 Depth=1
	s_wait_alu 0xfffe
	s_mul_i32 s36, s20, 0x70
	s_wait_alu 0xfffe
	s_add_co_i32 s21, s34, s36
	s_add_co_i32 s36, s35, s36
	s_branch .LBB35_62
.LBB35_61:                              ;   in Loop: Header=BB35_62 Depth=2
	s_addk_co_i32 s37, 0xff8c
	s_add_co_i32 s20, s20, -2
	s_wait_alu 0xfffe
	v_mov_b32_e32 v2, s37
	s_addk_co_i32 s21, 0xff20
	s_addk_co_i32 s36, 0xff20
	s_cmp_eq_u32 s38, 0
	ds_load_b32 v2, v2
	s_wait_dscnt 0x0
	v_div_scale_f32 v4, null, v2, v2, v5
	v_div_scale_f32 v16, vcc_lo, v5, v2, v5
	s_delay_alu instid0(VALU_DEP_2) | instskip(NEXT) | instid1(TRANS32_DEP_1)
	v_rcp_f32_e32 v14, v4
	v_fma_f32 v15, -v4, v14, 1.0
	s_delay_alu instid0(VALU_DEP_1) | instskip(NEXT) | instid1(VALU_DEP_1)
	v_fmac_f32_e32 v14, v15, v14
	v_mul_f32_e32 v15, v16, v14
	s_delay_alu instid0(VALU_DEP_1) | instskip(NEXT) | instid1(VALU_DEP_1)
	v_fma_f32 v17, -v4, v15, v16
	v_fmac_f32_e32 v15, v17, v14
	s_delay_alu instid0(VALU_DEP_1) | instskip(SKIP_1) | instid1(VALU_DEP_1)
	v_fma_f32 v4, -v4, v15, v16
	s_wait_alu 0xfffd
	v_div_fmas_f32 v4, v4, v14, v15
	s_delay_alu instid0(VALU_DEP_1)
	v_div_fixup_f32 v2, v4, v2, v5
	ds_store_b32 v3, v2
	s_cbranch_scc1 .LBB35_66
.LBB35_62:                              ;   Parent Loop BB35_3 Depth=1
                                        ; =>  This Loop Header: Depth=2
                                        ;       Child Loop BB35_63 Depth 3
                                        ;       Child Loop BB35_65 Depth 3
	v_mad_co_u64_u32 v[2:3], null, 0x70, s20, v[1:2]
	v_mov_b32_e32 v3, v9
	s_cmp_le_i32 s23, s20
	s_wait_alu 0xfffe
	s_mov_b32 s37, s21
	s_mov_b32 s38, s23
	ds_load_b32 v4, v2
	s_cbranch_scc1 .LBB35_64
.LBB35_63:                              ;   Parent Loop BB35_3 Depth=1
                                        ;     Parent Loop BB35_62 Depth=2
                                        ; =>    This Inner Loop Header: Depth=3
	s_wait_alu 0xfffe
	v_mov_b32_e32 v5, s37
	s_add_co_i32 s38, s38, -1
	s_add_co_i32 s37, s37, -4
	s_wait_alu 0xfffe
	s_cmp_le_u32 s38, s20
	ds_load_b32 v14, v3
	ds_load_b32 v5, v5
	v_add_nc_u32_e32 v3, 0xffffff90, v3
	s_wait_dscnt 0x0
	v_fma_f32 v4, -v14, v5, v4
	s_cbranch_scc0 .LBB35_63
.LBB35_64:                              ;   in Loop: Header=BB35_62 Depth=2
	s_mul_i32 s37, s20, 0x74
	s_add_co_i32 s38, s20, -1
	s_wait_alu 0xfffe
	v_mov_b32_e32 v3, s37
	s_cmp_le_i32 s1, s20
	s_mov_b32 s39, s36
	s_mov_b32 s40, s23
	ds_load_b32 v14, v3
	v_add_nc_u32_e32 v3, 0xffffff90, v2
	s_wait_dscnt 0x0
	v_div_scale_f32 v15, null, v14, v14, v4
	v_div_scale_f32 v18, vcc_lo, v4, v14, v4
	s_delay_alu instid0(VALU_DEP_2) | instskip(NEXT) | instid1(TRANS32_DEP_1)
	v_rcp_f32_e32 v16, v15
	v_fma_f32 v17, -v15, v16, 1.0
	s_delay_alu instid0(VALU_DEP_1) | instskip(NEXT) | instid1(VALU_DEP_1)
	v_fmac_f32_e32 v16, v17, v16
	v_mul_f32_e32 v17, v18, v16
	s_delay_alu instid0(VALU_DEP_1) | instskip(NEXT) | instid1(VALU_DEP_1)
	v_fma_f32 v19, -v15, v17, v18
	v_fmac_f32_e32 v17, v19, v16
	s_delay_alu instid0(VALU_DEP_1) | instskip(SKIP_1) | instid1(VALU_DEP_1)
	v_fma_f32 v15, -v15, v17, v18
	s_wait_alu 0xfffd
	v_div_fmas_f32 v15, v15, v16, v17
	s_delay_alu instid0(VALU_DEP_1)
	v_div_fixup_f32 v14, v15, v14, v4
	v_mov_b32_e32 v4, v9
	ds_load_b32 v5, v3
	ds_store_b32 v2, v14
	s_cbranch_scc1 .LBB35_61
.LBB35_65:                              ;   Parent Loop BB35_3 Depth=1
                                        ;     Parent Loop BB35_62 Depth=2
                                        ; =>    This Inner Loop Header: Depth=3
	s_wait_alu 0xfffe
	v_mov_b32_e32 v2, s39
	s_add_co_i32 s40, s40, -1
	s_add_co_i32 s39, s39, -4
	s_wait_alu 0xfffe
	s_cmp_gt_u32 s40, s38
	ds_load_b32 v14, v4
	ds_load_b32 v2, v2
	v_add_nc_u32_e32 v4, 0xffffff90, v4
	s_wait_dscnt 0x0
	v_fma_f32 v5, -v14, v2, v5
	s_cbranch_scc1 .LBB35_65
	s_branch .LBB35_61
.LBB35_66:                              ;   in Loop: Header=BB35_3 Depth=1
	s_mov_b32 s20, 0
.LBB35_67:                              ;   in Loop: Header=BB35_3 Depth=1
	s_wait_alu 0xfffe
	s_and_not1_b32 vcc_lo, exec_lo, s20
	s_wait_alu 0xfffe
	s_cbranch_vccnz .LBB35_79
; %bb.68:                               ;   in Loop: Header=BB35_3 Depth=1
	s_and_not1_b32 vcc_lo, exec_lo, s27
	s_mov_b32 s36, 0
	s_wait_alu 0xfffe
	s_cbranch_vccnz .LBB35_74
; %bb.69:                               ;   in Loop: Header=BB35_3 Depth=1
	s_mov_b32 s20, 0
	s_mov_b32 s21, 0
.LBB35_70:                              ;   Parent Loop BB35_3 Depth=1
                                        ; =>  This Loop Header: Depth=2
                                        ;       Child Loop BB35_71 Depth 3
	s_wait_alu 0xfffe
	s_mul_i32 s36, s21, 28
	v_mov_b32_e32 v15, v1
	s_wait_alu 0xfffe
	v_lshl_add_u32 v14, s36, 2, v1
	s_cmp_eq_u32 s21, 0
	s_mov_b32 s37, s20
	s_mov_b32 s38, s21
	ds_load_2addr_b32 v[4:5], v14 offset1:28
	ds_load_2addr_b32 v[2:3], v14 offset0:56 offset1:84
	s_cbranch_scc1 .LBB35_72
.LBB35_71:                              ;   Parent Loop BB35_3 Depth=1
                                        ;     Parent Loop BB35_70 Depth=2
                                        ; =>    This Inner Loop Header: Depth=3
	s_wait_alu 0xfffe
	v_mov_b32_e32 v18, s37
	s_add_co_i32 s38, s38, -1
	s_add_co_i32 s37, s37, 4
	s_wait_alu 0xfffe
	s_cmp_eq_u32 s38, 0
	ds_load_b32 v20, v15
	ds_load_2addr_b32 v[16:17], v18 offset1:28
	ds_load_2addr_b32 v[18:19], v18 offset0:56 offset1:84
	v_add_nc_u32_e32 v15, 0x70, v15
	s_wait_dscnt 0x1
	v_fma_f32 v4, -v20, v16, v4
	v_fma_f32 v5, -v20, v17, v5
	s_wait_dscnt 0x0
	v_fma_f32 v2, -v20, v18, v2
	v_fma_f32 v3, -v20, v19, v3
	s_cbranch_scc0 .LBB35_71
.LBB35_72:                              ;   in Loop: Header=BB35_70 Depth=2
	s_mul_i32 s37, s21, 0x74
	s_lshl_b32 s36, s36, 2
	s_wait_alu 0xfffe
	v_mov_b32_e32 v15, s37
	s_lshl_b32 s37, s21, 2
	s_addk_co_i32 s20, 0x1c0
	s_wait_alu 0xfffe
	s_add_co_i32 s36, s36, s37
	ds_load_b32 v20, v15
	s_wait_dscnt 0x0
	v_div_scale_f32 v22, null, v20, v20, v4
	v_div_scale_f32 v25, vcc_lo, v4, v20, v4
	s_delay_alu instid0(VALU_DEP_2) | instskip(NEXT) | instid1(TRANS32_DEP_1)
	v_rcp_f32_e32 v23, v22
	v_fma_f32 v24, -v22, v23, 1.0
	s_delay_alu instid0(VALU_DEP_1) | instskip(NEXT) | instid1(VALU_DEP_1)
	v_fmac_f32_e32 v23, v24, v23
	v_mul_f32_e32 v24, v25, v23
	s_delay_alu instid0(VALU_DEP_1)
	v_fma_f32 v26, -v22, v24, v25
	s_wait_alu 0xfffe
	v_mov_b32_e32 v21, s36
	s_add_co_i32 s36, s21, 4
	s_add_co_i32 s21, s21, 7
	s_wait_alu 0xfffe
	s_cmp_ge_i32 s21, s1
	v_fmac_f32_e32 v24, v26, v23
	ds_load_b64 v[15:16], v21 offset:112
	ds_load_b96 v[17:19], v21 offset:224
	v_fma_f32 v22, -v22, v24, v25
	s_wait_alu 0xfffd
	s_delay_alu instid0(VALU_DEP_1) | instskip(NEXT) | instid1(VALU_DEP_1)
	v_div_fmas_f32 v22, v22, v23, v24
	v_div_fixup_f32 v4, v22, v20, v4
	s_wait_dscnt 0x1
	s_delay_alu instid0(VALU_DEP_1) | instskip(SKIP_2) | instid1(VALU_DEP_2)
	v_fma_f32 v5, -v4, v15, v5
	s_wait_dscnt 0x0
	v_fma_f32 v2, -v4, v17, v2
	v_div_scale_f32 v15, null, v16, v16, v5
	v_div_scale_f32 v23, vcc_lo, v5, v16, v5
	s_delay_alu instid0(VALU_DEP_2) | instskip(NEXT) | instid1(TRANS32_DEP_1)
	v_rcp_f32_e32 v20, v15
	v_fma_f32 v22, -v15, v20, 1.0
	s_delay_alu instid0(VALU_DEP_1) | instskip(NEXT) | instid1(VALU_DEP_1)
	v_fmac_f32_e32 v20, v22, v20
	v_mul_f32_e32 v22, v23, v20
	s_delay_alu instid0(VALU_DEP_1) | instskip(NEXT) | instid1(VALU_DEP_1)
	v_fma_f32 v24, -v15, v22, v23
	v_fmac_f32_e32 v22, v24, v20
	s_delay_alu instid0(VALU_DEP_1) | instskip(SKIP_1) | instid1(VALU_DEP_1)
	v_fma_f32 v15, -v15, v22, v23
	s_wait_alu 0xfffd
	v_div_fmas_f32 v15, v15, v20, v22
	s_delay_alu instid0(VALU_DEP_1) | instskip(NEXT) | instid1(VALU_DEP_1)
	v_div_fixup_f32 v5, v15, v16, v5
	v_fma_f32 v2, -v5, v18, v2
	s_delay_alu instid0(VALU_DEP_1) | instskip(SKIP_1) | instid1(VALU_DEP_2)
	v_div_scale_f32 v20, null, v19, v19, v2
	v_div_scale_f32 v23, vcc_lo, v2, v19, v2
	v_rcp_f32_e32 v22, v20
	s_delay_alu instid0(TRANS32_DEP_1) | instskip(NEXT) | instid1(VALU_DEP_1)
	v_fma_f32 v15, -v20, v22, 1.0
	v_fmac_f32_e32 v22, v15, v22
	ds_load_b128 v[15:18], v21 offset:336
	v_mul_f32_e32 v21, v23, v22
	s_delay_alu instid0(VALU_DEP_1) | instskip(NEXT) | instid1(VALU_DEP_1)
	v_fma_f32 v24, -v20, v21, v23
	v_fmac_f32_e32 v21, v24, v22
	s_delay_alu instid0(VALU_DEP_1) | instskip(SKIP_3) | instid1(VALU_DEP_2)
	v_fma_f32 v20, -v20, v21, v23
	s_wait_dscnt 0x0
	v_fma_f32 v3, -v4, v15, v3
	s_wait_alu 0xfffd
	v_div_fmas_f32 v15, v20, v22, v21
	s_delay_alu instid0(VALU_DEP_2) | instskip(NEXT) | instid1(VALU_DEP_2)
	v_fma_f32 v3, -v5, v16, v3
	v_div_fixup_f32 v2, v15, v19, v2
	s_delay_alu instid0(VALU_DEP_1) | instskip(NEXT) | instid1(VALU_DEP_1)
	v_fma_f32 v3, -v2, v17, v3
	v_div_scale_f32 v15, null, v18, v18, v3
	v_div_scale_f32 v19, vcc_lo, v3, v18, v3
	s_delay_alu instid0(VALU_DEP_2) | instskip(NEXT) | instid1(TRANS32_DEP_1)
	v_rcp_f32_e32 v16, v15
	v_fma_f32 v17, -v15, v16, 1.0
	s_delay_alu instid0(VALU_DEP_1) | instskip(NEXT) | instid1(VALU_DEP_1)
	v_fmac_f32_e32 v16, v17, v16
	v_mul_f32_e32 v17, v19, v16
	s_delay_alu instid0(VALU_DEP_1) | instskip(NEXT) | instid1(VALU_DEP_1)
	v_fma_f32 v20, -v15, v17, v19
	v_fmac_f32_e32 v17, v20, v16
	s_delay_alu instid0(VALU_DEP_1) | instskip(SKIP_1) | instid1(VALU_DEP_1)
	v_fma_f32 v15, -v15, v17, v19
	s_wait_alu 0xfffd
	v_div_fmas_f32 v15, v15, v16, v17
	s_delay_alu instid0(VALU_DEP_1)
	v_div_fixup_f32 v3, v15, v18, v3
	ds_store_2addr_b32 v14, v4, v5 offset1:28
	ds_store_2addr_b32 v14, v2, v3 offset0:56 offset1:84
	s_cbranch_scc1 .LBB35_74
; %bb.73:                               ;   in Loop: Header=BB35_70 Depth=2
	s_mov_b32 s21, s36
	s_branch .LBB35_70
.LBB35_74:                              ;   in Loop: Header=BB35_3 Depth=1
	s_cmp_ge_i32 s36, s1
	s_cbranch_scc1 .LBB35_79
; %bb.75:                               ;   in Loop: Header=BB35_3 Depth=1
	s_mul_i32 s20, s36, 0x70
	s_branch .LBB35_77
.LBB35_76:                              ;   in Loop: Header=BB35_77 Depth=2
	s_mul_i32 s21, s36, 0x74
	s_add_co_i32 s36, s36, 1
	s_wait_alu 0xfffe
	v_mov_b32_e32 v4, s21
	s_addk_co_i32 s20, 0x70
	s_cmp_ge_i32 s36, s1
	ds_load_b32 v4, v4
	s_wait_dscnt 0x0
	v_div_scale_f32 v5, null, v4, v4, v3
	s_delay_alu instid0(VALU_DEP_1) | instskip(NEXT) | instid1(TRANS32_DEP_1)
	v_rcp_f32_e32 v14, v5
	v_fma_f32 v15, -v5, v14, 1.0
	s_delay_alu instid0(VALU_DEP_1) | instskip(SKIP_1) | instid1(VALU_DEP_1)
	v_fmac_f32_e32 v14, v15, v14
	v_div_scale_f32 v15, vcc_lo, v3, v4, v3
	v_mul_f32_e32 v16, v15, v14
	s_delay_alu instid0(VALU_DEP_1) | instskip(NEXT) | instid1(VALU_DEP_1)
	v_fma_f32 v17, -v5, v16, v15
	v_fmac_f32_e32 v16, v17, v14
	s_delay_alu instid0(VALU_DEP_1) | instskip(SKIP_1) | instid1(VALU_DEP_1)
	v_fma_f32 v5, -v5, v16, v15
	s_wait_alu 0xfffd
	v_div_fmas_f32 v5, v5, v14, v16
	s_delay_alu instid0(VALU_DEP_1)
	v_div_fixup_f32 v3, v5, v4, v3
	ds_store_b32 v2, v3
	s_cbranch_scc1 .LBB35_79
.LBB35_77:                              ;   Parent Loop BB35_3 Depth=1
                                        ; =>  This Loop Header: Depth=2
                                        ;       Child Loop BB35_78 Depth 3
	v_mad_co_u64_u32 v[2:3], null, 0x70, s36, v[1:2]
	v_mov_b32_e32 v4, v1
	s_cmp_eq_u32 s36, 0
	s_wait_alu 0xfffe
	s_mov_b32 s21, s20
	s_mov_b32 s37, s36
	ds_load_b32 v3, v2
	s_cbranch_scc1 .LBB35_76
.LBB35_78:                              ;   Parent Loop BB35_3 Depth=1
                                        ;     Parent Loop BB35_77 Depth=2
                                        ; =>    This Inner Loop Header: Depth=3
	s_wait_alu 0xfffe
	v_mov_b32_e32 v5, s21
	s_add_co_i32 s37, s37, -1
	s_add_co_i32 s21, s21, 4
	s_wait_alu 0xfffe
	s_cmp_eq_u32 s37, 0
	ds_load_b32 v14, v4
	ds_load_b32 v5, v5
	v_add_nc_u32_e32 v4, 0x70, v4
	s_wait_dscnt 0x0
	v_fma_f32 v3, -v14, v5, v3
	s_cbranch_scc0 .LBB35_78
	s_branch .LBB35_76
.LBB35_79:                              ;   in Loop: Header=BB35_3 Depth=1
	s_and_saveexec_b32 s20, s28
	s_cbranch_execz .LBB35_2
; %bb.80:                               ;   in Loop: Header=BB35_3 Depth=1
	v_add_co_u32 v2, vcc_lo, v12, v0
	s_wait_alu 0xfffd
	v_add_co_ci_u32_e64 v3, null, 0, v13, vcc_lo
	v_mov_b32_e32 v4, v1
	s_mov_b32 s21, s12
.LBB35_81:                              ;   Parent Loop BB35_3 Depth=1
                                        ; =>  This Inner Loop Header: Depth=2
	ds_load_b32 v5, v4
	v_add_nc_u32_e32 v4, 0x70, v4
	s_wait_alu 0xfffe
	s_add_co_i32 s21, s21, -1
	s_wait_alu 0xfffe
	s_cmp_lg_u32 s21, 0
	s_wait_dscnt 0x0
	flat_store_b32 v[2:3], v5
	v_add_co_u32 v2, vcc_lo, v2, s18
	s_wait_alu 0xfffd
	v_add_co_ci_u32_e64 v3, null, s19, v3, vcc_lo
	s_cbranch_scc1 .LBB35_81
	s_branch .LBB35_2
.LBB35_82:
	s_endpgm
	.section	.rodata,"a",@progbits
	.p2align	6, 0x0
	.amdhsa_kernel _ZL31rocblas_trsm_small_right_deviceIffPKPKfPKPfLi28EEv13rocblas_fill_18rocblas_operation_17rocblas_diagonal_iiT0_T1_lilT2_lili
		.amdhsa_group_segment_fixed_size 6272
		.amdhsa_private_segment_fixed_size 0
		.amdhsa_kernarg_size 352
		.amdhsa_user_sgpr_count 2
		.amdhsa_user_sgpr_dispatch_ptr 0
		.amdhsa_user_sgpr_queue_ptr 0
		.amdhsa_user_sgpr_kernarg_segment_ptr 1
		.amdhsa_user_sgpr_dispatch_id 0
		.amdhsa_user_sgpr_private_segment_size 0
		.amdhsa_wavefront_size32 1
		.amdhsa_uses_dynamic_stack 0
		.amdhsa_enable_private_segment 0
		.amdhsa_system_sgpr_workgroup_id_x 1
		.amdhsa_system_sgpr_workgroup_id_y 0
		.amdhsa_system_sgpr_workgroup_id_z 1
		.amdhsa_system_sgpr_workgroup_info 0
		.amdhsa_system_vgpr_workitem_id 0
		.amdhsa_next_free_vgpr 241
		.amdhsa_next_free_sgpr 42
		.amdhsa_reserve_vcc 1
		.amdhsa_float_round_mode_32 0
		.amdhsa_float_round_mode_16_64 0
		.amdhsa_float_denorm_mode_32 3
		.amdhsa_float_denorm_mode_16_64 3
		.amdhsa_fp16_overflow 0
		.amdhsa_workgroup_processor_mode 1
		.amdhsa_memory_ordered 1
		.amdhsa_forward_progress 1
		.amdhsa_inst_pref_size 52
		.amdhsa_round_robin_scheduling 0
		.amdhsa_exception_fp_ieee_invalid_op 0
		.amdhsa_exception_fp_denorm_src 0
		.amdhsa_exception_fp_ieee_div_zero 0
		.amdhsa_exception_fp_ieee_overflow 0
		.amdhsa_exception_fp_ieee_underflow 0
		.amdhsa_exception_fp_ieee_inexact 0
		.amdhsa_exception_int_div_zero 0
	.end_amdhsa_kernel
	.section	.text._ZL31rocblas_trsm_small_right_deviceIffPKPKfPKPfLi28EEv13rocblas_fill_18rocblas_operation_17rocblas_diagonal_iiT0_T1_lilT2_lili,"axG",@progbits,_ZL31rocblas_trsm_small_right_deviceIffPKPKfPKPfLi28EEv13rocblas_fill_18rocblas_operation_17rocblas_diagonal_iiT0_T1_lilT2_lili,comdat
.Lfunc_end35:
	.size	_ZL31rocblas_trsm_small_right_deviceIffPKPKfPKPfLi28EEv13rocblas_fill_18rocblas_operation_17rocblas_diagonal_iiT0_T1_lilT2_lili, .Lfunc_end35-_ZL31rocblas_trsm_small_right_deviceIffPKPKfPKPfLi28EEv13rocblas_fill_18rocblas_operation_17rocblas_diagonal_iiT0_T1_lilT2_lili
                                        ; -- End function
	.set _ZL31rocblas_trsm_small_right_deviceIffPKPKfPKPfLi28EEv13rocblas_fill_18rocblas_operation_17rocblas_diagonal_iiT0_T1_lilT2_lili.num_vgpr, 30
	.set _ZL31rocblas_trsm_small_right_deviceIffPKPKfPKPfLi28EEv13rocblas_fill_18rocblas_operation_17rocblas_diagonal_iiT0_T1_lilT2_lili.num_agpr, 0
	.set _ZL31rocblas_trsm_small_right_deviceIffPKPKfPKPfLi28EEv13rocblas_fill_18rocblas_operation_17rocblas_diagonal_iiT0_T1_lilT2_lili.numbered_sgpr, 42
	.set _ZL31rocblas_trsm_small_right_deviceIffPKPKfPKPfLi28EEv13rocblas_fill_18rocblas_operation_17rocblas_diagonal_iiT0_T1_lilT2_lili.num_named_barrier, 0
	.set _ZL31rocblas_trsm_small_right_deviceIffPKPKfPKPfLi28EEv13rocblas_fill_18rocblas_operation_17rocblas_diagonal_iiT0_T1_lilT2_lili.private_seg_size, 0
	.set _ZL31rocblas_trsm_small_right_deviceIffPKPKfPKPfLi28EEv13rocblas_fill_18rocblas_operation_17rocblas_diagonal_iiT0_T1_lilT2_lili.uses_vcc, 1
	.set _ZL31rocblas_trsm_small_right_deviceIffPKPKfPKPfLi28EEv13rocblas_fill_18rocblas_operation_17rocblas_diagonal_iiT0_T1_lilT2_lili.uses_flat_scratch, 0
	.set _ZL31rocblas_trsm_small_right_deviceIffPKPKfPKPfLi28EEv13rocblas_fill_18rocblas_operation_17rocblas_diagonal_iiT0_T1_lilT2_lili.has_dyn_sized_stack, 0
	.set _ZL31rocblas_trsm_small_right_deviceIffPKPKfPKPfLi28EEv13rocblas_fill_18rocblas_operation_17rocblas_diagonal_iiT0_T1_lilT2_lili.has_recursion, 0
	.set _ZL31rocblas_trsm_small_right_deviceIffPKPKfPKPfLi28EEv13rocblas_fill_18rocblas_operation_17rocblas_diagonal_iiT0_T1_lilT2_lili.has_indirect_call, 0
	.section	.AMDGPU.csdata,"",@progbits
; Kernel info:
; codeLenInByte = 6532
; TotalNumSgprs: 44
; NumVgprs: 30
; ScratchSize: 0
; MemoryBound: 0
; FloatMode: 240
; IeeeMode: 1
; LDSByteSize: 6272 bytes/workgroup (compile time only)
; SGPRBlocks: 0
; VGPRBlocks: 30
; NumSGPRsForWavesPerEU: 44
; NumVGPRsForWavesPerEU: 241
; Occupancy: 5
; WaveLimiterHint : 0
; COMPUTE_PGM_RSRC2:SCRATCH_EN: 0
; COMPUTE_PGM_RSRC2:USER_SGPR: 2
; COMPUTE_PGM_RSRC2:TRAP_HANDLER: 0
; COMPUTE_PGM_RSRC2:TGID_X_EN: 1
; COMPUTE_PGM_RSRC2:TGID_Y_EN: 0
; COMPUTE_PGM_RSRC2:TGID_Z_EN: 1
; COMPUTE_PGM_RSRC2:TIDIG_COMP_CNT: 0
	.section	.text._ZL38rocblas_trsm_small_left_device_sharedBILi32ELi32ELb0EffPKPKfPKPfEv13rocblas_fill_18rocblas_operation_17rocblas_diagonal_iiT3_T4_lilT5_lili,"axG",@progbits,_ZL38rocblas_trsm_small_left_device_sharedBILi32ELi32ELb0EffPKPKfPKPfEv13rocblas_fill_18rocblas_operation_17rocblas_diagonal_iiT3_T4_lilT5_lili,comdat
	.globl	_ZL38rocblas_trsm_small_left_device_sharedBILi32ELi32ELb0EffPKPKfPKPfEv13rocblas_fill_18rocblas_operation_17rocblas_diagonal_iiT3_T4_lilT5_lili ; -- Begin function _ZL38rocblas_trsm_small_left_device_sharedBILi32ELi32ELb0EffPKPKfPKPfEv13rocblas_fill_18rocblas_operation_17rocblas_diagonal_iiT3_T4_lilT5_lili
	.p2align	8
	.type	_ZL38rocblas_trsm_small_left_device_sharedBILi32ELi32ELb0EffPKPKfPKPfEv13rocblas_fill_18rocblas_operation_17rocblas_diagonal_iiT3_T4_lilT5_lili,@function
_ZL38rocblas_trsm_small_left_device_sharedBILi32ELi32ELb0EffPKPKfPKPfEv13rocblas_fill_18rocblas_operation_17rocblas_diagonal_iiT3_T4_lilT5_lili: ; @_ZL38rocblas_trsm_small_left_device_sharedBILi32ELi32ELb0EffPKPKfPKPfEv13rocblas_fill_18rocblas_operation_17rocblas_diagonal_iiT3_T4_lilT5_lili
; %bb.0:
	s_load_b32 s24, s[0:1], 0x58
	s_lshr_b32 s2, ttmp7, 16
	s_wait_kmcnt 0x0
	s_cmp_ge_u32 s2, s24
	s_cbranch_scc1 .LBB36_57
; %bb.1:
	s_clause 0x6
	s_load_b32 s18, s[0:1], 0x28
	s_load_b32 s20, s[0:1], 0x48
	s_load_b128 s[12:15], s[0:1], 0x4
	s_load_b32 s3, s[0:1], 0x60
	s_load_b128 s[4:7], s[0:1], 0x18
	s_load_b128 s[8:11], s[0:1], 0x38
	s_load_b32 s1, s[0:1], 0x14
	v_dual_mov_b32 v1, 0 :: v_dual_lshlrev_b32 v68, 2, v0
	s_lshl_b32 s22, ttmp9, 5
	v_lshlrev_b32_e32 v35, 7, v0
	s_mov_b32 s17, 0
	s_delay_alu instid0(VALU_DEP_2)
	v_or_b32_e32 v69, 0x1000, v68
	v_dual_mov_b32 v31, v1 :: v_dual_mov_b32 v32, v1
	v_dual_mov_b32 v2, v1 :: v_dual_mov_b32 v3, v1
	;; [unrolled: 1-line block ×3, first 2 shown]
	v_mov_b32_e32 v6, v1
	s_wait_kmcnt 0x0
	s_ashr_i32 s19, s18, 31
	s_ashr_i32 s21, s20, 31
	s_min_i32 s25, s14, 32
	s_add_co_i32 s3, s3, -1
	s_sub_co_i32 s0, s15, s22
	s_add_co_i32 s26, s25, -1
	v_mad_co_i64_i32 v[33:34], null, s20, v0, 0
	s_cmp_ge_u32 ttmp9, s3
	v_dual_mov_b32 v7, v1 :: v_dual_mov_b32 v8, v1
	s_cselect_b32 s3, s0, 32
	s_ashr_i32 s23, s22, 31
	s_cmp_lg_u32 s13, 0x84
	v_cmp_gt_i32_e32 vcc_lo, s3, v0
	s_cselect_b32 s27, -1, 0
	s_cmp_gt_i32 s14, 0
	v_dual_mov_b32 v9, v1 :: v_dual_mov_b32 v10, v1
	v_dual_mov_b32 v11, v1 :: v_dual_mov_b32 v12, v1
	;; [unrolled: 1-line block ×11, first 2 shown]
	v_cmp_gt_i32_e64 s0, s25, v0
	s_cselect_b32 s3, -1, 0
	s_cmp_lg_u32 s12, 0x6f
	v_lshlrev_b32_e32 v0, 2, v0
	v_lshlrev_b64_e32 v[66:67], 2, v[33:34]
	v_mov_b32_e32 v33, v32
	v_mov_b32_e32 v32, v31
	v_dual_mov_b32 v31, v30 :: v_dual_add_nc_u32 v70, v68, v35
	v_mov_b32_e32 v30, v29
	v_mov_b32_e32 v29, v28
	;; [unrolled: 1-line block ×29, first 2 shown]
	s_mul_u64 s[14:15], s[20:21], s[22:23]
	s_cselect_b32 s28, -1, 0
	s_lshl_b32 s30, s25, 7
	s_wait_alu 0xfffe
	s_and_b32 s29, vcc_lo, s3
	s_lshl_b64 s[12:13], s[18:19], 2
	s_addk_co_i32 s30, 0xff80
	s_lshl_b64 s[6:7], s[6:7], 2
	s_lshl_b64 s[10:11], s[10:11], 2
	;; [unrolled: 1-line block ×3, first 2 shown]
	s_branch .LBB36_3
.LBB36_2:                               ;   in Loop: Header=BB36_3 Depth=1
	s_wait_alu 0xfffe
	s_or_b32 exec_lo, exec_lo, s3
	v_dual_mov_b32 v2, v34 :: v_dual_mov_b32 v3, v35
	v_dual_mov_b32 v4, v36 :: v_dual_mov_b32 v5, v37
	;; [unrolled: 1-line block ×16, first 2 shown]
	s_add_co_i32 s2, s2, 0x10000
	s_wait_alu 0xfffe
	s_cmp_lt_u32 s2, s24
	s_cbranch_scc0 .LBB36_57
.LBB36_3:                               ; =>This Loop Header: Depth=1
                                        ;     Child Loop BB36_5 Depth 2
                                        ;     Child Loop BB36_11 Depth 2
	;; [unrolled: 1-line block ×3, first 2 shown]
                                        ;       Child Loop BB36_17 Depth 3
                                        ;         Child Loop BB36_18 Depth 4
                                        ;         Child Loop BB36_21 Depth 4
                                        ;           Child Loop BB36_22 Depth 5
                                        ;         Child Loop BB36_27 Depth 4
                                        ;           Child Loop BB36_29 Depth 5
                                        ;     Child Loop BB36_35 Depth 2
                                        ;       Child Loop BB36_38 Depth 3
                                        ;         Child Loop BB36_39 Depth 4
                                        ;         Child Loop BB36_41 Depth 4
                                        ;           Child Loop BB36_42 Depth 5
                                        ;         Child Loop BB36_47 Depth 4
                                        ;           Child Loop BB36_49 Depth 5
                                        ;     Child Loop BB36_56 Depth 2
	s_mov_b32 s3, s17
	s_wait_alu 0xfffe
	s_lshl_b64 s[18:19], s[2:3], 3
	s_delay_alu instid0(SALU_CYCLE_1)
	s_add_nc_u64 s[20:21], s[8:9], s[18:19]
	global_load_b64 v[34:35], v1, s[20:21]
	s_and_saveexec_b32 s3, s0
	s_cbranch_execz .LBB36_9
; %bb.4:                                ;   in Loop: Header=BB36_3 Depth=1
	s_add_nc_u64 s[18:19], s[4:5], s[18:19]
	v_mov_b32_e32 v38, v68
	global_load_b64 v[36:37], v1, s[18:19]
	s_mov_b32 s16, s25
	s_wait_loadcnt 0x0
	v_add_co_u32 v36, vcc_lo, v36, s6
	s_wait_alu 0xfffd
	v_add_co_ci_u32_e64 v37, null, s7, v37, vcc_lo
	s_delay_alu instid0(VALU_DEP_2) | instskip(SKIP_1) | instid1(VALU_DEP_2)
	v_add_co_u32 v36, vcc_lo, v36, v0
	s_wait_alu 0xfffd
	v_add_co_ci_u32_e64 v37, null, 0, v37, vcc_lo
.LBB36_5:                               ;   Parent Loop BB36_3 Depth=1
                                        ; =>  This Inner Loop Header: Depth=2
	flat_load_b32 v39, v[36:37]
	v_add_co_u32 v36, vcc_lo, v36, s12
	s_wait_alu 0xfffd
	v_add_co_ci_u32_e64 v37, null, s13, v37, vcc_lo
	s_add_co_i32 s16, s16, -1
	s_delay_alu instid0(SALU_CYCLE_1)
	s_cmp_eq_u32 s16, 0
	s_wait_loadcnt_dscnt 0x0
	ds_store_b32 v38, v39
	v_add_nc_u32_e32 v38, 0x80, v38
	s_cbranch_scc0 .LBB36_5
; %bb.6:                                ;   in Loop: Header=BB36_3 Depth=1
	v_mov_b32_e32 v36, 1.0
	s_and_b32 vcc_lo, exec_lo, s27
	s_wait_alu 0xfffe
	s_cbranch_vccz .LBB36_8
; %bb.7:                                ;   in Loop: Header=BB36_3 Depth=1
	ds_load_b32 v36, v70
	s_wait_dscnt 0x0
	v_div_scale_f32 v37, null, v36, v36, 1.0
	s_delay_alu instid0(VALU_DEP_1) | instskip(NEXT) | instid1(TRANS32_DEP_1)
	v_rcp_f32_e32 v38, v37
	v_fma_f32 v39, -v37, v38, 1.0
	s_delay_alu instid0(VALU_DEP_1) | instskip(SKIP_1) | instid1(VALU_DEP_1)
	v_fmac_f32_e32 v38, v39, v38
	v_div_scale_f32 v39, vcc_lo, 1.0, v36, 1.0
	v_mul_f32_e32 v40, v39, v38
	s_delay_alu instid0(VALU_DEP_1) | instskip(NEXT) | instid1(VALU_DEP_1)
	v_fma_f32 v41, -v37, v40, v39
	v_fmac_f32_e32 v40, v41, v38
	s_delay_alu instid0(VALU_DEP_1) | instskip(SKIP_1) | instid1(VALU_DEP_1)
	v_fma_f32 v37, -v37, v40, v39
	s_wait_alu 0xfffd
	v_div_fmas_f32 v37, v37, v38, v40
	s_delay_alu instid0(VALU_DEP_1)
	v_div_fixup_f32 v36, v37, v36, 1.0
.LBB36_8:                               ;   in Loop: Header=BB36_3 Depth=1
	ds_store_b32 v70, v36
.LBB36_9:                               ;   in Loop: Header=BB36_3 Depth=1
	s_wait_alu 0xfffe
	s_or_b32 exec_lo, exec_lo, s3
	s_wait_loadcnt 0x0
	v_add_co_u32 v34, vcc_lo, v34, s10
	s_wait_alu 0xfffd
	v_add_co_ci_u32_e64 v35, null, s11, v35, vcc_lo
	s_delay_alu instid0(VALU_DEP_2) | instskip(SKIP_1) | instid1(VALU_DEP_2)
	v_add_co_u32 v71, vcc_lo, v34, s14
	s_wait_alu 0xfffd
	v_add_co_ci_u32_e64 v72, null, s15, v35, vcc_lo
	s_and_saveexec_b32 s3, s29
	s_cbranch_execz .LBB36_12
; %bb.10:                               ;   in Loop: Header=BB36_3 Depth=1
	v_add_co_u32 v34, vcc_lo, v71, v66
	s_wait_alu 0xfffd
	v_add_co_ci_u32_e64 v35, null, v72, v67, vcc_lo
	v_mov_b32_e32 v36, v69
	s_mov_b32 s16, s25
.LBB36_11:                              ;   Parent Loop BB36_3 Depth=1
                                        ; =>  This Inner Loop Header: Depth=2
	flat_load_b32 v37, v[34:35]
	v_add_co_u32 v34, vcc_lo, v34, 4
	s_wait_alu 0xfffd
	v_add_co_ci_u32_e64 v35, null, 0, v35, vcc_lo
	s_add_co_i32 s16, s16, -1
	s_delay_alu instid0(SALU_CYCLE_1)
	s_cmp_lg_u32 s16, 0
	s_wait_loadcnt_dscnt 0x0
	v_mul_f32_e32 v37, s1, v37
	ds_store_b32 v36, v37
	v_add_nc_u32_e32 v36, 0x80, v36
	s_cbranch_scc1 .LBB36_11
.LBB36_12:                              ;   in Loop: Header=BB36_3 Depth=1
	s_wait_alu 0xfffe
	s_or_b32 exec_lo, exec_lo, s3
	s_delay_alu instid0(SALU_CYCLE_1)
	s_and_not1_b32 vcc_lo, exec_lo, s28
	s_mov_b32 s3, -1
	s_wait_dscnt 0x0
	; wave barrier
	global_inv scope:SCOPE_SE
                                        ; implicit-def: $vgpr34_vgpr35_vgpr36_vgpr37_vgpr38_vgpr39_vgpr40_vgpr41_vgpr42_vgpr43_vgpr44_vgpr45_vgpr46_vgpr47_vgpr48_vgpr49_vgpr50_vgpr51_vgpr52_vgpr53_vgpr54_vgpr55_vgpr56_vgpr57_vgpr58_vgpr59_vgpr60_vgpr61_vgpr62_vgpr63_vgpr64_vgpr65
	s_wait_alu 0xfffe
	s_cbranch_vccnz .LBB36_33
; %bb.13:                               ;   in Loop: Header=BB36_3 Depth=1
	v_dual_mov_b32 v65, v33 :: v_dual_mov_b32 v64, v32
	v_dual_mov_b32 v63, v31 :: v_dual_mov_b32 v62, v30
	;; [unrolled: 1-line block ×16, first 2 shown]
	s_mov_b32 s16, 0
	s_delay_alu instid0(SALU_CYCLE_1)
	s_mov_b32 s3, s16
.LBB36_14:                              ;   Parent Loop BB36_3 Depth=1
                                        ; =>  This Loop Header: Depth=2
                                        ;       Child Loop BB36_17 Depth 3
                                        ;         Child Loop BB36_18 Depth 4
                                        ;         Child Loop BB36_21 Depth 4
                                        ;           Child Loop BB36_22 Depth 5
                                        ;         Child Loop BB36_27 Depth 4
                                        ;           Child Loop BB36_29 Depth 5
	s_getpc_b64 s[18:19]
	s_sext_i32_i16 s19, s19
	s_add_co_u32 s18, s18, __const._ZL38rocblas_trsm_small_left_device_sharedBILi32ELi32ELb0EffPKPKfPKPfEv13rocblas_fill_18rocblas_operation_17rocblas_diagonal_iiT3_T4_lilT5_lili.step_sizes@rel32@lo+8
	s_add_co_ci_u32 s19, s19, __const._ZL38rocblas_trsm_small_left_device_sharedBILi32ELi32ELb0EffPKPKfPKPfEv13rocblas_fill_18rocblas_operation_17rocblas_diagonal_iiT3_T4_lilT5_lili.step_sizes@rel32@hi+16
	s_lshl_b64 s[20:21], s[16:17], 2
	s_wait_alu 0xfffe
	s_add_nc_u64 s[18:19], s[18:19], s[20:21]
	s_load_b32 s31, s[18:19], 0x0
	s_wait_kmcnt 0x0
	s_add_co_i32 s33, s31, -1
	s_wait_alu 0xfffe
	s_add_co_i32 s18, s33, s3
	s_delay_alu instid0(SALU_CYCLE_1)
	s_cmp_ge_i32 s18, s25
	s_cbranch_scc1 .LBB36_30
; %bb.15:                               ;   in Loop: Header=BB36_14 Depth=2
	s_lshl_b32 s34, s3, 7
	s_max_i32 s35, s31, 1
	s_wait_alu 0xfffe
	v_add_nc_u32_e32 v73, s34, v69
	s_lshl_b32 s36, s31, 7
	s_mul_i32 s37, s3, 0x84
	s_mul_i32 s38, s31, 0x84
	s_branch .LBB36_17
.LBB36_16:                              ;   in Loop: Header=BB36_17 Depth=3
	s_add_co_i32 s3, s3, s31
	v_add_nc_u32_e32 v73, s36, v73
	s_wait_alu 0xfffe
	s_add_co_i32 s18, s33, s3
	s_add_co_i32 s34, s34, s36
	;; [unrolled: 1-line block ×3, first 2 shown]
	s_cmp_ge_i32 s18, s25
	s_cbranch_scc1 .LBB36_30
.LBB36_17:                              ;   Parent Loop BB36_3 Depth=1
                                        ;     Parent Loop BB36_14 Depth=2
                                        ; =>    This Loop Header: Depth=3
                                        ;         Child Loop BB36_18 Depth 4
                                        ;         Child Loop BB36_21 Depth 4
                                        ;           Child Loop BB36_22 Depth 5
                                        ;         Child Loop BB36_27 Depth 4
                                        ;           Child Loop BB36_29 Depth 5
	v_mov_b32_e32 v74, v73
	s_mov_b64 s[18:19], 0
.LBB36_18:                              ;   Parent Loop BB36_3 Depth=1
                                        ;     Parent Loop BB36_14 Depth=2
                                        ;       Parent Loop BB36_17 Depth=3
                                        ; =>      This Inner Loop Header: Depth=4
	ds_load_b32 v75, v74
	v_add_nc_u32_e32 v74, 0x80, v74
	s_mov_b32 m0, s18
	s_add_nc_u64 s[18:19], s[18:19], 1
	s_delay_alu instid0(SALU_CYCLE_1)
	s_cmp_eq_u32 s35, s18
	s_wait_dscnt 0x0
	v_movreld_b32_e32 v34, v75
	s_cbranch_scc0 .LBB36_18
; %bb.19:                               ;   in Loop: Header=BB36_17 Depth=3
	s_cmp_lt_i32 s3, 1
	s_cbranch_scc1 .LBB36_24
; %bb.20:                               ;   in Loop: Header=BB36_17 Depth=3
	s_mov_b32 s20, 0
	s_wait_alu 0xfffe
	s_mov_b32 s21, s34
.LBB36_21:                              ;   Parent Loop BB36_3 Depth=1
                                        ;     Parent Loop BB36_14 Depth=2
                                        ;       Parent Loop BB36_17 Depth=3
                                        ; =>      This Loop Header: Depth=4
                                        ;           Child Loop BB36_22 Depth 5
	s_wait_alu 0xfffe
	v_lshl_add_u32 v74, s20, 7, v69
	s_mov_b64 s[18:19], 0
	s_mov_b32 s22, s21
	ds_load_b32 v74, v74
.LBB36_22:                              ;   Parent Loop BB36_3 Depth=1
                                        ;     Parent Loop BB36_14 Depth=2
                                        ;       Parent Loop BB36_17 Depth=3
                                        ;         Parent Loop BB36_21 Depth=4
                                        ; =>        This Inner Loop Header: Depth=5
	s_wait_alu 0xfffe
	v_mov_b32_e32 v75, s22
	s_mov_b32 m0, s18
	s_add_nc_u64 s[18:19], s[18:19], 1
	v_movrels_b32_e32 v76, v34
	s_addk_co_i32 s22, 0x80
	ds_load_b32 v75, v75
	s_cmp_eq_u32 s35, s18
	s_wait_dscnt 0x0
	v_fma_f32 v75, -v74, v75, v76
	s_delay_alu instid0(VALU_DEP_1)
	v_movreld_b32_e32 v34, v75
	s_cbranch_scc0 .LBB36_22
; %bb.23:                               ;   in Loop: Header=BB36_21 Depth=4
	s_add_co_i32 s20, s20, 1
	s_add_co_i32 s21, s21, 4
	s_wait_alu 0xfffe
	s_cmp_eq_u32 s20, s3
	s_cbranch_scc0 .LBB36_21
.LBB36_24:                              ;   in Loop: Header=BB36_17 Depth=3
	s_lshl_b32 s39, s3, 7
	s_mov_b64 s[18:19], 0
	s_wait_alu 0xfffe
	s_mov_b32 s40, s37
	s_branch .LBB36_27
.LBB36_25:                              ;   in Loop: Header=BB36_27 Depth=4
	s_mov_b32 s42, s3
	s_mov_b64 s[20:21], 0
	s_mov_b32 s41, s39
.LBB36_26:                              ;   in Loop: Header=BB36_27 Depth=4
	s_wait_alu 0xfffe
	s_mov_b32 m0, s20
	s_mul_i32 s20, s42, 0x84
	v_movrels_b32_e32 v75, v34
	s_wait_alu 0xfffe
	v_mov_b32_e32 v74, s20
	s_add_nc_u64 s[18:19], s[18:19], 1
	s_addk_co_i32 s40, 0x80
	s_cmp_eq_u32 s18, s35
	ds_load_b32 v74, v74
	s_wait_dscnt 0x0
	v_dual_mul_f32 v74, v75, v74 :: v_dual_add_nc_u32 v75, s41, v69
	s_delay_alu instid0(VALU_DEP_1)
	v_movreld_b32_e32 v34, v74
	ds_store_b32 v75, v74
	s_cbranch_scc1 .LBB36_16
.LBB36_27:                              ;   Parent Loop BB36_3 Depth=1
                                        ;     Parent Loop BB36_14 Depth=2
                                        ;       Parent Loop BB36_17 Depth=3
                                        ; =>      This Loop Header: Depth=4
                                        ;           Child Loop BB36_29 Depth 5
	s_cmp_eq_u32 s18, 0
	s_cbranch_scc1 .LBB36_25
; %bb.28:                               ;   in Loop: Header=BB36_27 Depth=4
	s_add_co_i32 s42, s18, s3
	s_mov_b64 s[20:21], s[18:19]
	s_mov_b64 s[22:23], 0
	s_lshl_b32 s41, s42, 7
	s_wait_alu 0xfffe
	s_mov_b32 s21, s40
.LBB36_29:                              ;   Parent Loop BB36_3 Depth=1
                                        ;     Parent Loop BB36_14 Depth=2
                                        ;       Parent Loop BB36_17 Depth=3
                                        ;         Parent Loop BB36_27 Depth=4
                                        ; =>        This Inner Loop Header: Depth=5
	s_wait_alu 0xfffe
	v_mov_b32_e32 v74, s21
	s_mov_b32 m0, s22
	s_add_nc_u64 s[22:23], s[22:23], 1
	v_movrels_b32_e32 v75, v34
	s_mov_b32 m0, s18
	ds_load_b32 v74, v74
	v_movrels_b32_e32 v76, v34
	s_add_co_i32 s21, s21, 4
	s_wait_alu 0xfffe
	s_cmp_eq_u32 s18, s22
	s_wait_dscnt 0x0
	v_fma_f32 v74, -v75, v74, v76
	s_delay_alu instid0(VALU_DEP_1)
	v_movreld_b32_e32 v34, v74
	s_cbranch_scc0 .LBB36_29
	s_branch .LBB36_26
.LBB36_30:                              ;   in Loop: Header=BB36_14 Depth=2
	s_cmp_lt_i32 s3, s25
	s_cselect_b32 s19, -1, 0
	s_add_co_i32 s18, s16, 1
	s_cmp_lt_u32 s16, 2
	s_cselect_b32 s16, -1, 0
	s_delay_alu instid0(SALU_CYCLE_1) | instskip(NEXT) | instid1(SALU_CYCLE_1)
	s_and_b32 s16, s19, s16
	s_and_b32 vcc_lo, exec_lo, s16
	s_wait_alu 0xfffe
	s_cbranch_vccz .LBB36_32
; %bb.31:                               ;   in Loop: Header=BB36_14 Depth=2
	s_mov_b32 s16, s18
	s_branch .LBB36_14
.LBB36_32:                              ;   in Loop: Header=BB36_3 Depth=1
	s_mov_b32 s3, 0
.LBB36_33:                              ;   in Loop: Header=BB36_3 Depth=1
	s_wait_alu 0xfffe
	s_and_b32 vcc_lo, exec_lo, s3
	s_wait_alu 0xfffe
	s_cbranch_vccz .LBB36_54
; %bb.34:                               ;   in Loop: Header=BB36_3 Depth=1
	s_mov_b32 s16, 0
	s_mov_b32 s3, s26
.LBB36_35:                              ;   Parent Loop BB36_3 Depth=1
                                        ; =>  This Loop Header: Depth=2
                                        ;       Child Loop BB36_38 Depth 3
                                        ;         Child Loop BB36_39 Depth 4
                                        ;         Child Loop BB36_41 Depth 4
                                        ;           Child Loop BB36_42 Depth 5
                                        ;         Child Loop BB36_47 Depth 4
                                        ;           Child Loop BB36_49 Depth 5
	s_getpc_b64 s[18:19]
	s_sext_i32_i16 s19, s19
	s_add_co_u32 s18, s18, __const._ZL38rocblas_trsm_small_left_device_sharedBILi32ELi32ELb0EffPKPKfPKPfEv13rocblas_fill_18rocblas_operation_17rocblas_diagonal_iiT3_T4_lilT5_lili.step_sizes@rel32@lo+8
	s_add_co_ci_u32 s19, s19, __const._ZL38rocblas_trsm_small_left_device_sharedBILi32ELi32ELb0EffPKPKfPKPfEv13rocblas_fill_18rocblas_operation_17rocblas_diagonal_iiT3_T4_lilT5_lili.step_sizes@rel32@hi+16
	s_lshl_b64 s[20:21], s[16:17], 2
	s_wait_alu 0xfffe
	s_add_nc_u64 s[18:19], s[18:19], s[20:21]
	s_load_b32 s22, s[18:19], 0x0
	s_wait_kmcnt 0x0
	s_add_co_i32 s23, s22, -1
	s_wait_alu 0xfffe
	s_cmp_lt_i32 s3, s23
	s_cbranch_scc1 .LBB36_51
; %bb.36:                               ;   in Loop: Header=BB36_35 Depth=2
	s_lshl_b32 s18, s22, 7
	v_lshl_add_u32 v34, s3, 7, v69
	s_sub_co_i32 s33, 0, s18
	s_lshl_b32 s18, s3, 2
	s_lshl_b32 s19, s22, 2
	s_max_i32 s31, s22, 1
	s_add_co_i32 s34, s30, s18
	s_sub_co_i32 s35, 0, s19
	s_mul_i32 s36, s3, 0x84
	s_mul_i32 s37, s22, 0xffffff7c
	s_branch .LBB36_38
.LBB36_37:                              ;   in Loop: Header=BB36_38 Depth=3
	v_add_nc_u32_e32 v34, s33, v34
	s_sub_co_i32 s3, s3, s22
	s_add_co_i32 s34, s34, s35
	s_add_co_i32 s36, s36, s37
	s_wait_alu 0xfffe
	s_cmp_lt_i32 s3, s23
	s_cbranch_scc1 .LBB36_51
.LBB36_38:                              ;   Parent Loop BB36_3 Depth=1
                                        ;     Parent Loop BB36_35 Depth=2
                                        ; =>    This Loop Header: Depth=3
                                        ;         Child Loop BB36_39 Depth 4
                                        ;         Child Loop BB36_41 Depth 4
                                        ;           Child Loop BB36_42 Depth 5
                                        ;         Child Loop BB36_47 Depth 4
                                        ;           Child Loop BB36_49 Depth 5
	v_mov_b32_e32 v35, v34
	s_mov_b64 s[18:19], 0
.LBB36_39:                              ;   Parent Loop BB36_3 Depth=1
                                        ;     Parent Loop BB36_35 Depth=2
                                        ;       Parent Loop BB36_38 Depth=3
                                        ; =>      This Inner Loop Header: Depth=4
	ds_load_b32 v36, v35
	v_add_nc_u32_e32 v35, 0xffffff80, v35
	s_mov_b32 m0, s18
	s_add_nc_u64 s[18:19], s[18:19], 1
	s_delay_alu instid0(SALU_CYCLE_1)
	s_cmp_eq_u32 s31, s18
	s_wait_dscnt 0x0
	v_movreld_b32_e32 v2, v36
	s_cbranch_scc0 .LBB36_39
; %bb.40:                               ;   in Loop: Header=BB36_38 Depth=3
	s_cmp_le_i32 s26, s3
	s_wait_alu 0xfffe
	s_mov_b32 s20, s34
	s_mov_b32 s21, s26
	s_cbranch_scc1 .LBB36_44
.LBB36_41:                              ;   Parent Loop BB36_3 Depth=1
                                        ;     Parent Loop BB36_35 Depth=2
                                        ;       Parent Loop BB36_38 Depth=3
                                        ; =>      This Loop Header: Depth=4
                                        ;           Child Loop BB36_42 Depth 5
	s_wait_alu 0xfffe
	v_lshl_add_u32 v35, s21, 7, v69
	s_mov_b64 s[18:19], 0
	s_mov_b32 s38, s20
	ds_load_b32 v35, v35
.LBB36_42:                              ;   Parent Loop BB36_3 Depth=1
                                        ;     Parent Loop BB36_35 Depth=2
                                        ;       Parent Loop BB36_38 Depth=3
                                        ;         Parent Loop BB36_41 Depth=4
                                        ; =>        This Inner Loop Header: Depth=5
	s_wait_alu 0xfffe
	v_mov_b32_e32 v36, s38
	s_mov_b32 m0, s18
	s_add_nc_u64 s[18:19], s[18:19], 1
	v_movrels_b32_e32 v37, v2
	s_add_co_i32 s38, s38, -4
	ds_load_b32 v36, v36
	s_cmp_eq_u32 s31, s18
	s_wait_dscnt 0x0
	v_fma_f32 v36, -v35, v36, v37
	s_delay_alu instid0(VALU_DEP_1)
	v_movreld_b32_e32 v2, v36
	s_cbranch_scc0 .LBB36_42
; %bb.43:                               ;   in Loop: Header=BB36_41 Depth=4
	s_add_co_i32 s21, s21, -1
	s_addk_co_i32 s20, 0xff80
	s_wait_alu 0xfffe
	s_cmp_le_i32 s21, s3
	s_cbranch_scc0 .LBB36_41
.LBB36_44:                              ;   in Loop: Header=BB36_38 Depth=3
	s_mov_b64 s[18:19], 0
	s_mov_b32 s38, s36
	s_branch .LBB36_47
.LBB36_45:                              ;   in Loop: Header=BB36_47 Depth=4
	s_mov_b32 s39, s3
	s_mov_b64 s[20:21], 0
.LBB36_46:                              ;   in Loop: Header=BB36_47 Depth=4
	s_wait_alu 0xfffe
	s_mov_b32 m0, s20
	s_mul_i32 s20, s39, 0x84
	v_movrels_b32_e32 v36, v2
	s_wait_alu 0xfffe
	v_mov_b32_e32 v35, s20
	s_add_nc_u64 s[18:19], s[18:19], 1
	s_add_co_i32 s38, s38, -4
	s_cmp_eq_u32 s18, s31
	ds_load_b32 v35, v35
	s_wait_dscnt 0x0
	v_mul_f32_e32 v35, v36, v35
	v_lshl_add_u32 v36, s39, 7, v69
	s_delay_alu instid0(VALU_DEP_2)
	v_movreld_b32_e32 v2, v35
	ds_store_b32 v36, v35
	s_cbranch_scc1 .LBB36_37
.LBB36_47:                              ;   Parent Loop BB36_3 Depth=1
                                        ;     Parent Loop BB36_35 Depth=2
                                        ;       Parent Loop BB36_38 Depth=3
                                        ; =>      This Loop Header: Depth=4
                                        ;           Child Loop BB36_49 Depth 5
	s_cmp_eq_u32 s18, 0
	s_cbranch_scc1 .LBB36_45
; %bb.48:                               ;   in Loop: Header=BB36_47 Depth=4
	s_sub_co_i32 s39, s3, s18
	s_mov_b64 s[20:21], 0
	s_wait_alu 0xfffe
	s_mov_b32 s40, s38
.LBB36_49:                              ;   Parent Loop BB36_3 Depth=1
                                        ;     Parent Loop BB36_35 Depth=2
                                        ;       Parent Loop BB36_38 Depth=3
                                        ;         Parent Loop BB36_47 Depth=4
                                        ; =>        This Inner Loop Header: Depth=5
	s_wait_alu 0xfffe
	v_mov_b32_e32 v35, s40
	s_mov_b32 m0, s20
	s_add_nc_u64 s[20:21], s[20:21], 1
	v_movrels_b32_e32 v36, v2
	s_mov_b32 m0, s18
	ds_load_b32 v35, v35
	v_movrels_b32_e32 v37, v2
	s_addk_co_i32 s40, 0xff80
	s_wait_alu 0xfffe
	s_cmp_eq_u32 s18, s20
	s_wait_dscnt 0x0
	v_fma_f32 v35, -v36, v35, v37
	s_delay_alu instid0(VALU_DEP_1)
	v_movreld_b32_e32 v2, v35
	s_cbranch_scc0 .LBB36_49
; %bb.50:                               ;   in Loop: Header=BB36_47 Depth=4
	s_mov_b64 s[20:21], s[18:19]
	s_branch .LBB36_46
.LBB36_51:                              ;   in Loop: Header=BB36_35 Depth=2
	s_cmp_gt_i32 s3, -1
	s_cselect_b32 s19, -1, 0
	s_add_co_i32 s18, s16, 1
	s_cmp_lt_u32 s16, 2
	s_cselect_b32 s16, -1, 0
	s_delay_alu instid0(SALU_CYCLE_1) | instskip(NEXT) | instid1(SALU_CYCLE_1)
	s_and_b32 s16, s19, s16
	s_and_not1_b32 vcc_lo, exec_lo, s16
	s_wait_alu 0xfffe
	s_cbranch_vccnz .LBB36_53
; %bb.52:                               ;   in Loop: Header=BB36_35 Depth=2
	s_mov_b32 s16, s18
	s_branch .LBB36_35
.LBB36_53:                              ;   in Loop: Header=BB36_3 Depth=1
	v_dual_mov_b32 v65, v33 :: v_dual_mov_b32 v64, v32
	v_dual_mov_b32 v63, v31 :: v_dual_mov_b32 v62, v30
	;; [unrolled: 1-line block ×16, first 2 shown]
.LBB36_54:                              ;   in Loop: Header=BB36_3 Depth=1
	; wave barrier
	s_wait_loadcnt_dscnt 0x0
	global_inv scope:SCOPE_SE
	s_and_saveexec_b32 s3, s29
	s_cbranch_execz .LBB36_2
; %bb.55:                               ;   in Loop: Header=BB36_3 Depth=1
	v_add_co_u32 v2, vcc_lo, v71, v66
	s_wait_alu 0xfffd
	v_add_co_ci_u32_e64 v3, null, v72, v67, vcc_lo
	v_mov_b32_e32 v4, v69
	s_mov_b32 s16, s25
.LBB36_56:                              ;   Parent Loop BB36_3 Depth=1
                                        ; =>  This Inner Loop Header: Depth=2
	ds_load_b32 v5, v4
	v_add_nc_u32_e32 v4, 0x80, v4
	s_add_co_i32 s16, s16, -1
	s_delay_alu instid0(SALU_CYCLE_1)
	s_cmp_lg_u32 s16, 0
	s_wait_dscnt 0x0
	flat_store_b32 v[2:3], v5
	v_add_co_u32 v2, vcc_lo, v2, 4
	s_wait_alu 0xfffd
	v_add_co_ci_u32_e64 v3, null, 0, v3, vcc_lo
	s_cbranch_scc1 .LBB36_56
	s_branch .LBB36_2
.LBB36_57:
	s_endpgm
	.section	.rodata,"a",@progbits
	.p2align	6, 0x0
	.amdhsa_kernel _ZL38rocblas_trsm_small_left_device_sharedBILi32ELi32ELb0EffPKPKfPKPfEv13rocblas_fill_18rocblas_operation_17rocblas_diagonal_iiT3_T4_lilT5_lili
		.amdhsa_group_segment_fixed_size 8192
		.amdhsa_private_segment_fixed_size 0
		.amdhsa_kernarg_size 352
		.amdhsa_user_sgpr_count 2
		.amdhsa_user_sgpr_dispatch_ptr 0
		.amdhsa_user_sgpr_queue_ptr 0
		.amdhsa_user_sgpr_kernarg_segment_ptr 1
		.amdhsa_user_sgpr_dispatch_id 0
		.amdhsa_user_sgpr_private_segment_size 0
		.amdhsa_wavefront_size32 1
		.amdhsa_uses_dynamic_stack 0
		.amdhsa_enable_private_segment 0
		.amdhsa_system_sgpr_workgroup_id_x 1
		.amdhsa_system_sgpr_workgroup_id_y 0
		.amdhsa_system_sgpr_workgroup_id_z 1
		.amdhsa_system_sgpr_workgroup_info 0
		.amdhsa_system_vgpr_workitem_id 0
		.amdhsa_next_free_vgpr 241
		.amdhsa_next_free_sgpr 43
		.amdhsa_reserve_vcc 1
		.amdhsa_float_round_mode_32 0
		.amdhsa_float_round_mode_16_64 0
		.amdhsa_float_denorm_mode_32 3
		.amdhsa_float_denorm_mode_16_64 3
		.amdhsa_fp16_overflow 0
		.amdhsa_workgroup_processor_mode 1
		.amdhsa_memory_ordered 1
		.amdhsa_forward_progress 1
		.amdhsa_inst_pref_size 22
		.amdhsa_round_robin_scheduling 0
		.amdhsa_exception_fp_ieee_invalid_op 0
		.amdhsa_exception_fp_denorm_src 0
		.amdhsa_exception_fp_ieee_div_zero 0
		.amdhsa_exception_fp_ieee_overflow 0
		.amdhsa_exception_fp_ieee_underflow 0
		.amdhsa_exception_fp_ieee_inexact 0
		.amdhsa_exception_int_div_zero 0
	.end_amdhsa_kernel
	.section	.text._ZL38rocblas_trsm_small_left_device_sharedBILi32ELi32ELb0EffPKPKfPKPfEv13rocblas_fill_18rocblas_operation_17rocblas_diagonal_iiT3_T4_lilT5_lili,"axG",@progbits,_ZL38rocblas_trsm_small_left_device_sharedBILi32ELi32ELb0EffPKPKfPKPfEv13rocblas_fill_18rocblas_operation_17rocblas_diagonal_iiT3_T4_lilT5_lili,comdat
.Lfunc_end36:
	.size	_ZL38rocblas_trsm_small_left_device_sharedBILi32ELi32ELb0EffPKPKfPKPfEv13rocblas_fill_18rocblas_operation_17rocblas_diagonal_iiT3_T4_lilT5_lili, .Lfunc_end36-_ZL38rocblas_trsm_small_left_device_sharedBILi32ELi32ELb0EffPKPKfPKPfEv13rocblas_fill_18rocblas_operation_17rocblas_diagonal_iiT3_T4_lilT5_lili
                                        ; -- End function
	.set _ZL38rocblas_trsm_small_left_device_sharedBILi32ELi32ELb0EffPKPKfPKPfEv13rocblas_fill_18rocblas_operation_17rocblas_diagonal_iiT3_T4_lilT5_lili.num_vgpr, 77
	.set _ZL38rocblas_trsm_small_left_device_sharedBILi32ELi32ELb0EffPKPKfPKPfEv13rocblas_fill_18rocblas_operation_17rocblas_diagonal_iiT3_T4_lilT5_lili.num_agpr, 0
	.set _ZL38rocblas_trsm_small_left_device_sharedBILi32ELi32ELb0EffPKPKfPKPfEv13rocblas_fill_18rocblas_operation_17rocblas_diagonal_iiT3_T4_lilT5_lili.numbered_sgpr, 43
	.set _ZL38rocblas_trsm_small_left_device_sharedBILi32ELi32ELb0EffPKPKfPKPfEv13rocblas_fill_18rocblas_operation_17rocblas_diagonal_iiT3_T4_lilT5_lili.num_named_barrier, 0
	.set _ZL38rocblas_trsm_small_left_device_sharedBILi32ELi32ELb0EffPKPKfPKPfEv13rocblas_fill_18rocblas_operation_17rocblas_diagonal_iiT3_T4_lilT5_lili.private_seg_size, 0
	.set _ZL38rocblas_trsm_small_left_device_sharedBILi32ELi32ELb0EffPKPKfPKPfEv13rocblas_fill_18rocblas_operation_17rocblas_diagonal_iiT3_T4_lilT5_lili.uses_vcc, 1
	.set _ZL38rocblas_trsm_small_left_device_sharedBILi32ELi32ELb0EffPKPKfPKPfEv13rocblas_fill_18rocblas_operation_17rocblas_diagonal_iiT3_T4_lilT5_lili.uses_flat_scratch, 0
	.set _ZL38rocblas_trsm_small_left_device_sharedBILi32ELi32ELb0EffPKPKfPKPfEv13rocblas_fill_18rocblas_operation_17rocblas_diagonal_iiT3_T4_lilT5_lili.has_dyn_sized_stack, 0
	.set _ZL38rocblas_trsm_small_left_device_sharedBILi32ELi32ELb0EffPKPKfPKPfEv13rocblas_fill_18rocblas_operation_17rocblas_diagonal_iiT3_T4_lilT5_lili.has_recursion, 0
	.set _ZL38rocblas_trsm_small_left_device_sharedBILi32ELi32ELb0EffPKPKfPKPfEv13rocblas_fill_18rocblas_operation_17rocblas_diagonal_iiT3_T4_lilT5_lili.has_indirect_call, 0
	.section	.AMDGPU.csdata,"",@progbits
; Kernel info:
; codeLenInByte = 2788
; TotalNumSgprs: 45
; NumVgprs: 77
; ScratchSize: 0
; MemoryBound: 0
; FloatMode: 240
; IeeeMode: 1
; LDSByteSize: 8192 bytes/workgroup (compile time only)
; SGPRBlocks: 0
; VGPRBlocks: 30
; NumSGPRsForWavesPerEU: 45
; NumVGPRsForWavesPerEU: 241
; Occupancy: 4
; WaveLimiterHint : 0
; COMPUTE_PGM_RSRC2:SCRATCH_EN: 0
; COMPUTE_PGM_RSRC2:USER_SGPR: 2
; COMPUTE_PGM_RSRC2:TRAP_HANDLER: 0
; COMPUTE_PGM_RSRC2:TGID_X_EN: 1
; COMPUTE_PGM_RSRC2:TGID_Y_EN: 0
; COMPUTE_PGM_RSRC2:TGID_Z_EN: 1
; COMPUTE_PGM_RSRC2:TIDIG_COMP_CNT: 0
	.section	.text._ZL30rocblas_trsm_small_left_deviceILi32ELi32ELb0EffPKPKfPKPfEv13rocblas_fill_18rocblas_operation_17rocblas_diagonal_iiT3_T4_lilT5_lili,"axG",@progbits,_ZL30rocblas_trsm_small_left_deviceILi32ELi32ELb0EffPKPKfPKPfEv13rocblas_fill_18rocblas_operation_17rocblas_diagonal_iiT3_T4_lilT5_lili,comdat
	.globl	_ZL30rocblas_trsm_small_left_deviceILi32ELi32ELb0EffPKPKfPKPfEv13rocblas_fill_18rocblas_operation_17rocblas_diagonal_iiT3_T4_lilT5_lili ; -- Begin function _ZL30rocblas_trsm_small_left_deviceILi32ELi32ELb0EffPKPKfPKPfEv13rocblas_fill_18rocblas_operation_17rocblas_diagonal_iiT3_T4_lilT5_lili
	.p2align	8
	.type	_ZL30rocblas_trsm_small_left_deviceILi32ELi32ELb0EffPKPKfPKPfEv13rocblas_fill_18rocblas_operation_17rocblas_diagonal_iiT3_T4_lilT5_lili,@function
_ZL30rocblas_trsm_small_left_deviceILi32ELi32ELb0EffPKPKfPKPfEv13rocblas_fill_18rocblas_operation_17rocblas_diagonal_iiT3_T4_lilT5_lili: ; @_ZL30rocblas_trsm_small_left_deviceILi32ELi32ELb0EffPKPKfPKPfEv13rocblas_fill_18rocblas_operation_17rocblas_diagonal_iiT3_T4_lilT5_lili
; %bb.0:
	s_load_b32 s33, s[0:1], 0x58
	s_lshr_b32 s2, ttmp7, 16
	s_wait_kmcnt 0x0
	s_cmp_ge_u32 s2, s33
	s_cbranch_scc1 .LBB37_53
; %bb.1:
	s_clause 0x6
	s_load_b32 s16, s[0:1], 0x28
	s_load_b128 s[12:15], s[0:1], 0x4
	s_load_b32 s3, s[0:1], 0x60
	s_load_b32 s18, s[0:1], 0x48
	s_load_b128 s[4:7], s[0:1], 0x18
	s_load_b128 s[8:11], s[0:1], 0x38
	s_load_b32 s34, s[0:1], 0x14
	s_lshl_b32 s0, ttmp9, 5
	v_dual_mov_b32 v1, 0 :: v_dual_lshlrev_b32 v74, 2, v0
	v_or_b32_e32 v2, s0, v0
	v_lshlrev_b32_e32 v33, 7, v0
	s_mov_b32 s40, 0
	s_delay_alu instid0(VALU_DEP_3)
	v_dual_mov_b32 v31, v1 :: v_dual_mov_b32 v32, v1
	v_dual_mov_b32 v5, v1 :: v_dual_mov_b32 v6, v1
	v_dual_mov_b32 v7, v1 :: v_dual_mov_b32 v8, v1
	s_wait_kmcnt 0x0
	s_ashr_i32 s17, s16, 31
	s_min_i32 s35, s14, 32
	s_add_co_i32 s3, s3, -1
	v_mad_co_i64_i32 v[2:3], null, s18, v2, 0
	s_sub_co_i32 s0, s15, s0
	s_add_co_i32 s36, s35, -1
	s_wait_alu 0xfffe
	s_cmp_ge_u32 ttmp9, s3
	v_dual_mov_b32 v9, v1 :: v_dual_mov_b32 v10, v1
	s_cselect_b32 s1, s0, 32
	s_cmp_lg_u32 s13, 0x84
	v_lshlrev_b64_e32 v[66:67], 2, v[2:3]
	s_cselect_b32 s37, -1, 0
	s_cmp_lg_u32 s12, 0x6f
	v_mov_b32_e32 v2, v1
	s_cselect_b32 s38, -1, 0
	s_lshl_b64 s[10:11], s[10:11], 2
	v_dual_mov_b32 v3, v1 :: v_dual_mov_b32 v4, v1
	v_dual_mov_b32 v11, v1 :: v_dual_mov_b32 v12, v1
	;; [unrolled: 1-line block ×11, first 2 shown]
	v_add_co_u32 v75, vcc_lo, v66, s10
	v_cmp_gt_i32_e64 s0, s35, v0
	s_wait_alu 0xfffe
	v_cmp_gt_i32_e64 s1, s1, v0
	v_lshlrev_b32_e32 v0, 2, v0
	v_add_nc_u32_e32 v77, v74, v33
	v_mov_b32_e32 v33, v32
	v_add_co_ci_u32_e64 v76, null, s11, v67, vcc_lo
	v_mov_b32_e32 v32, v31
	v_mov_b32_e32 v31, v30
	;; [unrolled: 1-line block ×31, first 2 shown]
	s_lshl_b32 s39, s35, 7
	s_lshl_b64 s[12:13], s[16:17], 2
	s_addk_co_i32 s39, 0xff80
	s_mov_b32 s15, 0
	s_lshl_b64 s[6:7], s[6:7], 2
	s_branch .LBB37_5
.LBB37_2:                               ;   in Loop: Header=BB37_5 Depth=1
	v_dual_mov_b32 v65, v33 :: v_dual_mov_b32 v64, v32
	v_dual_mov_b32 v63, v31 :: v_dual_mov_b32 v62, v30
	;; [unrolled: 1-line block ×16, first 2 shown]
.LBB37_3:                               ;   in Loop: Header=BB37_5 Depth=1
	s_add_co_i32 s2, s2, 0x10000
	s_delay_alu instid0(SALU_CYCLE_1) | instskip(SKIP_1) | instid1(SALU_CYCLE_1)
	s_cmp_ge_u32 s2, s33
	s_cselect_b32 s14, -1, 0
	s_or_not1_b32 s14, s14, exec_lo
.LBB37_4:                               ;   in Loop: Header=BB37_5 Depth=1
	s_or_b32 exec_lo, exec_lo, s3
	v_dual_mov_b32 v2, v34 :: v_dual_mov_b32 v3, v35
	v_dual_mov_b32 v4, v36 :: v_dual_mov_b32 v5, v37
	v_dual_mov_b32 v6, v38 :: v_dual_mov_b32 v7, v39
	v_dual_mov_b32 v8, v40 :: v_dual_mov_b32 v9, v41
	v_dual_mov_b32 v10, v42 :: v_dual_mov_b32 v11, v43
	v_dual_mov_b32 v12, v44 :: v_dual_mov_b32 v13, v45
	v_dual_mov_b32 v14, v46 :: v_dual_mov_b32 v15, v47
	v_dual_mov_b32 v16, v48 :: v_dual_mov_b32 v17, v49
	v_dual_mov_b32 v18, v50 :: v_dual_mov_b32 v19, v51
	v_dual_mov_b32 v20, v52 :: v_dual_mov_b32 v21, v53
	v_dual_mov_b32 v22, v54 :: v_dual_mov_b32 v23, v55
	v_dual_mov_b32 v24, v56 :: v_dual_mov_b32 v25, v57
	v_dual_mov_b32 v26, v58 :: v_dual_mov_b32 v27, v59
	v_dual_mov_b32 v28, v60 :: v_dual_mov_b32 v29, v61
	v_dual_mov_b32 v30, v62 :: v_dual_mov_b32 v31, v63
	v_dual_mov_b32 v32, v64 :: v_dual_mov_b32 v33, v65
	s_and_b32 s3, exec_lo, s14
	s_delay_alu instid0(SALU_CYCLE_1) | instskip(NEXT) | instid1(SALU_CYCLE_1)
	s_or_b32 s40, s3, s40
	s_and_not1_b32 exec_lo, exec_lo, s40
	s_cbranch_execz .LBB37_53
.LBB37_5:                               ; =>This Loop Header: Depth=1
                                        ;     Child Loop BB37_7 Depth 2
                                        ;     Child Loop BB37_14 Depth 2
                                        ;       Child Loop BB37_17 Depth 3
                                        ;         Child Loop BB37_18 Depth 4
                                        ;         Child Loop BB37_21 Depth 4
                                        ;           Child Loop BB37_22 Depth 5
                                        ;         Child Loop BB37_27 Depth 4
                                        ;           Child Loop BB37_29 Depth 5
                                        ;     Child Loop BB37_35 Depth 2
                                        ;       Child Loop BB37_38 Depth 3
                                        ;         Child Loop BB37_39 Depth 4
                                        ;         Child Loop BB37_41 Depth 4
                                        ;           Child Loop BB37_42 Depth 5
                                        ;         Child Loop BB37_47 Depth 4
                                        ;           Child Loop BB37_49 Depth 5
	s_mov_b32 s3, s15
	s_delay_alu instid0(SALU_CYCLE_1) | instskip(NEXT) | instid1(SALU_CYCLE_1)
	s_lshl_b64 s[16:17], s[2:3], 3
	s_add_nc_u64 s[18:19], s[8:9], s[16:17]
	global_load_b64 v[68:69], v1, s[18:19]
	s_and_saveexec_b32 s3, s0
	s_cbranch_execz .LBB37_11
; %bb.6:                                ;   in Loop: Header=BB37_5 Depth=1
	s_add_nc_u64 s[16:17], s[4:5], s[16:17]
	v_mov_b32_e32 v36, v74
	global_load_b64 v[34:35], v1, s[16:17]
	s_mov_b32 s14, s35
	s_wait_loadcnt 0x0
	v_add_co_u32 v34, vcc_lo, v34, s6
	s_wait_alu 0xfffd
	v_add_co_ci_u32_e64 v35, null, s7, v35, vcc_lo
	s_delay_alu instid0(VALU_DEP_2) | instskip(SKIP_1) | instid1(VALU_DEP_2)
	v_add_co_u32 v34, vcc_lo, v34, v0
	s_wait_alu 0xfffd
	v_add_co_ci_u32_e64 v35, null, 0, v35, vcc_lo
.LBB37_7:                               ;   Parent Loop BB37_5 Depth=1
                                        ; =>  This Inner Loop Header: Depth=2
	flat_load_b32 v37, v[34:35]
	v_add_co_u32 v34, vcc_lo, v34, s12
	s_wait_alu 0xfffd
	v_add_co_ci_u32_e64 v35, null, s13, v35, vcc_lo
	s_add_co_i32 s14, s14, -1
	s_delay_alu instid0(SALU_CYCLE_1)
	s_cmp_eq_u32 s14, 0
	s_wait_loadcnt_dscnt 0x0
	ds_store_b32 v36, v37
	v_add_nc_u32_e32 v36, 0x80, v36
	s_cbranch_scc0 .LBB37_7
; %bb.8:                                ;   in Loop: Header=BB37_5 Depth=1
	v_mov_b32_e32 v34, 1.0
	s_and_b32 vcc_lo, exec_lo, s37
	s_wait_alu 0xfffe
	s_cbranch_vccz .LBB37_10
; %bb.9:                                ;   in Loop: Header=BB37_5 Depth=1
	ds_load_b32 v34, v77
	s_wait_dscnt 0x0
	v_div_scale_f32 v35, null, v34, v34, 1.0
	s_delay_alu instid0(VALU_DEP_1) | instskip(NEXT) | instid1(TRANS32_DEP_1)
	v_rcp_f32_e32 v36, v35
	v_fma_f32 v37, -v35, v36, 1.0
	s_delay_alu instid0(VALU_DEP_1) | instskip(SKIP_1) | instid1(VALU_DEP_1)
	v_fmac_f32_e32 v36, v37, v36
	v_div_scale_f32 v37, vcc_lo, 1.0, v34, 1.0
	v_mul_f32_e32 v38, v37, v36
	s_delay_alu instid0(VALU_DEP_1) | instskip(NEXT) | instid1(VALU_DEP_1)
	v_fma_f32 v39, -v35, v38, v37
	v_fmac_f32_e32 v38, v39, v36
	s_delay_alu instid0(VALU_DEP_1) | instskip(SKIP_1) | instid1(VALU_DEP_1)
	v_fma_f32 v35, -v35, v38, v37
	s_wait_alu 0xfffd
	v_div_fmas_f32 v35, v35, v36, v38
	s_delay_alu instid0(VALU_DEP_1)
	v_div_fixup_f32 v34, v35, v34, 1.0
.LBB37_10:                              ;   in Loop: Header=BB37_5 Depth=1
	ds_store_b32 v77, v34
.LBB37_11:                              ;   in Loop: Header=BB37_5 Depth=1
	s_or_b32 exec_lo, exec_lo, s3
	s_mov_b32 s14, -1
	; wave barrier
	s_wait_loadcnt_dscnt 0x0
	global_inv scope:SCOPE_SE
                                        ; implicit-def: $vgpr34_vgpr35_vgpr36_vgpr37_vgpr38_vgpr39_vgpr40_vgpr41_vgpr42_vgpr43_vgpr44_vgpr45_vgpr46_vgpr47_vgpr48_vgpr49_vgpr50_vgpr51_vgpr52_vgpr53_vgpr54_vgpr55_vgpr56_vgpr57_vgpr58_vgpr59_vgpr60_vgpr61_vgpr62_vgpr63_vgpr64_vgpr65
	s_and_saveexec_b32 s3, s1
	s_cbranch_execz .LBB37_4
; %bb.12:                               ;   in Loop: Header=BB37_5 Depth=1
	v_add_co_u32 v34, vcc_lo, v68, s10
	s_wait_alu 0xfffd
	v_add_co_ci_u32_e64 v35, null, s11, v69, vcc_lo
	s_delay_alu instid0(VALU_DEP_2) | instskip(SKIP_1) | instid1(VALU_DEP_2)
	v_add_co_u32 v78, vcc_lo, v34, v66
	s_wait_alu 0xfffd
	v_add_co_ci_u32_e64 v79, null, v35, v67, vcc_lo
	s_and_not1_b32 vcc_lo, exec_lo, s38
                                        ; implicit-def: $vgpr34_vgpr35_vgpr36_vgpr37_vgpr38_vgpr39_vgpr40_vgpr41_vgpr42_vgpr43_vgpr44_vgpr45_vgpr46_vgpr47_vgpr48_vgpr49_vgpr50_vgpr51_vgpr52_vgpr53_vgpr54_vgpr55_vgpr56_vgpr57_vgpr58_vgpr59_vgpr60_vgpr61_vgpr62_vgpr63_vgpr64_vgpr65
	s_wait_alu 0xfffe
	s_cbranch_vccnz .LBB37_33
; %bb.13:                               ;   in Loop: Header=BB37_5 Depth=1
	v_add_co_u32 v80, vcc_lo, v68, v75
	v_dual_mov_b32 v65, v33 :: v_dual_mov_b32 v64, v32
	v_dual_mov_b32 v63, v31 :: v_dual_mov_b32 v62, v30
	;; [unrolled: 1-line block ×16, first 2 shown]
	s_wait_alu 0xfffd
	v_add_co_ci_u32_e64 v81, null, v69, v76, vcc_lo
	s_mov_b32 s18, 0
	s_mov_b32 s16, 0
.LBB37_14:                              ;   Parent Loop BB37_5 Depth=1
                                        ; =>  This Loop Header: Depth=2
                                        ;       Child Loop BB37_17 Depth 3
                                        ;         Child Loop BB37_18 Depth 4
                                        ;         Child Loop BB37_21 Depth 4
                                        ;           Child Loop BB37_22 Depth 5
                                        ;         Child Loop BB37_27 Depth 4
                                        ;           Child Loop BB37_29 Depth 5
	s_mov_b32 s19, s15
	s_getpc_b64 s[20:21]
	s_wait_alu 0xfffe
	s_sext_i32_i16 s21, s21
	s_add_co_u32 s20, s20, __const._ZL30rocblas_trsm_small_left_deviceILi32ELi32ELb0EffPKPKfPKPfEv13rocblas_fill_18rocblas_operation_17rocblas_diagonal_iiT3_T4_lilT5_lili.step_sizes@rel32@lo+12
	s_wait_alu 0xfffe
	s_add_co_ci_u32 s21, s21, __const._ZL30rocblas_trsm_small_left_deviceILi32ELi32ELb0EffPKPKfPKPfEv13rocblas_fill_18rocblas_operation_17rocblas_diagonal_iiT3_T4_lilT5_lili.step_sizes@rel32@hi+24
	s_lshl_b64 s[22:23], s[18:19], 2
	s_wait_alu 0xfffe
	s_add_nc_u64 s[20:21], s[20:21], s[22:23]
	s_load_b32 s20, s[20:21], 0x0
	s_wait_kmcnt 0x0
	s_add_co_i32 s19, s20, -1
	s_wait_alu 0xfffe
	s_add_co_i32 s14, s19, s16
	s_delay_alu instid0(SALU_CYCLE_1)
	s_cmp_ge_i32 s14, s35
	s_cbranch_scc1 .LBB37_30
; %bb.15:                               ;   in Loop: Header=BB37_14 Depth=2
	s_ashr_i32 s17, s16, 31
	s_ashr_i32 s21, s20, 31
	s_lshl_b64 s[22:23], s[16:17], 2
	s_max_i32 s41, s20, 1
	s_wait_alu 0xfffe
	v_add_co_u32 v70, vcc_lo, v80, s22
	s_wait_alu 0xfffd
	v_add_co_ci_u32_e64 v71, null, s23, v81, vcc_lo
	s_lshl_b64 s[22:23], s[20:21], 2
	s_lshl_b32 s17, s16, 7
	s_lshl_b32 s21, s20, 7
	s_mul_i32 s42, s16, 0x84
	s_mul_i32 s43, s20, 0x84
	s_branch .LBB37_17
.LBB37_16:                              ;   in Loop: Header=BB37_17 Depth=3
	v_add_co_u32 v70, vcc_lo, v70, s22
	s_add_co_i32 s16, s16, s20
	s_wait_alu 0xfffd
	v_add_co_ci_u32_e64 v71, null, s23, v71, vcc_lo
	s_add_co_i32 s14, s19, s16
	s_add_co_i32 s17, s17, s21
	;; [unrolled: 1-line block ×3, first 2 shown]
	s_cmp_ge_i32 s14, s35
	s_cbranch_scc1 .LBB37_30
.LBB37_17:                              ;   Parent Loop BB37_5 Depth=1
                                        ;     Parent Loop BB37_14 Depth=2
                                        ; =>    This Loop Header: Depth=3
                                        ;         Child Loop BB37_18 Depth 4
                                        ;         Child Loop BB37_21 Depth 4
                                        ;           Child Loop BB37_22 Depth 5
                                        ;         Child Loop BB37_27 Depth 4
                                        ;           Child Loop BB37_29 Depth 5
	v_dual_mov_b32 v73, v71 :: v_dual_mov_b32 v72, v70
	s_mov_b64 s[24:25], 0
.LBB37_18:                              ;   Parent Loop BB37_5 Depth=1
                                        ;     Parent Loop BB37_14 Depth=2
                                        ;       Parent Loop BB37_17 Depth=3
                                        ; =>      This Inner Loop Header: Depth=4
	flat_load_b32 v82, v[72:73]
	v_add_co_u32 v72, vcc_lo, v72, 4
	s_wait_alu 0xfffd
	v_add_co_ci_u32_e64 v73, null, 0, v73, vcc_lo
	s_wait_alu 0xfffe
	s_mov_b32 m0, s24
	s_add_nc_u64 s[24:25], s[24:25], 1
	s_wait_alu 0xfffe
	s_cmp_eq_u32 s41, s24
	s_wait_loadcnt_dscnt 0x0
	v_mul_f32_e32 v82, s34, v82
	s_delay_alu instid0(VALU_DEP_1)
	v_movreld_b32_e32 v34, v82
	s_cbranch_scc0 .LBB37_18
; %bb.19:                               ;   in Loop: Header=BB37_17 Depth=3
	s_cmp_lt_i32 s16, 1
	s_cbranch_scc1 .LBB37_24
; %bb.20:                               ;   in Loop: Header=BB37_17 Depth=3
	s_mov_b32 s14, 0
	s_mov_b32 s26, s17
.LBB37_21:                              ;   Parent Loop BB37_5 Depth=1
                                        ;     Parent Loop BB37_14 Depth=2
                                        ;       Parent Loop BB37_17 Depth=3
                                        ; =>      This Loop Header: Depth=4
                                        ;           Child Loop BB37_22 Depth 5
	s_lshl_b64 s[24:25], s[14:15], 2
	s_wait_alu 0xfffe
	s_mov_b32 s27, s26
	v_add_co_u32 v72, vcc_lo, v78, s24
	s_wait_alu 0xfffd
	v_add_co_ci_u32_e64 v73, null, s25, v79, vcc_lo
	s_mov_b64 s[24:25], 0
	flat_load_b32 v72, v[72:73]
.LBB37_22:                              ;   Parent Loop BB37_5 Depth=1
                                        ;     Parent Loop BB37_14 Depth=2
                                        ;       Parent Loop BB37_17 Depth=3
                                        ;         Parent Loop BB37_21 Depth=4
                                        ; =>        This Inner Loop Header: Depth=5
	s_wait_alu 0xfffe
	v_mov_b32_e32 v73, s27
	s_mov_b32 m0, s24
	s_add_nc_u64 s[24:25], s[24:25], 1
	v_movrels_b32_e32 v82, v34
	s_addk_co_i32 s27, 0x80
	ds_load_b32 v73, v73
	s_wait_alu 0xfffe
	s_cmp_eq_u32 s41, s24
	s_wait_loadcnt_dscnt 0x0
	v_fma_f32 v73, -v72, v73, v82
	s_delay_alu instid0(VALU_DEP_1)
	v_movreld_b32_e32 v34, v73
	s_cbranch_scc0 .LBB37_22
; %bb.23:                               ;   in Loop: Header=BB37_21 Depth=4
	s_add_co_i32 s14, s14, 1
	s_add_co_i32 s26, s26, 4
	s_cmp_eq_u32 s14, s16
	s_cbranch_scc0 .LBB37_21
.LBB37_24:                              ;   in Loop: Header=BB37_17 Depth=3
	s_mov_b64 s[24:25], 0
	s_mov_b32 s14, s42
	s_branch .LBB37_27
.LBB37_25:                              ;   in Loop: Header=BB37_27 Depth=4
	s_mov_b32 s26, s16
	s_mov_b64 s[28:29], 0
.LBB37_26:                              ;   in Loop: Header=BB37_27 Depth=4
	s_wait_alu 0xfffe
	s_mul_i32 s27, s26, 0x84
	s_mov_b32 m0, s28
	s_wait_alu 0xfffe
	v_mov_b32_e32 v72, s27
	v_movrels_b32_e32 v73, v34
	s_ashr_i32 s27, s26, 31
	s_add_nc_u64 s[24:25], s[24:25], 1
	s_wait_alu 0xfffe
	s_lshl_b64 s[26:27], s[26:27], 2
	ds_load_b32 v72, v72
	s_addk_co_i32 s14, 0x80
	s_cmp_eq_u32 s24, s41
	s_wait_dscnt 0x0
	v_mul_f32_e32 v82, v73, v72
	s_wait_alu 0xfffe
	v_add_co_u32 v72, vcc_lo, v78, s26
	s_wait_alu 0xfffd
	v_add_co_ci_u32_e64 v73, null, s27, v79, vcc_lo
	v_movreld_b32_e32 v34, v82
	flat_store_b32 v[72:73], v82
	s_cbranch_scc1 .LBB37_16
.LBB37_27:                              ;   Parent Loop BB37_5 Depth=1
                                        ;     Parent Loop BB37_14 Depth=2
                                        ;       Parent Loop BB37_17 Depth=3
                                        ; =>      This Loop Header: Depth=4
                                        ;           Child Loop BB37_29 Depth 5
	s_wait_alu 0xfffe
	s_cmp_eq_u32 s24, 0
	s_cbranch_scc1 .LBB37_25
; %bb.28:                               ;   in Loop: Header=BB37_27 Depth=4
	s_add_co_i32 s26, s24, s16
	s_mov_b64 s[30:31], 0
	s_mov_b64 s[28:29], s[24:25]
	s_mov_b32 s27, s14
.LBB37_29:                              ;   Parent Loop BB37_5 Depth=1
                                        ;     Parent Loop BB37_14 Depth=2
                                        ;       Parent Loop BB37_17 Depth=3
                                        ;         Parent Loop BB37_27 Depth=4
                                        ; =>        This Inner Loop Header: Depth=5
	s_wait_alu 0xfffe
	v_mov_b32_e32 v72, s27
	s_mov_b32 m0, s30
	s_add_nc_u64 s[30:31], s[30:31], 1
	v_movrels_b32_e32 v73, v34
	s_mov_b32 m0, s24
	ds_load_b32 v72, v72
	v_movrels_b32_e32 v82, v34
	s_add_co_i32 s27, s27, 4
	s_cmp_eq_u32 s24, s30
	s_wait_dscnt 0x0
	s_delay_alu instid0(VALU_DEP_1) | instskip(NEXT) | instid1(VALU_DEP_1)
	v_fma_f32 v72, -v73, v72, v82
	v_movreld_b32_e32 v34, v72
	s_cbranch_scc0 .LBB37_29
	s_branch .LBB37_26
.LBB37_30:                              ;   in Loop: Header=BB37_14 Depth=2
	s_cmp_lt_i32 s16, s35
	s_cselect_b32 s17, -1, 0
	s_add_co_i32 s14, s18, 1
	s_cmp_lt_u32 s18, 2
	s_cselect_b32 s18, -1, 0
	s_wait_alu 0xfffe
	s_and_b32 s17, s17, s18
	s_delay_alu instid0(SALU_CYCLE_1)
	s_and_b32 vcc_lo, exec_lo, s17
	s_wait_alu 0xfffe
	s_cbranch_vccz .LBB37_32
; %bb.31:                               ;   in Loop: Header=BB37_14 Depth=2
	s_mov_b32 s18, s14
	s_branch .LBB37_14
.LBB37_32:                              ;   in Loop: Header=BB37_5 Depth=1
	s_mov_b32 s14, 0
.LBB37_33:                              ;   in Loop: Header=BB37_5 Depth=1
	s_delay_alu instid0(SALU_CYCLE_1)
	s_and_b32 vcc_lo, exec_lo, s14
	s_wait_alu 0xfffe
	s_cbranch_vccz .LBB37_3
; %bb.34:                               ;   in Loop: Header=BB37_5 Depth=1
	v_add_co_u32 v36, vcc_lo, v68, v75
	s_wait_alu 0xfffd
	v_add_co_ci_u32_e64 v37, null, v69, v76, vcc_lo
	s_mov_b32 s14, 0
	s_mov_b32 s16, s36
.LBB37_35:                              ;   Parent Loop BB37_5 Depth=1
                                        ; =>  This Loop Header: Depth=2
                                        ;       Child Loop BB37_38 Depth 3
                                        ;         Child Loop BB37_39 Depth 4
                                        ;         Child Loop BB37_41 Depth 4
                                        ;           Child Loop BB37_42 Depth 5
                                        ;         Child Loop BB37_47 Depth 4
                                        ;           Child Loop BB37_49 Depth 5
	s_getpc_b64 s[18:19]
	s_wait_alu 0xfffe
	s_sext_i32_i16 s19, s19
	s_add_co_u32 s18, s18, __const._ZL30rocblas_trsm_small_left_deviceILi32ELi32ELb0EffPKPKfPKPfEv13rocblas_fill_18rocblas_operation_17rocblas_diagonal_iiT3_T4_lilT5_lili.step_sizes@rel32@lo+12
	s_wait_alu 0xfffe
	s_add_co_ci_u32 s19, s19, __const._ZL30rocblas_trsm_small_left_deviceILi32ELi32ELb0EffPKPKfPKPfEv13rocblas_fill_18rocblas_operation_17rocblas_diagonal_iiT3_T4_lilT5_lili.step_sizes@rel32@hi+24
	s_lshl_b64 s[20:21], s[14:15], 2
	s_wait_alu 0xfffe
	s_add_nc_u64 s[18:19], s[18:19], s[20:21]
	s_load_b32 s26, s[18:19], 0x0
	s_wait_kmcnt 0x0
	s_add_co_i32 s27, s26, -1
	s_wait_alu 0xfffe
	s_cmp_lt_i32 s16, s27
	s_cbranch_scc1 .LBB37_51
; %bb.36:                               ;   in Loop: Header=BB37_35 Depth=2
	s_lshl_b32 s17, s16, 2
	s_lshl_b32 s18, s26, 2
	s_max_i32 s28, s26, 1
	s_add_co_i32 s29, s39, s17
	s_wait_alu 0xfffe
	s_sub_co_i32 s30, 0, s18
	s_mul_i32 s31, s16, 0x84
	s_mul_i32 s41, s26, 0xffffff7c
	s_branch .LBB37_38
.LBB37_37:                              ;   in Loop: Header=BB37_38 Depth=3
	s_sub_co_i32 s16, s16, s26
	s_add_co_i32 s29, s29, s30
	s_add_co_i32 s31, s31, s41
	s_cmp_lt_i32 s16, s27
	s_cbranch_scc1 .LBB37_51
.LBB37_38:                              ;   Parent Loop BB37_5 Depth=1
                                        ;     Parent Loop BB37_35 Depth=2
                                        ; =>    This Loop Header: Depth=3
                                        ;         Child Loop BB37_39 Depth 4
                                        ;         Child Loop BB37_41 Depth 4
                                        ;           Child Loop BB37_42 Depth 5
                                        ;         Child Loop BB37_47 Depth 4
                                        ;           Child Loop BB37_49 Depth 5
	s_ashr_i32 s17, s16, 31
	s_delay_alu instid0(SALU_CYCLE_1)
	s_lshl_b64 s[18:19], s[16:17], 2
	s_wait_alu 0xfffe
	v_add_co_u32 v34, vcc_lo, v36, s18
	s_wait_alu 0xfffd
	v_add_co_ci_u32_e64 v35, null, s19, v37, vcc_lo
	s_mov_b64 s[18:19], 0
.LBB37_39:                              ;   Parent Loop BB37_5 Depth=1
                                        ;     Parent Loop BB37_35 Depth=2
                                        ;       Parent Loop BB37_38 Depth=3
                                        ; =>      This Inner Loop Header: Depth=4
	flat_load_b32 v38, v[34:35]
	v_add_co_u32 v34, vcc_lo, v34, -4
	s_wait_alu 0xfffd
	v_add_co_ci_u32_e64 v35, null, -1, v35, vcc_lo
	s_wait_alu 0xfffe
	s_mov_b32 m0, s18
	s_add_nc_u64 s[18:19], s[18:19], 1
	s_wait_alu 0xfffe
	s_cmp_eq_u32 s28, s18
	s_wait_loadcnt_dscnt 0x0
	v_mul_f32_e32 v38, s34, v38
	s_delay_alu instid0(VALU_DEP_1)
	v_movreld_b32_e32 v2, v38
	s_cbranch_scc0 .LBB37_39
; %bb.40:                               ;   in Loop: Header=BB37_38 Depth=3
	s_cmp_le_i32 s36, s16
	s_mov_b32 s22, s29
	s_mov_b32 s18, s36
	s_cbranch_scc1 .LBB37_44
.LBB37_41:                              ;   Parent Loop BB37_5 Depth=1
                                        ;     Parent Loop BB37_35 Depth=2
                                        ;       Parent Loop BB37_38 Depth=3
                                        ; =>      This Loop Header: Depth=4
                                        ;           Child Loop BB37_42 Depth 5
	s_wait_alu 0xfffe
	s_ashr_i32 s19, s18, 31
	s_wait_alu 0xfffe
	s_lshl_b64 s[20:21], s[18:19], 2
	s_mov_b32 s19, s22
	s_wait_alu 0xfffe
	v_add_co_u32 v34, vcc_lo, v78, s20
	s_wait_alu 0xfffd
	v_add_co_ci_u32_e64 v35, null, s21, v79, vcc_lo
	s_mov_b64 s[20:21], 0
	flat_load_b32 v34, v[34:35]
.LBB37_42:                              ;   Parent Loop BB37_5 Depth=1
                                        ;     Parent Loop BB37_35 Depth=2
                                        ;       Parent Loop BB37_38 Depth=3
                                        ;         Parent Loop BB37_41 Depth=4
                                        ; =>        This Inner Loop Header: Depth=5
	s_wait_alu 0xfffe
	v_mov_b32_e32 v35, s19
	s_mov_b32 m0, s20
	s_add_nc_u64 s[20:21], s[20:21], 1
	v_movrels_b32_e32 v38, v2
	s_add_co_i32 s19, s19, -4
	ds_load_b32 v35, v35
	s_wait_alu 0xfffe
	s_cmp_eq_u32 s28, s20
	s_wait_loadcnt_dscnt 0x0
	v_fma_f32 v35, -v34, v35, v38
	s_delay_alu instid0(VALU_DEP_1)
	v_movreld_b32_e32 v2, v35
	s_cbranch_scc0 .LBB37_42
; %bb.43:                               ;   in Loop: Header=BB37_41 Depth=4
	s_add_co_i32 s18, s18, -1
	s_addk_co_i32 s22, 0xff80
	s_wait_alu 0xfffe
	s_cmp_le_i32 s18, s16
	s_cbranch_scc0 .LBB37_41
.LBB37_44:                              ;   in Loop: Header=BB37_38 Depth=3
	s_mov_b64 s[18:19], 0
	s_mov_b32 s42, s31
	s_branch .LBB37_47
.LBB37_45:                              ;   in Loop: Header=BB37_47 Depth=4
	s_mov_b32 s20, s16
	s_mov_b64 s[24:25], 0
	s_mov_b64 s[22:23], s[16:17]
.LBB37_46:                              ;   in Loop: Header=BB37_47 Depth=4
	s_wait_alu 0xfffe
	s_mulk_i32 s20, 0x84
	s_mov_b32 m0, s24
	s_wait_alu 0xfffe
	v_mov_b32_e32 v34, s20
	v_movrels_b32_e32 v35, v2
	s_lshl_b64 s[20:21], s[22:23], 2
	s_add_nc_u64 s[18:19], s[18:19], 1
	s_add_co_i32 s42, s42, -4
	ds_load_b32 v34, v34
	s_wait_alu 0xfffe
	s_cmp_eq_u32 s18, s28
	s_wait_dscnt 0x0
	v_mul_f32_e32 v38, v35, v34
	v_add_co_u32 v34, vcc_lo, v78, s20
	s_wait_alu 0xfffd
	v_add_co_ci_u32_e64 v35, null, s21, v79, vcc_lo
	s_delay_alu instid0(VALU_DEP_3)
	v_movreld_b32_e32 v2, v38
	flat_store_b32 v[34:35], v38
	s_cbranch_scc1 .LBB37_37
.LBB37_47:                              ;   Parent Loop BB37_5 Depth=1
                                        ;     Parent Loop BB37_35 Depth=2
                                        ;       Parent Loop BB37_38 Depth=3
                                        ; =>      This Loop Header: Depth=4
                                        ;           Child Loop BB37_49 Depth 5
	s_wait_alu 0xfffe
	s_cmp_eq_u32 s18, 0
	s_cbranch_scc1 .LBB37_45
; %bb.48:                               ;   in Loop: Header=BB37_47 Depth=4
	s_mov_b64 s[20:21], 0
	s_mov_b32 s22, s42
.LBB37_49:                              ;   Parent Loop BB37_5 Depth=1
                                        ;     Parent Loop BB37_35 Depth=2
                                        ;       Parent Loop BB37_38 Depth=3
                                        ;         Parent Loop BB37_47 Depth=4
                                        ; =>        This Inner Loop Header: Depth=5
	s_wait_alu 0xfffe
	v_mov_b32_e32 v34, s22
	s_mov_b32 m0, s20
	s_add_nc_u64 s[20:21], s[20:21], 1
	v_movrels_b32_e32 v35, v2
	s_mov_b32 m0, s18
	ds_load_b32 v34, v34
	v_movrels_b32_e32 v38, v2
	s_addk_co_i32 s22, 0xff80
	s_wait_alu 0xfffe
	s_cmp_eq_u32 s18, s20
	s_wait_dscnt 0x0
	v_fma_f32 v34, -v35, v34, v38
	s_delay_alu instid0(VALU_DEP_1)
	v_movreld_b32_e32 v2, v34
	s_cbranch_scc0 .LBB37_49
; %bb.50:                               ;   in Loop: Header=BB37_47 Depth=4
	s_sub_co_i32 s20, s16, s18
	s_mov_b64 s[24:25], s[18:19]
	s_wait_alu 0xfffe
	s_ashr_i32 s21, s20, 31
	s_wait_alu 0xfffe
	s_mov_b64 s[22:23], s[20:21]
	s_branch .LBB37_46
.LBB37_51:                              ;   in Loop: Header=BB37_35 Depth=2
	s_cmp_gt_i32 s16, -1
	s_cselect_b32 s18, -1, 0
	s_add_co_i32 s17, s14, 1
	s_cmp_lt_u32 s14, 2
	s_cselect_b32 s14, -1, 0
	s_wait_alu 0xfffe
	s_and_b32 s14, s18, s14
	s_delay_alu instid0(SALU_CYCLE_1)
	s_and_not1_b32 vcc_lo, exec_lo, s14
	s_wait_alu 0xfffe
	s_cbranch_vccnz .LBB37_2
; %bb.52:                               ;   in Loop: Header=BB37_35 Depth=2
	s_mov_b32 s14, s17
	s_branch .LBB37_35
.LBB37_53:
	s_endpgm
	.section	.rodata,"a",@progbits
	.p2align	6, 0x0
	.amdhsa_kernel _ZL30rocblas_trsm_small_left_deviceILi32ELi32ELb0EffPKPKfPKPfEv13rocblas_fill_18rocblas_operation_17rocblas_diagonal_iiT3_T4_lilT5_lili
		.amdhsa_group_segment_fixed_size 4096
		.amdhsa_private_segment_fixed_size 0
		.amdhsa_kernarg_size 352
		.amdhsa_user_sgpr_count 2
		.amdhsa_user_sgpr_dispatch_ptr 0
		.amdhsa_user_sgpr_queue_ptr 0
		.amdhsa_user_sgpr_kernarg_segment_ptr 1
		.amdhsa_user_sgpr_dispatch_id 0
		.amdhsa_user_sgpr_private_segment_size 0
		.amdhsa_wavefront_size32 1
		.amdhsa_uses_dynamic_stack 0
		.amdhsa_enable_private_segment 0
		.amdhsa_system_sgpr_workgroup_id_x 1
		.amdhsa_system_sgpr_workgroup_id_y 0
		.amdhsa_system_sgpr_workgroup_id_z 1
		.amdhsa_system_sgpr_workgroup_info 0
		.amdhsa_system_vgpr_workitem_id 0
		.amdhsa_next_free_vgpr 169
		.amdhsa_next_free_sgpr 44
		.amdhsa_reserve_vcc 1
		.amdhsa_float_round_mode_32 0
		.amdhsa_float_round_mode_16_64 0
		.amdhsa_float_denorm_mode_32 3
		.amdhsa_float_denorm_mode_16_64 3
		.amdhsa_fp16_overflow 0
		.amdhsa_workgroup_processor_mode 1
		.amdhsa_memory_ordered 1
		.amdhsa_forward_progress 1
		.amdhsa_inst_pref_size 23
		.amdhsa_round_robin_scheduling 0
		.amdhsa_exception_fp_ieee_invalid_op 0
		.amdhsa_exception_fp_denorm_src 0
		.amdhsa_exception_fp_ieee_div_zero 0
		.amdhsa_exception_fp_ieee_overflow 0
		.amdhsa_exception_fp_ieee_underflow 0
		.amdhsa_exception_fp_ieee_inexact 0
		.amdhsa_exception_int_div_zero 0
	.end_amdhsa_kernel
	.section	.text._ZL30rocblas_trsm_small_left_deviceILi32ELi32ELb0EffPKPKfPKPfEv13rocblas_fill_18rocblas_operation_17rocblas_diagonal_iiT3_T4_lilT5_lili,"axG",@progbits,_ZL30rocblas_trsm_small_left_deviceILi32ELi32ELb0EffPKPKfPKPfEv13rocblas_fill_18rocblas_operation_17rocblas_diagonal_iiT3_T4_lilT5_lili,comdat
.Lfunc_end37:
	.size	_ZL30rocblas_trsm_small_left_deviceILi32ELi32ELb0EffPKPKfPKPfEv13rocblas_fill_18rocblas_operation_17rocblas_diagonal_iiT3_T4_lilT5_lili, .Lfunc_end37-_ZL30rocblas_trsm_small_left_deviceILi32ELi32ELb0EffPKPKfPKPfEv13rocblas_fill_18rocblas_operation_17rocblas_diagonal_iiT3_T4_lilT5_lili
                                        ; -- End function
	.set _ZL30rocblas_trsm_small_left_deviceILi32ELi32ELb0EffPKPKfPKPfEv13rocblas_fill_18rocblas_operation_17rocblas_diagonal_iiT3_T4_lilT5_lili.num_vgpr, 83
	.set _ZL30rocblas_trsm_small_left_deviceILi32ELi32ELb0EffPKPKfPKPfEv13rocblas_fill_18rocblas_operation_17rocblas_diagonal_iiT3_T4_lilT5_lili.num_agpr, 0
	.set _ZL30rocblas_trsm_small_left_deviceILi32ELi32ELb0EffPKPKfPKPfEv13rocblas_fill_18rocblas_operation_17rocblas_diagonal_iiT3_T4_lilT5_lili.numbered_sgpr, 44
	.set _ZL30rocblas_trsm_small_left_deviceILi32ELi32ELb0EffPKPKfPKPfEv13rocblas_fill_18rocblas_operation_17rocblas_diagonal_iiT3_T4_lilT5_lili.num_named_barrier, 0
	.set _ZL30rocblas_trsm_small_left_deviceILi32ELi32ELb0EffPKPKfPKPfEv13rocblas_fill_18rocblas_operation_17rocblas_diagonal_iiT3_T4_lilT5_lili.private_seg_size, 0
	.set _ZL30rocblas_trsm_small_left_deviceILi32ELi32ELb0EffPKPKfPKPfEv13rocblas_fill_18rocblas_operation_17rocblas_diagonal_iiT3_T4_lilT5_lili.uses_vcc, 1
	.set _ZL30rocblas_trsm_small_left_deviceILi32ELi32ELb0EffPKPKfPKPfEv13rocblas_fill_18rocblas_operation_17rocblas_diagonal_iiT3_T4_lilT5_lili.uses_flat_scratch, 0
	.set _ZL30rocblas_trsm_small_left_deviceILi32ELi32ELb0EffPKPKfPKPfEv13rocblas_fill_18rocblas_operation_17rocblas_diagonal_iiT3_T4_lilT5_lili.has_dyn_sized_stack, 0
	.set _ZL30rocblas_trsm_small_left_deviceILi32ELi32ELb0EffPKPKfPKPfEv13rocblas_fill_18rocblas_operation_17rocblas_diagonal_iiT3_T4_lilT5_lili.has_recursion, 0
	.set _ZL30rocblas_trsm_small_left_deviceILi32ELi32ELb0EffPKPKfPKPfEv13rocblas_fill_18rocblas_operation_17rocblas_diagonal_iiT3_T4_lilT5_lili.has_indirect_call, 0
	.section	.AMDGPU.csdata,"",@progbits
; Kernel info:
; codeLenInByte = 2836
; TotalNumSgprs: 46
; NumVgprs: 83
; ScratchSize: 0
; MemoryBound: 0
; FloatMode: 240
; IeeeMode: 1
; LDSByteSize: 4096 bytes/workgroup (compile time only)
; SGPRBlocks: 0
; VGPRBlocks: 21
; NumSGPRsForWavesPerEU: 46
; NumVGPRsForWavesPerEU: 169
; Occupancy: 8
; WaveLimiterHint : 1
; COMPUTE_PGM_RSRC2:SCRATCH_EN: 0
; COMPUTE_PGM_RSRC2:USER_SGPR: 2
; COMPUTE_PGM_RSRC2:TRAP_HANDLER: 0
; COMPUTE_PGM_RSRC2:TGID_X_EN: 1
; COMPUTE_PGM_RSRC2:TGID_Y_EN: 0
; COMPUTE_PGM_RSRC2:TGID_Z_EN: 1
; COMPUTE_PGM_RSRC2:TIDIG_COMP_CNT: 0
	.section	.text._ZL38rocblas_trsm_small_left_device_sharedBILi32ELi32ELb1EffPKPKfPKPfEv13rocblas_fill_18rocblas_operation_17rocblas_diagonal_iiT3_T4_lilT5_lili,"axG",@progbits,_ZL38rocblas_trsm_small_left_device_sharedBILi32ELi32ELb1EffPKPKfPKPfEv13rocblas_fill_18rocblas_operation_17rocblas_diagonal_iiT3_T4_lilT5_lili,comdat
	.globl	_ZL38rocblas_trsm_small_left_device_sharedBILi32ELi32ELb1EffPKPKfPKPfEv13rocblas_fill_18rocblas_operation_17rocblas_diagonal_iiT3_T4_lilT5_lili ; -- Begin function _ZL38rocblas_trsm_small_left_device_sharedBILi32ELi32ELb1EffPKPKfPKPfEv13rocblas_fill_18rocblas_operation_17rocblas_diagonal_iiT3_T4_lilT5_lili
	.p2align	8
	.type	_ZL38rocblas_trsm_small_left_device_sharedBILi32ELi32ELb1EffPKPKfPKPfEv13rocblas_fill_18rocblas_operation_17rocblas_diagonal_iiT3_T4_lilT5_lili,@function
_ZL38rocblas_trsm_small_left_device_sharedBILi32ELi32ELb1EffPKPKfPKPfEv13rocblas_fill_18rocblas_operation_17rocblas_diagonal_iiT3_T4_lilT5_lili: ; @_ZL38rocblas_trsm_small_left_device_sharedBILi32ELi32ELb1EffPKPKfPKPfEv13rocblas_fill_18rocblas_operation_17rocblas_diagonal_iiT3_T4_lilT5_lili
; %bb.0:
	s_load_b32 s24, s[0:1], 0x58
	s_lshr_b32 s2, ttmp7, 16
	s_wait_kmcnt 0x0
	s_cmp_ge_u32 s2, s24
	s_cbranch_scc1 .LBB38_56
; %bb.1:
	s_clause 0x6
	s_load_b32 s18, s[0:1], 0x28
	s_load_b32 s20, s[0:1], 0x48
	s_load_b128 s[12:15], s[0:1], 0x4
	s_load_b32 s3, s[0:1], 0x60
	s_load_b128 s[4:7], s[0:1], 0x18
	s_load_b128 s[8:11], s[0:1], 0x38
	s_load_b32 s1, s[0:1], 0x14
	v_dual_mov_b32 v1, 0 :: v_dual_lshlrev_b32 v68, 2, v0
	s_lshl_b32 s22, ttmp9, 5
	v_lshlrev_b32_e32 v35, 7, v0
	s_mov_b32 s17, 0
	s_delay_alu instid0(VALU_DEP_2)
	v_or_b32_e32 v69, 0x1000, v68
	v_dual_mov_b32 v31, v1 :: v_dual_mov_b32 v32, v1
	v_dual_mov_b32 v2, v1 :: v_dual_mov_b32 v3, v1
	;; [unrolled: 1-line block ×3, first 2 shown]
	v_mov_b32_e32 v6, v1
	s_wait_kmcnt 0x0
	s_ashr_i32 s19, s18, 31
	s_ashr_i32 s21, s20, 31
	s_min_i32 s25, s14, 32
	s_add_co_i32 s3, s3, -1
	s_sub_co_i32 s0, s15, s22
	s_add_co_i32 s26, s25, -1
	v_mad_co_i64_i32 v[33:34], null, s20, v0, 0
	s_cmp_ge_u32 ttmp9, s3
	v_dual_mov_b32 v7, v1 :: v_dual_mov_b32 v8, v1
	s_cselect_b32 s3, s0, 32
	s_ashr_i32 s23, s22, 31
	s_cmp_lg_u32 s13, 0x84
	v_cmp_gt_i32_e32 vcc_lo, s3, v0
	s_cselect_b32 s27, -1, 0
	s_cmp_gt_i32 s14, 0
	v_dual_mov_b32 v9, v1 :: v_dual_mov_b32 v10, v1
	v_dual_mov_b32 v11, v1 :: v_dual_mov_b32 v12, v1
	;; [unrolled: 1-line block ×11, first 2 shown]
	v_cmp_gt_i32_e64 s0, s25, v0
	s_cselect_b32 s3, -1, 0
	s_cmp_lg_u32 s12, 0x6f
	v_lshlrev_b32_e32 v0, 2, v0
	v_lshlrev_b64_e32 v[66:67], 2, v[33:34]
	v_mov_b32_e32 v33, v32
	v_mov_b32_e32 v32, v31
	v_dual_mov_b32 v31, v30 :: v_dual_add_nc_u32 v70, v68, v35
	v_mov_b32_e32 v30, v29
	v_mov_b32_e32 v29, v28
	;; [unrolled: 1-line block ×29, first 2 shown]
	s_mul_u64 s[14:15], s[20:21], s[22:23]
	s_cselect_b32 s28, -1, 0
	s_lshl_b32 s30, s25, 2
	s_wait_alu 0xfffe
	s_and_b32 s29, vcc_lo, s3
	s_lshl_b64 s[12:13], s[18:19], 2
	s_add_co_i32 s30, s30, -4
	s_lshl_b64 s[6:7], s[6:7], 2
	s_lshl_b64 s[10:11], s[10:11], 2
	;; [unrolled: 1-line block ×3, first 2 shown]
	s_branch .LBB38_3
.LBB38_2:                               ;   in Loop: Header=BB38_3 Depth=1
	s_wait_alu 0xfffe
	s_or_b32 exec_lo, exec_lo, s3
	v_dual_mov_b32 v2, v34 :: v_dual_mov_b32 v3, v35
	v_dual_mov_b32 v4, v36 :: v_dual_mov_b32 v5, v37
	;; [unrolled: 1-line block ×16, first 2 shown]
	s_add_co_i32 s2, s2, 0x10000
	s_wait_alu 0xfffe
	s_cmp_lt_u32 s2, s24
	s_cbranch_scc0 .LBB38_56
.LBB38_3:                               ; =>This Loop Header: Depth=1
                                        ;     Child Loop BB38_5 Depth 2
                                        ;     Child Loop BB38_11 Depth 2
	;; [unrolled: 1-line block ×3, first 2 shown]
                                        ;       Child Loop BB38_17 Depth 3
                                        ;         Child Loop BB38_18 Depth 4
                                        ;         Child Loop BB38_20 Depth 4
                                        ;           Child Loop BB38_21 Depth 5
                                        ;         Child Loop BB38_26 Depth 4
                                        ;           Child Loop BB38_28 Depth 5
                                        ;     Child Loop BB38_34 Depth 2
                                        ;       Child Loop BB38_37 Depth 3
                                        ;         Child Loop BB38_38 Depth 4
                                        ;         Child Loop BB38_41 Depth 4
                                        ;           Child Loop BB38_42 Depth 5
                                        ;         Child Loop BB38_47 Depth 4
                                        ;           Child Loop BB38_49 Depth 5
                                        ;     Child Loop BB38_55 Depth 2
	s_mov_b32 s3, s17
	s_wait_alu 0xfffe
	s_lshl_b64 s[18:19], s[2:3], 3
	s_wait_alu 0xfffe
	s_add_nc_u64 s[20:21], s[8:9], s[18:19]
	global_load_b64 v[34:35], v1, s[20:21]
	s_and_saveexec_b32 s3, s0
	s_cbranch_execz .LBB38_9
; %bb.4:                                ;   in Loop: Header=BB38_3 Depth=1
	s_add_nc_u64 s[18:19], s[4:5], s[18:19]
	v_mov_b32_e32 v38, v68
	global_load_b64 v[36:37], v1, s[18:19]
	s_mov_b32 s16, s25
	s_wait_loadcnt 0x0
	v_add_co_u32 v36, vcc_lo, v36, s6
	s_wait_alu 0xfffd
	v_add_co_ci_u32_e64 v37, null, s7, v37, vcc_lo
	s_delay_alu instid0(VALU_DEP_2) | instskip(SKIP_1) | instid1(VALU_DEP_2)
	v_add_co_u32 v36, vcc_lo, v36, v0
	s_wait_alu 0xfffd
	v_add_co_ci_u32_e64 v37, null, 0, v37, vcc_lo
.LBB38_5:                               ;   Parent Loop BB38_3 Depth=1
                                        ; =>  This Inner Loop Header: Depth=2
	flat_load_b32 v39, v[36:37]
	v_add_co_u32 v36, vcc_lo, v36, s12
	s_wait_alu 0xfffd
	v_add_co_ci_u32_e64 v37, null, s13, v37, vcc_lo
	s_add_co_i32 s16, s16, -1
	s_delay_alu instid0(SALU_CYCLE_1)
	s_cmp_eq_u32 s16, 0
	s_wait_loadcnt_dscnt 0x0
	ds_store_b32 v38, v39
	v_add_nc_u32_e32 v38, 0x80, v38
	s_cbranch_scc0 .LBB38_5
; %bb.6:                                ;   in Loop: Header=BB38_3 Depth=1
	v_mov_b32_e32 v36, 1.0
	s_and_b32 vcc_lo, exec_lo, s27
	s_wait_alu 0xfffe
	s_cbranch_vccz .LBB38_8
; %bb.7:                                ;   in Loop: Header=BB38_3 Depth=1
	ds_load_b32 v36, v70
	s_wait_dscnt 0x0
	v_div_scale_f32 v37, null, v36, v36, 1.0
	s_delay_alu instid0(VALU_DEP_1) | instskip(NEXT) | instid1(TRANS32_DEP_1)
	v_rcp_f32_e32 v38, v37
	v_fma_f32 v39, -v37, v38, 1.0
	s_delay_alu instid0(VALU_DEP_1) | instskip(SKIP_1) | instid1(VALU_DEP_1)
	v_fmac_f32_e32 v38, v39, v38
	v_div_scale_f32 v39, vcc_lo, 1.0, v36, 1.0
	v_mul_f32_e32 v40, v39, v38
	s_delay_alu instid0(VALU_DEP_1) | instskip(NEXT) | instid1(VALU_DEP_1)
	v_fma_f32 v41, -v37, v40, v39
	v_fmac_f32_e32 v40, v41, v38
	s_delay_alu instid0(VALU_DEP_1) | instskip(SKIP_1) | instid1(VALU_DEP_1)
	v_fma_f32 v37, -v37, v40, v39
	s_wait_alu 0xfffd
	v_div_fmas_f32 v37, v37, v38, v40
	s_delay_alu instid0(VALU_DEP_1)
	v_div_fixup_f32 v36, v37, v36, 1.0
.LBB38_8:                               ;   in Loop: Header=BB38_3 Depth=1
	ds_store_b32 v70, v36
.LBB38_9:                               ;   in Loop: Header=BB38_3 Depth=1
	s_wait_alu 0xfffe
	s_or_b32 exec_lo, exec_lo, s3
	s_wait_loadcnt 0x0
	v_add_co_u32 v34, vcc_lo, v34, s10
	s_wait_alu 0xfffd
	v_add_co_ci_u32_e64 v35, null, s11, v35, vcc_lo
	s_delay_alu instid0(VALU_DEP_2) | instskip(SKIP_1) | instid1(VALU_DEP_2)
	v_add_co_u32 v71, vcc_lo, v34, s14
	s_wait_alu 0xfffd
	v_add_co_ci_u32_e64 v72, null, s15, v35, vcc_lo
	s_and_saveexec_b32 s3, s29
	s_cbranch_execz .LBB38_12
; %bb.10:                               ;   in Loop: Header=BB38_3 Depth=1
	v_add_co_u32 v34, vcc_lo, v71, v66
	s_wait_alu 0xfffd
	v_add_co_ci_u32_e64 v35, null, v72, v67, vcc_lo
	v_mov_b32_e32 v36, v69
	s_mov_b32 s16, s25
.LBB38_11:                              ;   Parent Loop BB38_3 Depth=1
                                        ; =>  This Inner Loop Header: Depth=2
	flat_load_b32 v37, v[34:35]
	v_add_co_u32 v34, vcc_lo, v34, 4
	s_wait_alu 0xfffd
	v_add_co_ci_u32_e64 v35, null, 0, v35, vcc_lo
	s_add_co_i32 s16, s16, -1
	s_delay_alu instid0(SALU_CYCLE_1)
	s_cmp_lg_u32 s16, 0
	s_wait_loadcnt_dscnt 0x0
	v_mul_f32_e32 v37, s1, v37
	ds_store_b32 v36, v37
	v_add_nc_u32_e32 v36, 0x80, v36
	s_cbranch_scc1 .LBB38_11
.LBB38_12:                              ;   in Loop: Header=BB38_3 Depth=1
	s_wait_alu 0xfffe
	s_or_b32 exec_lo, exec_lo, s3
	s_delay_alu instid0(SALU_CYCLE_1)
	s_and_not1_b32 vcc_lo, exec_lo, s28
	s_mov_b32 s3, -1
	s_wait_dscnt 0x0
	; wave barrier
	global_inv scope:SCOPE_SE
                                        ; implicit-def: $vgpr34_vgpr35_vgpr36_vgpr37_vgpr38_vgpr39_vgpr40_vgpr41_vgpr42_vgpr43_vgpr44_vgpr45_vgpr46_vgpr47_vgpr48_vgpr49_vgpr50_vgpr51_vgpr52_vgpr53_vgpr54_vgpr55_vgpr56_vgpr57_vgpr58_vgpr59_vgpr60_vgpr61_vgpr62_vgpr63_vgpr64_vgpr65
	s_wait_alu 0xfffe
	s_cbranch_vccnz .LBB38_32
; %bb.13:                               ;   in Loop: Header=BB38_3 Depth=1
	v_dual_mov_b32 v65, v33 :: v_dual_mov_b32 v64, v32
	v_dual_mov_b32 v63, v31 :: v_dual_mov_b32 v62, v30
	;; [unrolled: 1-line block ×16, first 2 shown]
	s_mov_b32 s16, 0
	s_mov_b32 s3, s26
.LBB38_14:                              ;   Parent Loop BB38_3 Depth=1
                                        ; =>  This Loop Header: Depth=2
                                        ;       Child Loop BB38_17 Depth 3
                                        ;         Child Loop BB38_18 Depth 4
                                        ;         Child Loop BB38_20 Depth 4
                                        ;           Child Loop BB38_21 Depth 5
                                        ;         Child Loop BB38_26 Depth 4
                                        ;           Child Loop BB38_28 Depth 5
	s_getpc_b64 s[18:19]
	s_wait_alu 0xfffe
	s_sext_i32_i16 s19, s19
	s_add_co_u32 s18, s18, __const._ZL38rocblas_trsm_small_left_device_sharedBILi32ELi32ELb1EffPKPKfPKPfEv13rocblas_fill_18rocblas_operation_17rocblas_diagonal_iiT3_T4_lilT5_lili.step_sizes@rel32@lo+12
	s_wait_alu 0xfffe
	s_add_co_ci_u32 s19, s19, __const._ZL38rocblas_trsm_small_left_device_sharedBILi32ELi32ELb1EffPKPKfPKPfEv13rocblas_fill_18rocblas_operation_17rocblas_diagonal_iiT3_T4_lilT5_lili.step_sizes@rel32@hi+24
	s_lshl_b64 s[20:21], s[16:17], 2
	s_wait_alu 0xfffe
	s_add_nc_u64 s[18:19], s[18:19], s[20:21]
	s_load_b32 s31, s[18:19], 0x0
	s_wait_kmcnt 0x0
	s_add_co_i32 s33, s31, -1
	s_wait_alu 0xfffe
	s_cmp_lt_i32 s3, s33
	s_cbranch_scc1 .LBB38_29
; %bb.15:                               ;   in Loop: Header=BB38_14 Depth=2
	s_lshl_b32 s18, s3, 7
	s_lshl_b32 s19, s31, 7
	s_wait_alu 0xfffe
	v_add_nc_u32_e32 v73, s18, v69
	s_max_i32 s34, s31, 1
	s_sub_co_i32 s35, 0, s19
	s_add_co_i32 s36, s30, s18
	s_mul_i32 s37, s3, 0x84
	s_mul_i32 s38, s31, 0xffffff7c
	s_branch .LBB38_17
.LBB38_16:                              ;   in Loop: Header=BB38_17 Depth=3
	v_add_nc_u32_e32 v73, s35, v73
	s_sub_co_i32 s3, s3, s31
	s_add_co_i32 s36, s36, s35
	s_add_co_i32 s37, s37, s38
	s_wait_alu 0xfffe
	s_cmp_lt_i32 s3, s33
	s_cbranch_scc1 .LBB38_29
.LBB38_17:                              ;   Parent Loop BB38_3 Depth=1
                                        ;     Parent Loop BB38_14 Depth=2
                                        ; =>    This Loop Header: Depth=3
                                        ;         Child Loop BB38_18 Depth 4
                                        ;         Child Loop BB38_20 Depth 4
                                        ;           Child Loop BB38_21 Depth 5
                                        ;         Child Loop BB38_26 Depth 4
                                        ;           Child Loop BB38_28 Depth 5
	v_mov_b32_e32 v74, v73
	s_mov_b64 s[18:19], 0
.LBB38_18:                              ;   Parent Loop BB38_3 Depth=1
                                        ;     Parent Loop BB38_14 Depth=2
                                        ;       Parent Loop BB38_17 Depth=3
                                        ; =>      This Inner Loop Header: Depth=4
	ds_load_b32 v75, v74
	v_add_nc_u32_e32 v74, 0xffffff80, v74
	s_wait_alu 0xfffe
	s_mov_b32 m0, s18
	s_add_nc_u64 s[18:19], s[18:19], 1
	s_wait_alu 0xfffe
	s_cmp_eq_u32 s34, s18
	s_wait_dscnt 0x0
	v_movreld_b32_e32 v34, v75
	s_cbranch_scc0 .LBB38_18
; %bb.19:                               ;   in Loop: Header=BB38_17 Depth=3
	s_cmp_le_i32 s26, s3
	s_mov_b32 s20, s36
	s_mov_b32 s21, s26
	s_cbranch_scc1 .LBB38_23
.LBB38_20:                              ;   Parent Loop BB38_3 Depth=1
                                        ;     Parent Loop BB38_14 Depth=2
                                        ;       Parent Loop BB38_17 Depth=3
                                        ; =>      This Loop Header: Depth=4
                                        ;           Child Loop BB38_21 Depth 5
	s_wait_alu 0xfffe
	v_lshl_add_u32 v74, s21, 7, v69
	s_mov_b64 s[18:19], 0
	s_mov_b32 s22, s20
	ds_load_b32 v74, v74
.LBB38_21:                              ;   Parent Loop BB38_3 Depth=1
                                        ;     Parent Loop BB38_14 Depth=2
                                        ;       Parent Loop BB38_17 Depth=3
                                        ;         Parent Loop BB38_20 Depth=4
                                        ; =>        This Inner Loop Header: Depth=5
	s_wait_alu 0xfffe
	v_mov_b32_e32 v75, s22
	s_mov_b32 m0, s18
	s_add_nc_u64 s[18:19], s[18:19], 1
	v_movrels_b32_e32 v76, v34
	s_addk_co_i32 s22, 0xff80
	ds_load_b32 v75, v75
	s_wait_alu 0xfffe
	s_cmp_eq_u32 s34, s18
	s_wait_dscnt 0x0
	v_fma_f32 v75, -v74, v75, v76
	s_delay_alu instid0(VALU_DEP_1)
	v_movreld_b32_e32 v34, v75
	s_cbranch_scc0 .LBB38_21
; %bb.22:                               ;   in Loop: Header=BB38_20 Depth=4
	s_add_co_i32 s21, s21, -1
	s_add_co_i32 s20, s20, -4
	s_wait_alu 0xfffe
	s_cmp_le_i32 s21, s3
	s_cbranch_scc0 .LBB38_20
.LBB38_23:                              ;   in Loop: Header=BB38_17 Depth=3
	s_lshl_b32 s39, s3, 7
	s_mov_b64 s[18:19], 0
	s_mov_b32 s40, s37
	s_branch .LBB38_26
.LBB38_24:                              ;   in Loop: Header=BB38_26 Depth=4
	s_mov_b32 s42, s3
	s_mov_b64 s[20:21], 0
	s_mov_b32 s41, s39
.LBB38_25:                              ;   in Loop: Header=BB38_26 Depth=4
	s_wait_alu 0xfffe
	s_mov_b32 m0, s20
	s_mul_i32 s20, s42, 0x84
	v_movrels_b32_e32 v75, v34
	s_wait_alu 0xfffe
	v_mov_b32_e32 v74, s20
	s_add_nc_u64 s[18:19], s[18:19], 1
	s_addk_co_i32 s40, 0xff80
	s_wait_alu 0xfffe
	s_cmp_eq_u32 s18, s34
	ds_load_b32 v74, v74
	s_wait_dscnt 0x0
	v_dual_mul_f32 v74, v75, v74 :: v_dual_add_nc_u32 v75, s41, v69
	s_delay_alu instid0(VALU_DEP_1)
	v_movreld_b32_e32 v34, v74
	ds_store_b32 v75, v74
	s_cbranch_scc1 .LBB38_16
.LBB38_26:                              ;   Parent Loop BB38_3 Depth=1
                                        ;     Parent Loop BB38_14 Depth=2
                                        ;       Parent Loop BB38_17 Depth=3
                                        ; =>      This Loop Header: Depth=4
                                        ;           Child Loop BB38_28 Depth 5
	s_wait_alu 0xfffe
	s_cmp_eq_u32 s18, 0
	s_cbranch_scc1 .LBB38_24
; %bb.27:                               ;   in Loop: Header=BB38_26 Depth=4
	s_sub_co_i32 s42, s3, s18
	s_mov_b64 s[20:21], s[18:19]
	s_mov_b64 s[22:23], 0
	s_lshl_b32 s41, s42, 7
	s_mov_b32 s21, s40
.LBB38_28:                              ;   Parent Loop BB38_3 Depth=1
                                        ;     Parent Loop BB38_14 Depth=2
                                        ;       Parent Loop BB38_17 Depth=3
                                        ;         Parent Loop BB38_26 Depth=4
                                        ; =>        This Inner Loop Header: Depth=5
	s_wait_alu 0xfffe
	v_mov_b32_e32 v74, s21
	s_mov_b32 m0, s22
	s_add_nc_u64 s[22:23], s[22:23], 1
	v_movrels_b32_e32 v75, v34
	s_mov_b32 m0, s18
	ds_load_b32 v74, v74
	v_movrels_b32_e32 v76, v34
	s_add_co_i32 s21, s21, -4
	s_wait_alu 0xfffe
	s_cmp_eq_u32 s18, s22
	s_wait_dscnt 0x0
	v_fma_f32 v74, -v75, v74, v76
	s_delay_alu instid0(VALU_DEP_1)
	v_movreld_b32_e32 v34, v74
	s_cbranch_scc0 .LBB38_28
	s_branch .LBB38_25
.LBB38_29:                              ;   in Loop: Header=BB38_14 Depth=2
	s_cmp_gt_i32 s3, -1
	s_cselect_b32 s19, -1, 0
	s_add_co_i32 s18, s16, 1
	s_cmp_lt_u32 s16, 2
	s_cselect_b32 s16, -1, 0
	s_wait_alu 0xfffe
	s_and_b32 s16, s19, s16
	s_delay_alu instid0(SALU_CYCLE_1)
	s_and_b32 vcc_lo, exec_lo, s16
	s_wait_alu 0xfffe
	s_cbranch_vccz .LBB38_31
; %bb.30:                               ;   in Loop: Header=BB38_14 Depth=2
	s_mov_b32 s16, s18
	s_branch .LBB38_14
.LBB38_31:                              ;   in Loop: Header=BB38_3 Depth=1
	s_mov_b32 s3, 0
.LBB38_32:                              ;   in Loop: Header=BB38_3 Depth=1
	s_wait_alu 0xfffe
	s_and_b32 vcc_lo, exec_lo, s3
	s_wait_alu 0xfffe
	s_cbranch_vccz .LBB38_53
; %bb.33:                               ;   in Loop: Header=BB38_3 Depth=1
	s_mov_b32 s3, 0
	s_wait_alu 0xfffe
	s_mov_b32 s16, s3
.LBB38_34:                              ;   Parent Loop BB38_3 Depth=1
                                        ; =>  This Loop Header: Depth=2
                                        ;       Child Loop BB38_37 Depth 3
                                        ;         Child Loop BB38_38 Depth 4
                                        ;         Child Loop BB38_41 Depth 4
                                        ;           Child Loop BB38_42 Depth 5
                                        ;         Child Loop BB38_47 Depth 4
                                        ;           Child Loop BB38_49 Depth 5
	s_getpc_b64 s[18:19]
	s_wait_alu 0xfffe
	s_sext_i32_i16 s19, s19
	s_add_co_u32 s18, s18, __const._ZL38rocblas_trsm_small_left_device_sharedBILi32ELi32ELb1EffPKPKfPKPfEv13rocblas_fill_18rocblas_operation_17rocblas_diagonal_iiT3_T4_lilT5_lili.step_sizes@rel32@lo+12
	s_wait_alu 0xfffe
	s_add_co_ci_u32 s19, s19, __const._ZL38rocblas_trsm_small_left_device_sharedBILi32ELi32ELb1EffPKPKfPKPfEv13rocblas_fill_18rocblas_operation_17rocblas_diagonal_iiT3_T4_lilT5_lili.step_sizes@rel32@hi+24
	s_lshl_b64 s[20:21], s[16:17], 2
	s_wait_alu 0xfffe
	s_add_nc_u64 s[18:19], s[18:19], s[20:21]
	s_load_b32 s22, s[18:19], 0x0
	s_wait_kmcnt 0x0
	s_add_co_i32 s23, s22, -1
	s_wait_alu 0xfffe
	s_add_co_i32 s18, s23, s3
	s_wait_alu 0xfffe
	s_cmp_ge_i32 s18, s25
	s_cbranch_scc1 .LBB38_50
; %bb.35:                               ;   in Loop: Header=BB38_34 Depth=2
	v_lshl_add_u32 v34, s3, 7, v69
	s_max_i32 s31, s22, 1
	s_lshl_b32 s33, s22, 7
	s_lshl_b32 s34, s3, 2
	;; [unrolled: 1-line block ×3, first 2 shown]
	s_mul_i32 s36, s3, 0x84
	s_mul_i32 s37, s22, 0x84
	s_branch .LBB38_37
.LBB38_36:                              ;   in Loop: Header=BB38_37 Depth=3
	s_add_co_i32 s3, s3, s22
	v_add_nc_u32_e32 v34, s33, v34
	s_wait_alu 0xfffe
	s_add_co_i32 s18, s23, s3
	s_add_co_i32 s34, s34, s35
	;; [unrolled: 1-line block ×3, first 2 shown]
	s_wait_alu 0xfffe
	s_cmp_ge_i32 s18, s25
	s_cbranch_scc1 .LBB38_50
.LBB38_37:                              ;   Parent Loop BB38_3 Depth=1
                                        ;     Parent Loop BB38_34 Depth=2
                                        ; =>    This Loop Header: Depth=3
                                        ;         Child Loop BB38_38 Depth 4
                                        ;         Child Loop BB38_41 Depth 4
                                        ;           Child Loop BB38_42 Depth 5
                                        ;         Child Loop BB38_47 Depth 4
                                        ;           Child Loop BB38_49 Depth 5
	v_mov_b32_e32 v35, v34
	s_mov_b64 s[18:19], 0
.LBB38_38:                              ;   Parent Loop BB38_3 Depth=1
                                        ;     Parent Loop BB38_34 Depth=2
                                        ;       Parent Loop BB38_37 Depth=3
                                        ; =>      This Inner Loop Header: Depth=4
	ds_load_b32 v36, v35
	v_add_nc_u32_e32 v35, 0x80, v35
	s_wait_alu 0xfffe
	s_mov_b32 m0, s18
	s_add_nc_u64 s[18:19], s[18:19], 1
	s_wait_alu 0xfffe
	s_cmp_eq_u32 s31, s18
	s_wait_dscnt 0x0
	v_movreld_b32_e32 v2, v36
	s_cbranch_scc0 .LBB38_38
; %bb.39:                               ;   in Loop: Header=BB38_37 Depth=3
	s_cmp_lt_i32 s3, 1
	s_cbranch_scc1 .LBB38_44
; %bb.40:                               ;   in Loop: Header=BB38_37 Depth=3
	s_mov_b32 s20, 0
	s_mov_b32 s21, s34
.LBB38_41:                              ;   Parent Loop BB38_3 Depth=1
                                        ;     Parent Loop BB38_34 Depth=2
                                        ;       Parent Loop BB38_37 Depth=3
                                        ; =>      This Loop Header: Depth=4
                                        ;           Child Loop BB38_42 Depth 5
	s_wait_alu 0xfffe
	v_lshl_add_u32 v35, s20, 7, v69
	s_mov_b64 s[18:19], 0
	s_mov_b32 s38, s21
	ds_load_b32 v35, v35
.LBB38_42:                              ;   Parent Loop BB38_3 Depth=1
                                        ;     Parent Loop BB38_34 Depth=2
                                        ;       Parent Loop BB38_37 Depth=3
                                        ;         Parent Loop BB38_41 Depth=4
                                        ; =>        This Inner Loop Header: Depth=5
	s_wait_alu 0xfffe
	v_mov_b32_e32 v36, s38
	s_mov_b32 m0, s18
	s_add_nc_u64 s[18:19], s[18:19], 1
	v_movrels_b32_e32 v37, v2
	s_add_co_i32 s38, s38, 4
	ds_load_b32 v36, v36
	s_wait_alu 0xfffe
	s_cmp_eq_u32 s31, s18
	s_wait_dscnt 0x0
	v_fma_f32 v36, -v35, v36, v37
	s_delay_alu instid0(VALU_DEP_1)
	v_movreld_b32_e32 v2, v36
	s_cbranch_scc0 .LBB38_42
; %bb.43:                               ;   in Loop: Header=BB38_41 Depth=4
	s_add_co_i32 s20, s20, 1
	s_addk_co_i32 s21, 0x80
	s_wait_alu 0xfffe
	s_cmp_eq_u32 s20, s3
	s_cbranch_scc0 .LBB38_41
.LBB38_44:                              ;   in Loop: Header=BB38_37 Depth=3
	s_mov_b64 s[18:19], 0
	s_mov_b32 s38, s36
	s_branch .LBB38_47
.LBB38_45:                              ;   in Loop: Header=BB38_47 Depth=4
	s_mov_b64 s[20:21], s[18:19]
.LBB38_46:                              ;   in Loop: Header=BB38_47 Depth=4
	s_wait_alu 0xfffe
	s_mov_b32 m0, s20
	s_add_co_i32 s20, s18, s3
	v_movrels_b32_e32 v36, v2
	s_wait_alu 0xfffe
	s_mul_i32 s21, s20, 0x84
	s_add_nc_u64 s[18:19], s[18:19], 1
	s_wait_alu 0xfffe
	v_mov_b32_e32 v35, s21
	s_add_co_i32 s38, s38, 4
	s_cmp_eq_u32 s18, s31
	ds_load_b32 v35, v35
	s_wait_dscnt 0x0
	v_mul_f32_e32 v35, v36, v35
	v_lshl_add_u32 v36, s20, 7, v69
	s_delay_alu instid0(VALU_DEP_2)
	v_movreld_b32_e32 v2, v35
	ds_store_b32 v36, v35
	s_cbranch_scc1 .LBB38_36
.LBB38_47:                              ;   Parent Loop BB38_3 Depth=1
                                        ;     Parent Loop BB38_34 Depth=2
                                        ;       Parent Loop BB38_37 Depth=3
                                        ; =>      This Loop Header: Depth=4
                                        ;           Child Loop BB38_49 Depth 5
	s_mov_b64 s[20:21], 0
	s_wait_alu 0xfffe
	s_cmp_eq_u32 s18, 0
	s_cbranch_scc1 .LBB38_46
; %bb.48:                               ;   in Loop: Header=BB38_47 Depth=4
	s_mov_b32 s39, s38
.LBB38_49:                              ;   Parent Loop BB38_3 Depth=1
                                        ;     Parent Loop BB38_34 Depth=2
                                        ;       Parent Loop BB38_37 Depth=3
                                        ;         Parent Loop BB38_47 Depth=4
                                        ; =>        This Inner Loop Header: Depth=5
	s_wait_alu 0xfffe
	v_mov_b32_e32 v35, s39
	s_mov_b32 m0, s20
	s_add_nc_u64 s[20:21], s[20:21], 1
	v_movrels_b32_e32 v36, v2
	s_mov_b32 m0, s18
	ds_load_b32 v35, v35
	v_movrels_b32_e32 v37, v2
	s_addk_co_i32 s39, 0x80
	s_wait_alu 0xfffe
	s_cmp_eq_u32 s18, s20
	s_wait_dscnt 0x0
	v_fma_f32 v35, -v36, v35, v37
	s_delay_alu instid0(VALU_DEP_1)
	v_movreld_b32_e32 v2, v35
	s_cbranch_scc0 .LBB38_49
	s_branch .LBB38_45
.LBB38_50:                              ;   in Loop: Header=BB38_34 Depth=2
	s_cmp_lt_i32 s3, s25
	s_cselect_b32 s19, -1, 0
	s_add_co_i32 s18, s16, 1
	s_cmp_lt_u32 s16, 2
	s_cselect_b32 s16, -1, 0
	s_wait_alu 0xfffe
	s_and_b32 s16, s19, s16
	s_delay_alu instid0(SALU_CYCLE_1)
	s_and_not1_b32 vcc_lo, exec_lo, s16
	s_wait_alu 0xfffe
	s_cbranch_vccnz .LBB38_52
; %bb.51:                               ;   in Loop: Header=BB38_34 Depth=2
	s_mov_b32 s16, s18
	s_branch .LBB38_34
.LBB38_52:                              ;   in Loop: Header=BB38_3 Depth=1
	v_dual_mov_b32 v65, v33 :: v_dual_mov_b32 v64, v32
	v_dual_mov_b32 v63, v31 :: v_dual_mov_b32 v62, v30
	;; [unrolled: 1-line block ×16, first 2 shown]
.LBB38_53:                              ;   in Loop: Header=BB38_3 Depth=1
	; wave barrier
	s_wait_loadcnt_dscnt 0x0
	global_inv scope:SCOPE_SE
	s_and_saveexec_b32 s3, s29
	s_cbranch_execz .LBB38_2
; %bb.54:                               ;   in Loop: Header=BB38_3 Depth=1
	v_add_co_u32 v2, vcc_lo, v71, v66
	s_wait_alu 0xfffd
	v_add_co_ci_u32_e64 v3, null, v72, v67, vcc_lo
	v_mov_b32_e32 v4, v69
	s_mov_b32 s16, s25
.LBB38_55:                              ;   Parent Loop BB38_3 Depth=1
                                        ; =>  This Inner Loop Header: Depth=2
	ds_load_b32 v5, v4
	v_add_nc_u32_e32 v4, 0x80, v4
	s_add_co_i32 s16, s16, -1
	s_delay_alu instid0(SALU_CYCLE_1)
	s_cmp_lg_u32 s16, 0
	s_wait_dscnt 0x0
	flat_store_b32 v[2:3], v5
	v_add_co_u32 v2, vcc_lo, v2, 4
	s_wait_alu 0xfffd
	v_add_co_ci_u32_e64 v3, null, 0, v3, vcc_lo
	s_cbranch_scc1 .LBB38_55
	s_branch .LBB38_2
.LBB38_56:
	s_endpgm
	.section	.rodata,"a",@progbits
	.p2align	6, 0x0
	.amdhsa_kernel _ZL38rocblas_trsm_small_left_device_sharedBILi32ELi32ELb1EffPKPKfPKPfEv13rocblas_fill_18rocblas_operation_17rocblas_diagonal_iiT3_T4_lilT5_lili
		.amdhsa_group_segment_fixed_size 8192
		.amdhsa_private_segment_fixed_size 0
		.amdhsa_kernarg_size 352
		.amdhsa_user_sgpr_count 2
		.amdhsa_user_sgpr_dispatch_ptr 0
		.amdhsa_user_sgpr_queue_ptr 0
		.amdhsa_user_sgpr_kernarg_segment_ptr 1
		.amdhsa_user_sgpr_dispatch_id 0
		.amdhsa_user_sgpr_private_segment_size 0
		.amdhsa_wavefront_size32 1
		.amdhsa_uses_dynamic_stack 0
		.amdhsa_enable_private_segment 0
		.amdhsa_system_sgpr_workgroup_id_x 1
		.amdhsa_system_sgpr_workgroup_id_y 0
		.amdhsa_system_sgpr_workgroup_id_z 1
		.amdhsa_system_sgpr_workgroup_info 0
		.amdhsa_system_vgpr_workitem_id 0
		.amdhsa_next_free_vgpr 241
		.amdhsa_next_free_sgpr 43
		.amdhsa_reserve_vcc 1
		.amdhsa_float_round_mode_32 0
		.amdhsa_float_round_mode_16_64 0
		.amdhsa_float_denorm_mode_32 3
		.amdhsa_float_denorm_mode_16_64 3
		.amdhsa_fp16_overflow 0
		.amdhsa_workgroup_processor_mode 1
		.amdhsa_memory_ordered 1
		.amdhsa_forward_progress 1
		.amdhsa_inst_pref_size 22
		.amdhsa_round_robin_scheduling 0
		.amdhsa_exception_fp_ieee_invalid_op 0
		.amdhsa_exception_fp_denorm_src 0
		.amdhsa_exception_fp_ieee_div_zero 0
		.amdhsa_exception_fp_ieee_overflow 0
		.amdhsa_exception_fp_ieee_underflow 0
		.amdhsa_exception_fp_ieee_inexact 0
		.amdhsa_exception_int_div_zero 0
	.end_amdhsa_kernel
	.section	.text._ZL38rocblas_trsm_small_left_device_sharedBILi32ELi32ELb1EffPKPKfPKPfEv13rocblas_fill_18rocblas_operation_17rocblas_diagonal_iiT3_T4_lilT5_lili,"axG",@progbits,_ZL38rocblas_trsm_small_left_device_sharedBILi32ELi32ELb1EffPKPKfPKPfEv13rocblas_fill_18rocblas_operation_17rocblas_diagonal_iiT3_T4_lilT5_lili,comdat
.Lfunc_end38:
	.size	_ZL38rocblas_trsm_small_left_device_sharedBILi32ELi32ELb1EffPKPKfPKPfEv13rocblas_fill_18rocblas_operation_17rocblas_diagonal_iiT3_T4_lilT5_lili, .Lfunc_end38-_ZL38rocblas_trsm_small_left_device_sharedBILi32ELi32ELb1EffPKPKfPKPfEv13rocblas_fill_18rocblas_operation_17rocblas_diagonal_iiT3_T4_lilT5_lili
                                        ; -- End function
	.set _ZL38rocblas_trsm_small_left_device_sharedBILi32ELi32ELb1EffPKPKfPKPfEv13rocblas_fill_18rocblas_operation_17rocblas_diagonal_iiT3_T4_lilT5_lili.num_vgpr, 77
	.set _ZL38rocblas_trsm_small_left_device_sharedBILi32ELi32ELb1EffPKPKfPKPfEv13rocblas_fill_18rocblas_operation_17rocblas_diagonal_iiT3_T4_lilT5_lili.num_agpr, 0
	.set _ZL38rocblas_trsm_small_left_device_sharedBILi32ELi32ELb1EffPKPKfPKPfEv13rocblas_fill_18rocblas_operation_17rocblas_diagonal_iiT3_T4_lilT5_lili.numbered_sgpr, 43
	.set _ZL38rocblas_trsm_small_left_device_sharedBILi32ELi32ELb1EffPKPKfPKPfEv13rocblas_fill_18rocblas_operation_17rocblas_diagonal_iiT3_T4_lilT5_lili.num_named_barrier, 0
	.set _ZL38rocblas_trsm_small_left_device_sharedBILi32ELi32ELb1EffPKPKfPKPfEv13rocblas_fill_18rocblas_operation_17rocblas_diagonal_iiT3_T4_lilT5_lili.private_seg_size, 0
	.set _ZL38rocblas_trsm_small_left_device_sharedBILi32ELi32ELb1EffPKPKfPKPfEv13rocblas_fill_18rocblas_operation_17rocblas_diagonal_iiT3_T4_lilT5_lili.uses_vcc, 1
	.set _ZL38rocblas_trsm_small_left_device_sharedBILi32ELi32ELb1EffPKPKfPKPfEv13rocblas_fill_18rocblas_operation_17rocblas_diagonal_iiT3_T4_lilT5_lili.uses_flat_scratch, 0
	.set _ZL38rocblas_trsm_small_left_device_sharedBILi32ELi32ELb1EffPKPKfPKPfEv13rocblas_fill_18rocblas_operation_17rocblas_diagonal_iiT3_T4_lilT5_lili.has_dyn_sized_stack, 0
	.set _ZL38rocblas_trsm_small_left_device_sharedBILi32ELi32ELb1EffPKPKfPKPfEv13rocblas_fill_18rocblas_operation_17rocblas_diagonal_iiT3_T4_lilT5_lili.has_recursion, 0
	.set _ZL38rocblas_trsm_small_left_device_sharedBILi32ELi32ELb1EffPKPKfPKPfEv13rocblas_fill_18rocblas_operation_17rocblas_diagonal_iiT3_T4_lilT5_lili.has_indirect_call, 0
	.section	.AMDGPU.csdata,"",@progbits
; Kernel info:
; codeLenInByte = 2816
; TotalNumSgprs: 45
; NumVgprs: 77
; ScratchSize: 0
; MemoryBound: 0
; FloatMode: 240
; IeeeMode: 1
; LDSByteSize: 8192 bytes/workgroup (compile time only)
; SGPRBlocks: 0
; VGPRBlocks: 30
; NumSGPRsForWavesPerEU: 45
; NumVGPRsForWavesPerEU: 241
; Occupancy: 4
; WaveLimiterHint : 0
; COMPUTE_PGM_RSRC2:SCRATCH_EN: 0
; COMPUTE_PGM_RSRC2:USER_SGPR: 2
; COMPUTE_PGM_RSRC2:TRAP_HANDLER: 0
; COMPUTE_PGM_RSRC2:TGID_X_EN: 1
; COMPUTE_PGM_RSRC2:TGID_Y_EN: 0
; COMPUTE_PGM_RSRC2:TGID_Z_EN: 1
; COMPUTE_PGM_RSRC2:TIDIG_COMP_CNT: 0
	.section	.text._ZL30rocblas_trsm_small_left_deviceILi32ELi32ELb1EffPKPKfPKPfEv13rocblas_fill_18rocblas_operation_17rocblas_diagonal_iiT3_T4_lilT5_lili,"axG",@progbits,_ZL30rocblas_trsm_small_left_deviceILi32ELi32ELb1EffPKPKfPKPfEv13rocblas_fill_18rocblas_operation_17rocblas_diagonal_iiT3_T4_lilT5_lili,comdat
	.globl	_ZL30rocblas_trsm_small_left_deviceILi32ELi32ELb1EffPKPKfPKPfEv13rocblas_fill_18rocblas_operation_17rocblas_diagonal_iiT3_T4_lilT5_lili ; -- Begin function _ZL30rocblas_trsm_small_left_deviceILi32ELi32ELb1EffPKPKfPKPfEv13rocblas_fill_18rocblas_operation_17rocblas_diagonal_iiT3_T4_lilT5_lili
	.p2align	8
	.type	_ZL30rocblas_trsm_small_left_deviceILi32ELi32ELb1EffPKPKfPKPfEv13rocblas_fill_18rocblas_operation_17rocblas_diagonal_iiT3_T4_lilT5_lili,@function
_ZL30rocblas_trsm_small_left_deviceILi32ELi32ELb1EffPKPKfPKPfEv13rocblas_fill_18rocblas_operation_17rocblas_diagonal_iiT3_T4_lilT5_lili: ; @_ZL30rocblas_trsm_small_left_deviceILi32ELi32ELb1EffPKPKfPKPfEv13rocblas_fill_18rocblas_operation_17rocblas_diagonal_iiT3_T4_lilT5_lili
; %bb.0:
	s_load_b32 s28, s[0:1], 0x58
	s_lshr_b32 s2, ttmp7, 16
	s_wait_kmcnt 0x0
	s_cmp_ge_u32 s2, s28
	s_cbranch_scc1 .LBB39_53
; %bb.1:
	s_clause 0x6
	s_load_b32 s16, s[0:1], 0x28
	s_load_b128 s[12:15], s[0:1], 0x4
	s_load_b32 s3, s[0:1], 0x60
	s_load_b32 s18, s[0:1], 0x48
	s_load_b128 s[4:7], s[0:1], 0x18
	s_load_b128 s[8:11], s[0:1], 0x38
	s_load_b32 s29, s[0:1], 0x14
	s_lshl_b32 s0, ttmp9, 5
	v_dual_mov_b32 v1, 0 :: v_dual_lshlrev_b32 v72, 2, v0
	v_or_b32_e32 v2, s0, v0
	v_lshlrev_b32_e32 v33, 7, v0
	s_mov_b32 s36, 0
	s_delay_alu instid0(VALU_DEP_3)
	v_dual_mov_b32 v31, v1 :: v_dual_mov_b32 v32, v1
	v_dual_mov_b32 v5, v1 :: v_dual_mov_b32 v6, v1
	;; [unrolled: 1-line block ×3, first 2 shown]
	s_wait_kmcnt 0x0
	s_ashr_i32 s17, s16, 31
	s_min_i32 s30, s14, 32
	s_add_co_i32 s3, s3, -1
	v_mad_co_i64_i32 v[2:3], null, s18, v2, 0
	s_sub_co_i32 s0, s15, s0
	s_add_co_i32 s31, s30, -1
	s_wait_alu 0xfffe
	s_cmp_ge_u32 ttmp9, s3
	v_dual_mov_b32 v9, v1 :: v_dual_mov_b32 v10, v1
	s_cselect_b32 s1, s0, 32
	s_cmp_lg_u32 s13, 0x84
	v_lshlrev_b64_e32 v[66:67], 2, v[2:3]
	s_cselect_b32 s33, -1, 0
	s_cmp_lg_u32 s12, 0x6f
	v_mov_b32_e32 v2, v1
	s_cselect_b32 s34, -1, 0
	s_lshl_b64 s[10:11], s[10:11], 2
	v_dual_mov_b32 v3, v1 :: v_dual_mov_b32 v4, v1
	v_dual_mov_b32 v11, v1 :: v_dual_mov_b32 v12, v1
	;; [unrolled: 1-line block ×11, first 2 shown]
	v_add_co_u32 v73, vcc_lo, v66, s10
	v_cmp_gt_i32_e64 s0, s30, v0
	s_wait_alu 0xfffe
	v_cmp_gt_i32_e64 s1, s1, v0
	v_lshlrev_b32_e32 v0, 2, v0
	v_add_nc_u32_e32 v75, v72, v33
	v_mov_b32_e32 v33, v32
	v_add_co_ci_u32_e64 v74, null, s11, v67, vcc_lo
	v_mov_b32_e32 v32, v31
	v_mov_b32_e32 v31, v30
	;; [unrolled: 1-line block ×31, first 2 shown]
	s_lshl_b32 s35, s30, 2
	s_lshl_b64 s[12:13], s[16:17], 2
	s_add_co_i32 s35, s35, -4
	s_mov_b32 s15, 0
	s_lshl_b64 s[6:7], s[6:7], 2
	s_branch .LBB39_5
.LBB39_2:                               ;   in Loop: Header=BB39_5 Depth=1
	v_dual_mov_b32 v65, v33 :: v_dual_mov_b32 v64, v32
	v_dual_mov_b32 v63, v31 :: v_dual_mov_b32 v62, v30
	v_dual_mov_b32 v61, v29 :: v_dual_mov_b32 v60, v28
	v_dual_mov_b32 v59, v27 :: v_dual_mov_b32 v58, v26
	v_dual_mov_b32 v57, v25 :: v_dual_mov_b32 v56, v24
	v_dual_mov_b32 v55, v23 :: v_dual_mov_b32 v54, v22
	v_dual_mov_b32 v53, v21 :: v_dual_mov_b32 v52, v20
	v_dual_mov_b32 v51, v19 :: v_dual_mov_b32 v50, v18
	v_dual_mov_b32 v49, v17 :: v_dual_mov_b32 v48, v16
	v_dual_mov_b32 v47, v15 :: v_dual_mov_b32 v46, v14
	v_dual_mov_b32 v45, v13 :: v_dual_mov_b32 v44, v12
	v_dual_mov_b32 v43, v11 :: v_dual_mov_b32 v42, v10
	v_dual_mov_b32 v41, v9 :: v_dual_mov_b32 v40, v8
	v_dual_mov_b32 v39, v7 :: v_dual_mov_b32 v38, v6
	v_dual_mov_b32 v37, v5 :: v_dual_mov_b32 v36, v4
	v_dual_mov_b32 v35, v3 :: v_dual_mov_b32 v34, v2
.LBB39_3:                               ;   in Loop: Header=BB39_5 Depth=1
	s_add_co_i32 s2, s2, 0x10000
	s_delay_alu instid0(SALU_CYCLE_1) | instskip(SKIP_1) | instid1(SALU_CYCLE_1)
	s_cmp_ge_u32 s2, s28
	s_cselect_b32 s14, -1, 0
	s_or_not1_b32 s14, s14, exec_lo
.LBB39_4:                               ;   in Loop: Header=BB39_5 Depth=1
	s_or_b32 exec_lo, exec_lo, s3
	v_dual_mov_b32 v2, v34 :: v_dual_mov_b32 v3, v35
	v_dual_mov_b32 v4, v36 :: v_dual_mov_b32 v5, v37
	;; [unrolled: 1-line block ×16, first 2 shown]
	s_and_b32 s3, exec_lo, s14
	s_delay_alu instid0(SALU_CYCLE_1) | instskip(NEXT) | instid1(SALU_CYCLE_1)
	s_or_b32 s36, s3, s36
	s_and_not1_b32 exec_lo, exec_lo, s36
	s_cbranch_execz .LBB39_53
.LBB39_5:                               ; =>This Loop Header: Depth=1
                                        ;     Child Loop BB39_7 Depth 2
                                        ;     Child Loop BB39_14 Depth 2
                                        ;       Child Loop BB39_17 Depth 3
                                        ;         Child Loop BB39_18 Depth 4
                                        ;         Child Loop BB39_20 Depth 4
                                        ;           Child Loop BB39_21 Depth 5
                                        ;         Child Loop BB39_26 Depth 4
                                        ;           Child Loop BB39_28 Depth 5
                                        ;     Child Loop BB39_35 Depth 2
                                        ;       Child Loop BB39_38 Depth 3
                                        ;         Child Loop BB39_39 Depth 4
                                        ;         Child Loop BB39_42 Depth 4
                                        ;           Child Loop BB39_43 Depth 5
                                        ;         Child Loop BB39_48 Depth 4
                                        ;           Child Loop BB39_50 Depth 5
	s_mov_b32 s3, s15
	s_delay_alu instid0(SALU_CYCLE_1) | instskip(NEXT) | instid1(SALU_CYCLE_1)
	s_lshl_b64 s[16:17], s[2:3], 3
	s_add_nc_u64 s[18:19], s[8:9], s[16:17]
	global_load_b64 v[68:69], v1, s[18:19]
	s_and_saveexec_b32 s3, s0
	s_cbranch_execz .LBB39_11
; %bb.6:                                ;   in Loop: Header=BB39_5 Depth=1
	s_add_nc_u64 s[16:17], s[4:5], s[16:17]
	v_mov_b32_e32 v36, v72
	global_load_b64 v[34:35], v1, s[16:17]
	s_mov_b32 s14, s30
	s_wait_loadcnt 0x0
	v_add_co_u32 v34, vcc_lo, v34, s6
	s_wait_alu 0xfffd
	v_add_co_ci_u32_e64 v35, null, s7, v35, vcc_lo
	s_delay_alu instid0(VALU_DEP_2) | instskip(SKIP_1) | instid1(VALU_DEP_2)
	v_add_co_u32 v34, vcc_lo, v34, v0
	s_wait_alu 0xfffd
	v_add_co_ci_u32_e64 v35, null, 0, v35, vcc_lo
.LBB39_7:                               ;   Parent Loop BB39_5 Depth=1
                                        ; =>  This Inner Loop Header: Depth=2
	flat_load_b32 v37, v[34:35]
	v_add_co_u32 v34, vcc_lo, v34, s12
	s_wait_alu 0xfffd
	v_add_co_ci_u32_e64 v35, null, s13, v35, vcc_lo
	s_add_co_i32 s14, s14, -1
	s_delay_alu instid0(SALU_CYCLE_1)
	s_cmp_eq_u32 s14, 0
	s_wait_loadcnt_dscnt 0x0
	ds_store_b32 v36, v37
	v_add_nc_u32_e32 v36, 0x80, v36
	s_cbranch_scc0 .LBB39_7
; %bb.8:                                ;   in Loop: Header=BB39_5 Depth=1
	v_mov_b32_e32 v34, 1.0
	s_and_b32 vcc_lo, exec_lo, s33
	s_wait_alu 0xfffe
	s_cbranch_vccz .LBB39_10
; %bb.9:                                ;   in Loop: Header=BB39_5 Depth=1
	ds_load_b32 v34, v75
	s_wait_dscnt 0x0
	v_div_scale_f32 v35, null, v34, v34, 1.0
	s_delay_alu instid0(VALU_DEP_1) | instskip(NEXT) | instid1(TRANS32_DEP_1)
	v_rcp_f32_e32 v36, v35
	v_fma_f32 v37, -v35, v36, 1.0
	s_delay_alu instid0(VALU_DEP_1) | instskip(SKIP_1) | instid1(VALU_DEP_1)
	v_fmac_f32_e32 v36, v37, v36
	v_div_scale_f32 v37, vcc_lo, 1.0, v34, 1.0
	v_mul_f32_e32 v38, v37, v36
	s_delay_alu instid0(VALU_DEP_1) | instskip(NEXT) | instid1(VALU_DEP_1)
	v_fma_f32 v39, -v35, v38, v37
	v_fmac_f32_e32 v38, v39, v36
	s_delay_alu instid0(VALU_DEP_1) | instskip(SKIP_1) | instid1(VALU_DEP_1)
	v_fma_f32 v35, -v35, v38, v37
	s_wait_alu 0xfffd
	v_div_fmas_f32 v35, v35, v36, v38
	s_delay_alu instid0(VALU_DEP_1)
	v_div_fixup_f32 v34, v35, v34, 1.0
.LBB39_10:                              ;   in Loop: Header=BB39_5 Depth=1
	ds_store_b32 v75, v34
.LBB39_11:                              ;   in Loop: Header=BB39_5 Depth=1
	s_or_b32 exec_lo, exec_lo, s3
	s_mov_b32 s14, -1
	; wave barrier
	s_wait_loadcnt_dscnt 0x0
	global_inv scope:SCOPE_SE
                                        ; implicit-def: $vgpr34_vgpr35_vgpr36_vgpr37_vgpr38_vgpr39_vgpr40_vgpr41_vgpr42_vgpr43_vgpr44_vgpr45_vgpr46_vgpr47_vgpr48_vgpr49_vgpr50_vgpr51_vgpr52_vgpr53_vgpr54_vgpr55_vgpr56_vgpr57_vgpr58_vgpr59_vgpr60_vgpr61_vgpr62_vgpr63_vgpr64_vgpr65
	s_and_saveexec_b32 s3, s1
	s_cbranch_execz .LBB39_4
; %bb.12:                               ;   in Loop: Header=BB39_5 Depth=1
	v_add_co_u32 v34, vcc_lo, v68, s10
	s_wait_alu 0xfffd
	v_add_co_ci_u32_e64 v35, null, s11, v69, vcc_lo
	s_delay_alu instid0(VALU_DEP_2) | instskip(SKIP_1) | instid1(VALU_DEP_2)
	v_add_co_u32 v76, vcc_lo, v34, v66
	s_wait_alu 0xfffd
	v_add_co_ci_u32_e64 v77, null, v35, v67, vcc_lo
	s_and_not1_b32 vcc_lo, exec_lo, s34
                                        ; implicit-def: $vgpr34_vgpr35_vgpr36_vgpr37_vgpr38_vgpr39_vgpr40_vgpr41_vgpr42_vgpr43_vgpr44_vgpr45_vgpr46_vgpr47_vgpr48_vgpr49_vgpr50_vgpr51_vgpr52_vgpr53_vgpr54_vgpr55_vgpr56_vgpr57_vgpr58_vgpr59_vgpr60_vgpr61_vgpr62_vgpr63_vgpr64_vgpr65
	s_wait_alu 0xfffe
	s_cbranch_vccnz .LBB39_33
; %bb.13:                               ;   in Loop: Header=BB39_5 Depth=1
	v_add_co_u32 v78, vcc_lo, v68, v73
	v_dual_mov_b32 v65, v33 :: v_dual_mov_b32 v64, v32
	v_dual_mov_b32 v63, v31 :: v_dual_mov_b32 v62, v30
	;; [unrolled: 1-line block ×16, first 2 shown]
	s_wait_alu 0xfffd
	v_add_co_ci_u32_e64 v79, null, v69, v74, vcc_lo
	s_mov_b32 s14, 0
	s_mov_b32 s16, s31
.LBB39_14:                              ;   Parent Loop BB39_5 Depth=1
                                        ; =>  This Loop Header: Depth=2
                                        ;       Child Loop BB39_17 Depth 3
                                        ;         Child Loop BB39_18 Depth 4
                                        ;         Child Loop BB39_20 Depth 4
                                        ;           Child Loop BB39_21 Depth 5
                                        ;         Child Loop BB39_26 Depth 4
                                        ;           Child Loop BB39_28 Depth 5
	s_getpc_b64 s[18:19]
	s_wait_alu 0xfffe
	s_sext_i32_i16 s19, s19
	s_add_co_u32 s18, s18, __const._ZL30rocblas_trsm_small_left_deviceILi32ELi32ELb1EffPKPKfPKPfEv13rocblas_fill_18rocblas_operation_17rocblas_diagonal_iiT3_T4_lilT5_lili.step_sizes@rel32@lo+12
	s_wait_alu 0xfffe
	s_add_co_ci_u32 s19, s19, __const._ZL30rocblas_trsm_small_left_deviceILi32ELi32ELb1EffPKPKfPKPfEv13rocblas_fill_18rocblas_operation_17rocblas_diagonal_iiT3_T4_lilT5_lili.step_sizes@rel32@hi+24
	s_lshl_b64 s[20:21], s[14:15], 2
	s_wait_alu 0xfffe
	s_add_nc_u64 s[18:19], s[18:19], s[20:21]
	s_load_b32 s26, s[18:19], 0x0
	s_wait_kmcnt 0x0
	s_add_co_i32 s27, s26, -1
	s_wait_alu 0xfffe
	s_cmp_lt_i32 s16, s27
	s_cbranch_scc1 .LBB39_30
; %bb.15:                               ;   in Loop: Header=BB39_14 Depth=2
	s_lshl_b32 s17, s16, 7
	s_lshl_b32 s18, s26, 7
	s_max_i32 s37, s26, 1
	s_add_co_i32 s38, s35, s17
	s_wait_alu 0xfffe
	s_sub_co_i32 s39, 0, s18
	s_mul_i32 s40, s16, 0x84
	s_mul_i32 s41, s26, 0xffffff7c
	s_branch .LBB39_17
.LBB39_16:                              ;   in Loop: Header=BB39_17 Depth=3
	s_sub_co_i32 s16, s16, s26
	s_add_co_i32 s38, s38, s39
	s_add_co_i32 s40, s40, s41
	s_cmp_lt_i32 s16, s27
	s_cbranch_scc1 .LBB39_30
.LBB39_17:                              ;   Parent Loop BB39_5 Depth=1
                                        ;     Parent Loop BB39_14 Depth=2
                                        ; =>    This Loop Header: Depth=3
                                        ;         Child Loop BB39_18 Depth 4
                                        ;         Child Loop BB39_20 Depth 4
                                        ;           Child Loop BB39_21 Depth 5
                                        ;         Child Loop BB39_26 Depth 4
                                        ;           Child Loop BB39_28 Depth 5
	s_ashr_i32 s17, s16, 31
	s_delay_alu instid0(SALU_CYCLE_1)
	s_lshl_b64 s[18:19], s[16:17], 2
	s_wait_alu 0xfffe
	v_add_co_u32 v70, vcc_lo, v78, s18
	s_wait_alu 0xfffd
	v_add_co_ci_u32_e64 v71, null, s19, v79, vcc_lo
	s_mov_b64 s[18:19], 0
.LBB39_18:                              ;   Parent Loop BB39_5 Depth=1
                                        ;     Parent Loop BB39_14 Depth=2
                                        ;       Parent Loop BB39_17 Depth=3
                                        ; =>      This Inner Loop Header: Depth=4
	flat_load_b32 v80, v[70:71]
	v_add_co_u32 v70, vcc_lo, v70, -4
	s_wait_alu 0xfffd
	v_add_co_ci_u32_e64 v71, null, -1, v71, vcc_lo
	s_wait_alu 0xfffe
	s_mov_b32 m0, s18
	s_add_nc_u64 s[18:19], s[18:19], 1
	s_wait_alu 0xfffe
	s_cmp_eq_u32 s37, s18
	s_wait_loadcnt_dscnt 0x0
	v_mul_f32_e32 v80, s29, v80
	s_delay_alu instid0(VALU_DEP_1)
	v_movreld_b32_e32 v34, v80
	s_cbranch_scc0 .LBB39_18
; %bb.19:                               ;   in Loop: Header=BB39_17 Depth=3
	s_cmp_le_i32 s31, s16
	s_mov_b32 s22, s38
	s_mov_b32 s18, s31
	s_cbranch_scc1 .LBB39_23
.LBB39_20:                              ;   Parent Loop BB39_5 Depth=1
                                        ;     Parent Loop BB39_14 Depth=2
                                        ;       Parent Loop BB39_17 Depth=3
                                        ; =>      This Loop Header: Depth=4
                                        ;           Child Loop BB39_21 Depth 5
	s_wait_alu 0xfffe
	s_ashr_i32 s19, s18, 31
	s_wait_alu 0xfffe
	s_lshl_b64 s[20:21], s[18:19], 2
	s_mov_b32 s19, s22
	s_wait_alu 0xfffe
	v_add_co_u32 v70, vcc_lo, v76, s20
	s_wait_alu 0xfffd
	v_add_co_ci_u32_e64 v71, null, s21, v77, vcc_lo
	s_mov_b64 s[20:21], 0
	flat_load_b32 v70, v[70:71]
.LBB39_21:                              ;   Parent Loop BB39_5 Depth=1
                                        ;     Parent Loop BB39_14 Depth=2
                                        ;       Parent Loop BB39_17 Depth=3
                                        ;         Parent Loop BB39_20 Depth=4
                                        ; =>        This Inner Loop Header: Depth=5
	s_wait_alu 0xfffe
	v_mov_b32_e32 v71, s19
	s_mov_b32 m0, s20
	s_add_nc_u64 s[20:21], s[20:21], 1
	v_movrels_b32_e32 v80, v34
	s_addk_co_i32 s19, 0xff80
	ds_load_b32 v71, v71
	s_wait_alu 0xfffe
	s_cmp_eq_u32 s37, s20
	s_wait_loadcnt_dscnt 0x0
	v_fma_f32 v71, -v70, v71, v80
	s_delay_alu instid0(VALU_DEP_1)
	v_movreld_b32_e32 v34, v71
	s_cbranch_scc0 .LBB39_21
; %bb.22:                               ;   in Loop: Header=BB39_20 Depth=4
	s_add_co_i32 s18, s18, -1
	s_add_co_i32 s22, s22, -4
	s_wait_alu 0xfffe
	s_cmp_le_i32 s18, s16
	s_cbranch_scc0 .LBB39_20
.LBB39_23:                              ;   in Loop: Header=BB39_17 Depth=3
	s_mov_b64 s[18:19], 0
	s_mov_b32 s42, s40
	s_branch .LBB39_26
.LBB39_24:                              ;   in Loop: Header=BB39_26 Depth=4
	s_mov_b32 s22, s16
	s_mov_b64 s[20:21], 0
	s_mov_b64 s[24:25], s[16:17]
.LBB39_25:                              ;   in Loop: Header=BB39_26 Depth=4
	s_wait_alu 0xfffe
	s_mov_b32 m0, s20
	s_mul_i32 s20, s22, 0x84
	v_movrels_b32_e32 v71, v34
	s_wait_alu 0xfffe
	v_mov_b32_e32 v70, s20
	s_lshl_b64 s[20:21], s[24:25], 2
	s_add_nc_u64 s[18:19], s[18:19], 1
	s_addk_co_i32 s42, 0xff80
	s_wait_alu 0xfffe
	s_cmp_eq_u32 s18, s37
	ds_load_b32 v70, v70
	s_wait_dscnt 0x0
	v_mul_f32_e32 v80, v71, v70
	v_add_co_u32 v70, vcc_lo, v76, s20
	s_wait_alu 0xfffd
	v_add_co_ci_u32_e64 v71, null, s21, v77, vcc_lo
	s_delay_alu instid0(VALU_DEP_3)
	v_movreld_b32_e32 v34, v80
	flat_store_b32 v[70:71], v80
	s_cbranch_scc1 .LBB39_16
.LBB39_26:                              ;   Parent Loop BB39_5 Depth=1
                                        ;     Parent Loop BB39_14 Depth=2
                                        ;       Parent Loop BB39_17 Depth=3
                                        ; =>      This Loop Header: Depth=4
                                        ;           Child Loop BB39_28 Depth 5
	s_wait_alu 0xfffe
	s_cmp_eq_u32 s18, 0
	s_cbranch_scc1 .LBB39_24
; %bb.27:                               ;   in Loop: Header=BB39_26 Depth=4
	s_mov_b64 s[20:21], s[18:19]
	s_mov_b64 s[22:23], 0
	s_mov_b32 s21, s42
.LBB39_28:                              ;   Parent Loop BB39_5 Depth=1
                                        ;     Parent Loop BB39_14 Depth=2
                                        ;       Parent Loop BB39_17 Depth=3
                                        ;         Parent Loop BB39_26 Depth=4
                                        ; =>        This Inner Loop Header: Depth=5
	s_wait_alu 0xfffe
	v_mov_b32_e32 v70, s21
	s_mov_b32 m0, s22
	s_add_nc_u64 s[22:23], s[22:23], 1
	v_movrels_b32_e32 v71, v34
	s_mov_b32 m0, s18
	ds_load_b32 v70, v70
	v_movrels_b32_e32 v80, v34
	s_add_co_i32 s21, s21, -4
	s_wait_alu 0xfffe
	s_cmp_eq_u32 s18, s22
	s_wait_dscnt 0x0
	v_fma_f32 v70, -v71, v70, v80
	s_delay_alu instid0(VALU_DEP_1)
	v_movreld_b32_e32 v34, v70
	s_cbranch_scc0 .LBB39_28
; %bb.29:                               ;   in Loop: Header=BB39_26 Depth=4
	s_sub_co_i32 s22, s16, s18
	s_wait_alu 0xfffe
	s_ashr_i32 s23, s22, 31
	s_wait_alu 0xfffe
	s_mov_b64 s[24:25], s[22:23]
	s_branch .LBB39_25
.LBB39_30:                              ;   in Loop: Header=BB39_14 Depth=2
	s_cmp_gt_i32 s16, -1
	s_cselect_b32 s18, -1, 0
	s_add_co_i32 s17, s14, 1
	s_cmp_lt_u32 s14, 2
	s_cselect_b32 s14, -1, 0
	s_wait_alu 0xfffe
	s_and_b32 s14, s18, s14
	s_delay_alu instid0(SALU_CYCLE_1)
	s_and_b32 vcc_lo, exec_lo, s14
	s_wait_alu 0xfffe
	s_cbranch_vccz .LBB39_32
; %bb.31:                               ;   in Loop: Header=BB39_14 Depth=2
	s_mov_b32 s14, s17
	s_branch .LBB39_14
.LBB39_32:                              ;   in Loop: Header=BB39_5 Depth=1
	s_mov_b32 s14, 0
.LBB39_33:                              ;   in Loop: Header=BB39_5 Depth=1
	s_delay_alu instid0(SALU_CYCLE_1)
	s_and_b32 vcc_lo, exec_lo, s14
	s_wait_alu 0xfffe
	s_cbranch_vccz .LBB39_3
; %bb.34:                               ;   in Loop: Header=BB39_5 Depth=1
	v_add_co_u32 v38, vcc_lo, v68, v73
	s_wait_alu 0xfffd
	v_add_co_ci_u32_e64 v39, null, v69, v74, vcc_lo
	s_mov_b32 s16, 0
	s_mov_b32 s18, 0
.LBB39_35:                              ;   Parent Loop BB39_5 Depth=1
                                        ; =>  This Loop Header: Depth=2
                                        ;       Child Loop BB39_38 Depth 3
                                        ;         Child Loop BB39_39 Depth 4
                                        ;         Child Loop BB39_42 Depth 4
                                        ;           Child Loop BB39_43 Depth 5
                                        ;         Child Loop BB39_48 Depth 4
                                        ;           Child Loop BB39_50 Depth 5
	s_mov_b32 s19, s15
	s_getpc_b64 s[20:21]
	s_wait_alu 0xfffe
	s_sext_i32_i16 s21, s21
	s_add_co_u32 s20, s20, __const._ZL30rocblas_trsm_small_left_deviceILi32ELi32ELb1EffPKPKfPKPfEv13rocblas_fill_18rocblas_operation_17rocblas_diagonal_iiT3_T4_lilT5_lili.step_sizes@rel32@lo+12
	s_wait_alu 0xfffe
	s_add_co_ci_u32 s21, s21, __const._ZL30rocblas_trsm_small_left_deviceILi32ELi32ELb1EffPKPKfPKPfEv13rocblas_fill_18rocblas_operation_17rocblas_diagonal_iiT3_T4_lilT5_lili.step_sizes@rel32@hi+24
	s_lshl_b64 s[22:23], s[18:19], 2
	s_wait_alu 0xfffe
	s_add_nc_u64 s[20:21], s[20:21], s[22:23]
	s_load_b32 s20, s[20:21], 0x0
	s_wait_kmcnt 0x0
	s_add_co_i32 s19, s20, -1
	s_wait_alu 0xfffe
	s_add_co_i32 s14, s19, s16
	s_delay_alu instid0(SALU_CYCLE_1)
	s_cmp_ge_i32 s14, s30
	s_cbranch_scc1 .LBB39_51
; %bb.36:                               ;   in Loop: Header=BB39_35 Depth=2
	s_ashr_i32 s17, s16, 31
	s_ashr_i32 s21, s20, 31
	s_lshl_b64 s[22:23], s[16:17], 2
	s_max_i32 s37, s20, 1
	s_wait_alu 0xfffe
	v_add_co_u32 v34, vcc_lo, v38, s22
	s_wait_alu 0xfffd
	v_add_co_ci_u32_e64 v35, null, s23, v39, vcc_lo
	s_lshl_b64 s[22:23], s[20:21], 2
	s_lshl_b32 s17, s16, 2
	s_lshl_b32 s21, s20, 2
	s_mul_i32 s38, s16, 0x84
	s_mul_i32 s39, s20, 0x84
	s_branch .LBB39_38
.LBB39_37:                              ;   in Loop: Header=BB39_38 Depth=3
	v_add_co_u32 v34, vcc_lo, v34, s22
	s_add_co_i32 s16, s16, s20
	s_wait_alu 0xfffd
	v_add_co_ci_u32_e64 v35, null, s23, v35, vcc_lo
	s_add_co_i32 s14, s19, s16
	s_add_co_i32 s17, s17, s21
	;; [unrolled: 1-line block ×3, first 2 shown]
	s_cmp_ge_i32 s14, s30
	s_cbranch_scc1 .LBB39_51
.LBB39_38:                              ;   Parent Loop BB39_5 Depth=1
                                        ;     Parent Loop BB39_35 Depth=2
                                        ; =>    This Loop Header: Depth=3
                                        ;         Child Loop BB39_39 Depth 4
                                        ;         Child Loop BB39_42 Depth 4
                                        ;           Child Loop BB39_43 Depth 5
                                        ;         Child Loop BB39_48 Depth 4
                                        ;           Child Loop BB39_50 Depth 5
	v_dual_mov_b32 v37, v35 :: v_dual_mov_b32 v36, v34
	s_mov_b64 s[24:25], 0
.LBB39_39:                              ;   Parent Loop BB39_5 Depth=1
                                        ;     Parent Loop BB39_35 Depth=2
                                        ;       Parent Loop BB39_38 Depth=3
                                        ; =>      This Inner Loop Header: Depth=4
	flat_load_b32 v40, v[36:37]
	v_add_co_u32 v36, vcc_lo, v36, 4
	s_wait_alu 0xfffd
	v_add_co_ci_u32_e64 v37, null, 0, v37, vcc_lo
	s_wait_alu 0xfffe
	s_mov_b32 m0, s24
	s_add_nc_u64 s[24:25], s[24:25], 1
	s_wait_alu 0xfffe
	s_cmp_eq_u32 s37, s24
	s_wait_loadcnt_dscnt 0x0
	v_mul_f32_e32 v40, s29, v40
	s_delay_alu instid0(VALU_DEP_1)
	v_movreld_b32_e32 v2, v40
	s_cbranch_scc0 .LBB39_39
; %bb.40:                               ;   in Loop: Header=BB39_38 Depth=3
	s_cmp_lt_i32 s16, 1
	s_cbranch_scc1 .LBB39_45
; %bb.41:                               ;   in Loop: Header=BB39_38 Depth=3
	s_mov_b32 s14, 0
	s_mov_b32 s26, s17
.LBB39_42:                              ;   Parent Loop BB39_5 Depth=1
                                        ;     Parent Loop BB39_35 Depth=2
                                        ;       Parent Loop BB39_38 Depth=3
                                        ; =>      This Loop Header: Depth=4
                                        ;           Child Loop BB39_43 Depth 5
	s_lshl_b64 s[24:25], s[14:15], 2
	s_wait_alu 0xfffe
	s_mov_b32 s27, s26
	v_add_co_u32 v36, vcc_lo, v76, s24
	s_wait_alu 0xfffd
	v_add_co_ci_u32_e64 v37, null, s25, v77, vcc_lo
	s_mov_b64 s[24:25], 0
	flat_load_b32 v36, v[36:37]
.LBB39_43:                              ;   Parent Loop BB39_5 Depth=1
                                        ;     Parent Loop BB39_35 Depth=2
                                        ;       Parent Loop BB39_38 Depth=3
                                        ;         Parent Loop BB39_42 Depth=4
                                        ; =>        This Inner Loop Header: Depth=5
	s_wait_alu 0xfffe
	v_mov_b32_e32 v37, s27
	s_mov_b32 m0, s24
	s_add_nc_u64 s[24:25], s[24:25], 1
	v_movrels_b32_e32 v40, v2
	s_add_co_i32 s27, s27, 4
	ds_load_b32 v37, v37
	s_wait_alu 0xfffe
	s_cmp_eq_u32 s37, s24
	s_wait_loadcnt_dscnt 0x0
	v_fma_f32 v37, -v36, v37, v40
	s_delay_alu instid0(VALU_DEP_1)
	v_movreld_b32_e32 v2, v37
	s_cbranch_scc0 .LBB39_43
; %bb.44:                               ;   in Loop: Header=BB39_42 Depth=4
	s_add_co_i32 s14, s14, 1
	s_addk_co_i32 s26, 0x80
	s_cmp_eq_u32 s14, s16
	s_cbranch_scc0 .LBB39_42
.LBB39_45:                              ;   in Loop: Header=BB39_38 Depth=3
	s_mov_b64 s[24:25], 0
	s_mov_b32 s14, s38
	s_branch .LBB39_48
.LBB39_46:                              ;   in Loop: Header=BB39_48 Depth=4
	s_mov_b64 s[26:27], s[24:25]
.LBB39_47:                              ;   in Loop: Header=BB39_48 Depth=4
	s_wait_alu 0xfffe
	s_mov_b32 m0, s26
	s_add_co_i32 s26, s24, s16
	v_movrels_b32_e32 v37, v2
	s_wait_alu 0xfffe
	s_mul_i32 s27, s26, 0x84
	s_add_nc_u64 s[24:25], s[24:25], 1
	s_wait_alu 0xfffe
	v_mov_b32_e32 v36, s27
	s_ashr_i32 s27, s26, 31
	s_add_co_i32 s14, s14, 4
	s_wait_alu 0xfffe
	s_lshl_b64 s[26:27], s[26:27], 2
	s_cmp_eq_u32 s24, s37
	ds_load_b32 v36, v36
	s_wait_dscnt 0x0
	v_mul_f32_e32 v40, v37, v36
	s_wait_alu 0xfffe
	v_add_co_u32 v36, vcc_lo, v76, s26
	s_wait_alu 0xfffd
	v_add_co_ci_u32_e64 v37, null, s27, v77, vcc_lo
	v_movreld_b32_e32 v2, v40
	flat_store_b32 v[36:37], v40
	s_cbranch_scc1 .LBB39_37
.LBB39_48:                              ;   Parent Loop BB39_5 Depth=1
                                        ;     Parent Loop BB39_35 Depth=2
                                        ;       Parent Loop BB39_38 Depth=3
                                        ; =>      This Loop Header: Depth=4
                                        ;           Child Loop BB39_50 Depth 5
	s_mov_b64 s[26:27], 0
	s_wait_alu 0xfffe
	s_cmp_eq_u32 s24, 0
	s_cbranch_scc1 .LBB39_47
; %bb.49:                               ;   in Loop: Header=BB39_48 Depth=4
	s_mov_b32 s40, s14
.LBB39_50:                              ;   Parent Loop BB39_5 Depth=1
                                        ;     Parent Loop BB39_35 Depth=2
                                        ;       Parent Loop BB39_38 Depth=3
                                        ;         Parent Loop BB39_48 Depth=4
                                        ; =>        This Inner Loop Header: Depth=5
	s_wait_alu 0xfffe
	v_mov_b32_e32 v36, s40
	s_mov_b32 m0, s26
	s_add_nc_u64 s[26:27], s[26:27], 1
	v_movrels_b32_e32 v37, v2
	s_mov_b32 m0, s24
	ds_load_b32 v36, v36
	v_movrels_b32_e32 v40, v2
	s_addk_co_i32 s40, 0x80
	s_wait_alu 0xfffe
	s_cmp_eq_u32 s24, s26
	s_wait_dscnt 0x0
	v_fma_f32 v36, -v37, v36, v40
	s_delay_alu instid0(VALU_DEP_1)
	v_movreld_b32_e32 v2, v36
	s_cbranch_scc0 .LBB39_50
	s_branch .LBB39_46
.LBB39_51:                              ;   in Loop: Header=BB39_35 Depth=2
	s_cmp_lt_i32 s16, s30
	s_cselect_b32 s17, -1, 0
	s_add_co_i32 s14, s18, 1
	s_cmp_lt_u32 s18, 2
	s_cselect_b32 s18, -1, 0
	s_wait_alu 0xfffe
	s_and_b32 s17, s17, s18
	s_delay_alu instid0(SALU_CYCLE_1)
	s_and_not1_b32 vcc_lo, exec_lo, s17
	s_wait_alu 0xfffe
	s_cbranch_vccnz .LBB39_2
; %bb.52:                               ;   in Loop: Header=BB39_35 Depth=2
	s_mov_b32 s18, s14
	s_branch .LBB39_35
.LBB39_53:
	s_endpgm
	.section	.rodata,"a",@progbits
	.p2align	6, 0x0
	.amdhsa_kernel _ZL30rocblas_trsm_small_left_deviceILi32ELi32ELb1EffPKPKfPKPfEv13rocblas_fill_18rocblas_operation_17rocblas_diagonal_iiT3_T4_lilT5_lili
		.amdhsa_group_segment_fixed_size 4096
		.amdhsa_private_segment_fixed_size 0
		.amdhsa_kernarg_size 352
		.amdhsa_user_sgpr_count 2
		.amdhsa_user_sgpr_dispatch_ptr 0
		.amdhsa_user_sgpr_queue_ptr 0
		.amdhsa_user_sgpr_kernarg_segment_ptr 1
		.amdhsa_user_sgpr_dispatch_id 0
		.amdhsa_user_sgpr_private_segment_size 0
		.amdhsa_wavefront_size32 1
		.amdhsa_uses_dynamic_stack 0
		.amdhsa_enable_private_segment 0
		.amdhsa_system_sgpr_workgroup_id_x 1
		.amdhsa_system_sgpr_workgroup_id_y 0
		.amdhsa_system_sgpr_workgroup_id_z 1
		.amdhsa_system_sgpr_workgroup_info 0
		.amdhsa_system_vgpr_workitem_id 0
		.amdhsa_next_free_vgpr 169
		.amdhsa_next_free_sgpr 43
		.amdhsa_reserve_vcc 1
		.amdhsa_float_round_mode_32 0
		.amdhsa_float_round_mode_16_64 0
		.amdhsa_float_denorm_mode_32 3
		.amdhsa_float_denorm_mode_16_64 3
		.amdhsa_fp16_overflow 0
		.amdhsa_workgroup_processor_mode 1
		.amdhsa_memory_ordered 1
		.amdhsa_forward_progress 1
		.amdhsa_inst_pref_size 23
		.amdhsa_round_robin_scheduling 0
		.amdhsa_exception_fp_ieee_invalid_op 0
		.amdhsa_exception_fp_denorm_src 0
		.amdhsa_exception_fp_ieee_div_zero 0
		.amdhsa_exception_fp_ieee_overflow 0
		.amdhsa_exception_fp_ieee_underflow 0
		.amdhsa_exception_fp_ieee_inexact 0
		.amdhsa_exception_int_div_zero 0
	.end_amdhsa_kernel
	.section	.text._ZL30rocblas_trsm_small_left_deviceILi32ELi32ELb1EffPKPKfPKPfEv13rocblas_fill_18rocblas_operation_17rocblas_diagonal_iiT3_T4_lilT5_lili,"axG",@progbits,_ZL30rocblas_trsm_small_left_deviceILi32ELi32ELb1EffPKPKfPKPfEv13rocblas_fill_18rocblas_operation_17rocblas_diagonal_iiT3_T4_lilT5_lili,comdat
.Lfunc_end39:
	.size	_ZL30rocblas_trsm_small_left_deviceILi32ELi32ELb1EffPKPKfPKPfEv13rocblas_fill_18rocblas_operation_17rocblas_diagonal_iiT3_T4_lilT5_lili, .Lfunc_end39-_ZL30rocblas_trsm_small_left_deviceILi32ELi32ELb1EffPKPKfPKPfEv13rocblas_fill_18rocblas_operation_17rocblas_diagonal_iiT3_T4_lilT5_lili
                                        ; -- End function
	.set _ZL30rocblas_trsm_small_left_deviceILi32ELi32ELb1EffPKPKfPKPfEv13rocblas_fill_18rocblas_operation_17rocblas_diagonal_iiT3_T4_lilT5_lili.num_vgpr, 81
	.set _ZL30rocblas_trsm_small_left_deviceILi32ELi32ELb1EffPKPKfPKPfEv13rocblas_fill_18rocblas_operation_17rocblas_diagonal_iiT3_T4_lilT5_lili.num_agpr, 0
	.set _ZL30rocblas_trsm_small_left_deviceILi32ELi32ELb1EffPKPKfPKPfEv13rocblas_fill_18rocblas_operation_17rocblas_diagonal_iiT3_T4_lilT5_lili.numbered_sgpr, 43
	.set _ZL30rocblas_trsm_small_left_deviceILi32ELi32ELb1EffPKPKfPKPfEv13rocblas_fill_18rocblas_operation_17rocblas_diagonal_iiT3_T4_lilT5_lili.num_named_barrier, 0
	.set _ZL30rocblas_trsm_small_left_deviceILi32ELi32ELb1EffPKPKfPKPfEv13rocblas_fill_18rocblas_operation_17rocblas_diagonal_iiT3_T4_lilT5_lili.private_seg_size, 0
	.set _ZL30rocblas_trsm_small_left_deviceILi32ELi32ELb1EffPKPKfPKPfEv13rocblas_fill_18rocblas_operation_17rocblas_diagonal_iiT3_T4_lilT5_lili.uses_vcc, 1
	.set _ZL30rocblas_trsm_small_left_deviceILi32ELi32ELb1EffPKPKfPKPfEv13rocblas_fill_18rocblas_operation_17rocblas_diagonal_iiT3_T4_lilT5_lili.uses_flat_scratch, 0
	.set _ZL30rocblas_trsm_small_left_deviceILi32ELi32ELb1EffPKPKfPKPfEv13rocblas_fill_18rocblas_operation_17rocblas_diagonal_iiT3_T4_lilT5_lili.has_dyn_sized_stack, 0
	.set _ZL30rocblas_trsm_small_left_deviceILi32ELi32ELb1EffPKPKfPKPfEv13rocblas_fill_18rocblas_operation_17rocblas_diagonal_iiT3_T4_lilT5_lili.has_recursion, 0
	.set _ZL30rocblas_trsm_small_left_deviceILi32ELi32ELb1EffPKPKfPKPfEv13rocblas_fill_18rocblas_operation_17rocblas_diagonal_iiT3_T4_lilT5_lili.has_indirect_call, 0
	.section	.AMDGPU.csdata,"",@progbits
; Kernel info:
; codeLenInByte = 2840
; TotalNumSgprs: 45
; NumVgprs: 81
; ScratchSize: 0
; MemoryBound: 0
; FloatMode: 240
; IeeeMode: 1
; LDSByteSize: 4096 bytes/workgroup (compile time only)
; SGPRBlocks: 0
; VGPRBlocks: 21
; NumSGPRsForWavesPerEU: 45
; NumVGPRsForWavesPerEU: 169
; Occupancy: 8
; WaveLimiterHint : 1
; COMPUTE_PGM_RSRC2:SCRATCH_EN: 0
; COMPUTE_PGM_RSRC2:USER_SGPR: 2
; COMPUTE_PGM_RSRC2:TRAP_HANDLER: 0
; COMPUTE_PGM_RSRC2:TGID_X_EN: 1
; COMPUTE_PGM_RSRC2:TGID_Y_EN: 0
; COMPUTE_PGM_RSRC2:TGID_Z_EN: 1
; COMPUTE_PGM_RSRC2:TIDIG_COMP_CNT: 0
	.section	.text._ZL31rocblas_trsm_small_right_deviceIffPKPKfPKPfLi32EEv13rocblas_fill_18rocblas_operation_17rocblas_diagonal_iiT0_T1_lilT2_lili,"axG",@progbits,_ZL31rocblas_trsm_small_right_deviceIffPKPKfPKPfLi32EEv13rocblas_fill_18rocblas_operation_17rocblas_diagonal_iiT0_T1_lilT2_lili,comdat
	.globl	_ZL31rocblas_trsm_small_right_deviceIffPKPKfPKPfLi32EEv13rocblas_fill_18rocblas_operation_17rocblas_diagonal_iiT0_T1_lilT2_lili ; -- Begin function _ZL31rocblas_trsm_small_right_deviceIffPKPKfPKPfLi32EEv13rocblas_fill_18rocblas_operation_17rocblas_diagonal_iiT0_T1_lilT2_lili
	.p2align	8
	.type	_ZL31rocblas_trsm_small_right_deviceIffPKPKfPKPfLi32EEv13rocblas_fill_18rocblas_operation_17rocblas_diagonal_iiT0_T1_lilT2_lili,@function
_ZL31rocblas_trsm_small_right_deviceIffPKPKfPKPfLi32EEv13rocblas_fill_18rocblas_operation_17rocblas_diagonal_iiT0_T1_lilT2_lili: ; @_ZL31rocblas_trsm_small_right_deviceIffPKPKfPKPfLi32EEv13rocblas_fill_18rocblas_operation_17rocblas_diagonal_iiT0_T1_lilT2_lili
; %bb.0:
	s_load_b32 s22, s[0:1], 0x58
	s_lshr_b32 s2, ttmp7, 16
	s_wait_kmcnt 0x0
	s_cmp_ge_u32 s2, s22
	s_cbranch_scc1 .LBB40_82
; %bb.1:
	s_clause 0x6
	s_load_b32 s20, s[0:1], 0x28
	s_load_b32 s30, s[0:1], 0x48
	s_load_b128 s[12:15], s[0:1], 0x0
	s_load_b64 s[16:17], s[0:1], 0x10
	s_load_b32 s3, s[0:1], 0x60
	s_load_b128 s[4:7], s[0:1], 0x18
	s_load_b128 s[8:11], s[0:1], 0x38
	s_mov_b32 s18, ttmp9
	v_dual_mov_b32 v5, 0 :: v_dual_lshlrev_b32 v4, 2, v0
	v_dual_mov_b32 v10, 1.0 :: v_dual_lshlrev_b32 v1, 7, v0
	v_lshlrev_b32_e32 v11, 2, v0
	s_delay_alu instid0(VALU_DEP_3) | instskip(NEXT) | instid1(VALU_DEP_3)
	v_or_b32_e32 v6, 0x1000, v4
	v_add_nc_u32_e32 v9, v4, v1
	s_wait_kmcnt 0x0
	s_ashr_i32 s21, s20, 31
	s_ashr_i32 s31, s30, 31
	s_cmp_lg_u32 s12, 0x7a
	s_cselect_b32 s25, -1, 0
	s_min_i32 s1, s16, 32
	s_lshl_b32 s0, ttmp9, 5
	s_add_co_i32 s3, s3, -1
	s_add_co_i32 s23, s1, -1
	s_sub_co_i32 s0, s15, s0
	s_cmp_ge_u32 ttmp9, s3
	s_mul_i32 s33, s1, 0x84
	s_cselect_b32 s15, s0, 32
	s_ashr_i32 s19, ttmp9, 31
	v_cmp_gt_i32_e32 vcc_lo, s15, v0
	s_lshl_b64 s[18:19], s[18:19], 7
	s_cmp_eq_u32 s14, 0x84
	v_cmp_gt_i32_e64 s0, s1, v0
	s_cselect_b32 s24, -1, 0
	s_cmp_gt_i32 s16, 0
	s_mov_b32 s3, 0
	s_cselect_b32 s14, -1, 0
	s_cmp_lg_u32 s13, 0x6f
	s_cselect_b32 s13, -1, 0
	s_cmp_lg_u32 s12, 0x79
	s_cselect_b32 s12, -1, 0
	s_or_b32 s25, s25, s13
	s_or_b32 s26, s12, s13
	s_cmp_gt_i32 s16, 3
	v_cndmask_b32_e64 v7, 0, 1, s12
	s_cselect_b32 s27, -1, 0
	s_lshl_b64 s[12:13], s[20:21], 2
	s_lshl_b32 s20, s1, 7
	s_lshl_b32 s35, s1, 2
	v_or_b32_e32 v2, s20, v4
	s_wait_alu 0xfffe
	s_and_b32 s28, vcc_lo, s14
	s_lshl_b64 s[14:15], s[30:31], 2
	s_add_co_i32 s29, s33, 0xffffff70
	s_add_co_i32 s30, s20, 0xffffff80
	v_add_nc_u32_e32 v8, 0xf80, v2
	s_add_co_i32 s31, s20, 0xffffff7c
	s_addk_co_i32 s33, 0xfdfc
	s_add_co_i32 s34, s35, -4
	s_addk_co_i32 s35, 0xff7c
	s_lshl_b64 s[6:7], s[6:7], 2
	s_lshl_b64 s[10:11], s[10:11], 2
	s_branch .LBB40_3
.LBB40_2:                               ;   in Loop: Header=BB40_3 Depth=1
	s_wait_alu 0xfffe
	s_or_b32 exec_lo, exec_lo, s20
	s_add_co_i32 s2, s2, 0x10000
	s_delay_alu instid0(SALU_CYCLE_1)
	s_cmp_lt_u32 s2, s22
	s_cbranch_scc0 .LBB40_82
.LBB40_3:                               ; =>This Loop Header: Depth=1
                                        ;     Child Loop BB40_5 Depth 2
                                        ;     Child Loop BB40_10 Depth 2
	;; [unrolled: 1-line block ×3, first 2 shown]
                                        ;       Child Loop BB40_17 Depth 3
                                        ;     Child Loop BB40_23 Depth 2
                                        ;       Child Loop BB40_24 Depth 3
                                        ;     Child Loop BB40_28 Depth 2
	;; [unrolled: 2-line block ×3, first 2 shown]
                                        ;     Child Loop BB40_41 Depth 2
                                        ;       Child Loop BB40_42 Depth 3
                                        ;       Child Loop BB40_44 Depth 3
                                        ;     Child Loop BB40_48 Depth 2
                                        ;       Child Loop BB40_49 Depth 3
                                        ;     Child Loop BB40_57 Depth 2
                                        ;     Child Loop BB40_62 Depth 2
                                        ;       Child Loop BB40_63 Depth 3
                                        ;       Child Loop BB40_65 Depth 3
                                        ;     Child Loop BB40_70 Depth 2
                                        ;       Child Loop BB40_71 Depth 3
                                        ;     Child Loop BB40_77 Depth 2
	;; [unrolled: 2-line block ×3, first 2 shown]
	s_lshl_b64 s[20:21], s[2:3], 3
	s_wait_alu 0xfffe
	s_add_nc_u64 s[36:37], s[8:9], s[20:21]
	global_load_b64 v[0:1], v5, s[36:37]
	s_and_saveexec_b32 s36, s0
	s_cbranch_execz .LBB40_8
; %bb.4:                                ;   in Loop: Header=BB40_3 Depth=1
	s_add_nc_u64 s[20:21], s[4:5], s[20:21]
	v_mov_b32_e32 v12, v4
	global_load_b64 v[2:3], v5, s[20:21]
	s_mov_b32 s20, s1
	s_wait_loadcnt 0x0
	v_add_co_u32 v2, vcc_lo, v2, s6
	s_wait_alu 0xfffd
	v_add_co_ci_u32_e64 v3, null, s7, v3, vcc_lo
	s_delay_alu instid0(VALU_DEP_2) | instskip(SKIP_1) | instid1(VALU_DEP_2)
	v_add_co_u32 v2, vcc_lo, v2, v11
	s_wait_alu 0xfffd
	v_add_co_ci_u32_e64 v3, null, 0, v3, vcc_lo
.LBB40_5:                               ;   Parent Loop BB40_3 Depth=1
                                        ; =>  This Inner Loop Header: Depth=2
	flat_load_b32 v13, v[2:3]
	v_add_co_u32 v2, vcc_lo, v2, s12
	s_wait_alu 0xfffd
	v_add_co_ci_u32_e64 v3, null, s13, v3, vcc_lo
	s_wait_alu 0xfffe
	s_add_co_i32 s20, s20, -1
	s_wait_alu 0xfffe
	s_cmp_eq_u32 s20, 0
	s_wait_loadcnt_dscnt 0x0
	ds_store_b32 v12, v13
	v_add_nc_u32_e32 v12, 0x80, v12
	s_cbranch_scc0 .LBB40_5
; %bb.6:                                ;   in Loop: Header=BB40_3 Depth=1
	s_and_b32 vcc_lo, exec_lo, s24
	s_wait_alu 0xfffe
	s_cbranch_vccz .LBB40_8
; %bb.7:                                ;   in Loop: Header=BB40_3 Depth=1
	ds_store_b32 v9, v10
.LBB40_8:                               ;   in Loop: Header=BB40_3 Depth=1
	s_wait_alu 0xfffe
	s_or_b32 exec_lo, exec_lo, s36
	s_wait_loadcnt 0x0
	v_add_co_u32 v0, vcc_lo, v0, s10
	s_wait_alu 0xfffd
	v_add_co_ci_u32_e64 v1, null, s11, v1, vcc_lo
	s_delay_alu instid0(VALU_DEP_2) | instskip(SKIP_1) | instid1(VALU_DEP_2)
	v_add_co_u32 v2, vcc_lo, v0, s18
	s_wait_alu 0xfffd
	v_add_co_ci_u32_e64 v3, null, s19, v1, vcc_lo
	s_and_saveexec_b32 s20, s28
	s_cbranch_execz .LBB40_11
; %bb.9:                                ;   in Loop: Header=BB40_3 Depth=1
	v_add_co_u32 v0, vcc_lo, v2, v11
	s_wait_alu 0xfffd
	v_add_co_ci_u32_e64 v1, null, 0, v3, vcc_lo
	v_mov_b32_e32 v12, v6
	s_mov_b32 s21, s16
.LBB40_10:                              ;   Parent Loop BB40_3 Depth=1
                                        ; =>  This Inner Loop Header: Depth=2
	flat_load_b32 v13, v[0:1]
	v_add_co_u32 v0, vcc_lo, v0, s14
	s_wait_alu 0xfffd
	v_add_co_ci_u32_e64 v1, null, s15, v1, vcc_lo
	s_wait_alu 0xfffe
	s_add_co_i32 s21, s21, -1
	s_wait_alu 0xfffe
	s_cmp_lg_u32 s21, 0
	s_wait_loadcnt_dscnt 0x0
	v_mul_f32_e32 v13, s17, v13
	ds_store_b32 v12, v13
	v_add_nc_u32_e32 v12, 0x80, v12
	s_cbranch_scc1 .LBB40_10
.LBB40_11:                              ;   in Loop: Header=BB40_3 Depth=1
	s_wait_alu 0xfffe
	s_or_b32 exec_lo, exec_lo, s20
	s_delay_alu instid0(SALU_CYCLE_1)
	s_and_b32 vcc_lo, exec_lo, s26
	s_mov_b32 s20, -1
	s_wait_dscnt 0x0
	; wave barrier
	global_inv scope:SCOPE_SE
	s_wait_alu 0xfffe
	s_cbranch_vccz .LBB40_67
; %bb.12:                               ;   in Loop: Header=BB40_3 Depth=1
	s_and_b32 vcc_lo, exec_lo, s25
	s_wait_alu 0xfffe
	s_cbranch_vccz .LBB40_46
; %bb.13:                               ;   in Loop: Header=BB40_3 Depth=1
	v_cmp_ne_u32_e32 vcc_lo, 1, v7
	s_cbranch_vccnz .LBB40_26
; %bb.14:                               ;   in Loop: Header=BB40_3 Depth=1
	s_and_not1_b32 vcc_lo, exec_lo, s27
	s_mov_b32 s36, 0
	s_wait_alu 0xfffe
	s_cbranch_vccnz .LBB40_20
; %bb.15:                               ;   in Loop: Header=BB40_3 Depth=1
	s_mov_b32 s20, 0
	s_mov_b32 s21, 0
.LBB40_16:                              ;   Parent Loop BB40_3 Depth=1
                                        ; =>  This Loop Header: Depth=2
                                        ;       Child Loop BB40_17 Depth 3
	s_wait_alu 0xfffe
	s_lshl_b32 s37, s21, 7
	s_or_b32 s36, s21, 1
	s_wait_alu 0xfffe
	v_add_nc_u32_e32 v12, s37, v6
	s_or_b32 s38, s37, 0x180
	v_lshl_add_u32 v14, s36, 7, v6
	s_wait_alu 0xfffe
	v_dual_mov_b32 v16, v6 :: v_dual_add_nc_u32 v13, s38, v6
	ds_load_2addr_stride64_b32 v[0:1], v12 offset1:1
	ds_load_b32 v17, v14
	ds_load_b32 v15, v13
	s_cmp_eq_u32 s21, 0
	s_mov_b32 s38, s20
	s_mov_b32 s39, s21
	s_cbranch_scc1 .LBB40_18
.LBB40_17:                              ;   Parent Loop BB40_3 Depth=1
                                        ;     Parent Loop BB40_16 Depth=2
                                        ; =>    This Inner Loop Header: Depth=3
	s_wait_alu 0xfffe
	v_mov_b32_e32 v18, s38
	s_add_co_i32 s39, s39, -1
	s_addk_co_i32 s38, 0x80
	s_wait_alu 0xfffe
	s_cmp_eq_u32 s39, 0
	ds_load_b32 v22, v16
	ds_load_b128 v[18:21], v18
	v_add_nc_u32_e32 v16, 0x80, v16
	s_wait_dscnt 0x0
	v_fma_f32 v0, -v22, v18, v0
	v_fma_f32 v17, -v22, v19, v17
	;; [unrolled: 1-line block ×4, first 2 shown]
	s_cbranch_scc0 .LBB40_17
.LBB40_18:                              ;   in Loop: Header=BB40_16 Depth=2
	s_lshl_b32 s38, s21, 2
	s_lshl_b32 s36, s36, 2
	s_wait_alu 0xfffe
	s_add_co_i32 s37, s38, s37
	s_add_co_i32 s20, s20, 16
	s_wait_alu 0xfffe
	v_mov_b32_e32 v24, s37
	s_addk_co_i32 s37, 0x84
	ds_load_b128 v[18:21], v24
	ds_load_2addr_b32 v[22:23], v24 offset0:33 offset1:34
	s_wait_alu 0xfffe
	s_sub_co_i32 s36, s37, s36
	s_wait_alu 0xfffe
	s_add_co_i32 s36, s36, s38
	s_wait_dscnt 0x1
	v_div_scale_f32 v25, null, v18, v18, v0
	v_div_scale_f32 v28, vcc_lo, v0, v18, v0
	s_delay_alu instid0(VALU_DEP_2) | instskip(NEXT) | instid1(TRANS32_DEP_1)
	v_rcp_f32_e32 v26, v25
	v_fma_f32 v27, -v25, v26, 1.0
	s_delay_alu instid0(VALU_DEP_1) | instskip(NEXT) | instid1(VALU_DEP_1)
	v_fmac_f32_e32 v26, v27, v26
	v_dual_mul_f32 v27, v28, v26 :: v_dual_add_nc_u32 v16, 0x100, v12
	s_delay_alu instid0(VALU_DEP_1) | instskip(NEXT) | instid1(VALU_DEP_1)
	v_fma_f32 v29, -v25, v27, v28
	v_fmac_f32_e32 v27, v29, v26
	s_delay_alu instid0(VALU_DEP_1) | instskip(SKIP_1) | instid1(VALU_DEP_1)
	v_fma_f32 v25, -v25, v27, v28
	s_wait_alu 0xfffd
	v_div_fmas_f32 v25, v25, v26, v27
	s_delay_alu instid0(VALU_DEP_1) | instskip(NEXT) | instid1(VALU_DEP_1)
	v_div_fixup_f32 v0, v25, v18, v0
	v_fma_f32 v19, -v0, v19, v17
	v_fma_f32 v1, -v0, v20, v1
	;; [unrolled: 1-line block ×3, first 2 shown]
	ds_load_b32 v20, v24 offset:396
	s_wait_dscnt 0x1
	v_div_scale_f32 v25, null, v22, v22, v19
	v_div_scale_f32 v27, vcc_lo, v19, v22, v19
	s_delay_alu instid0(VALU_DEP_2) | instskip(NEXT) | instid1(TRANS32_DEP_1)
	v_rcp_f32_e32 v26, v25
	v_fma_f32 v17, -v25, v26, 1.0
	s_delay_alu instid0(VALU_DEP_1) | instskip(NEXT) | instid1(VALU_DEP_1)
	v_fmac_f32_e32 v26, v17, v26
	v_mul_f32_e32 v28, v27, v26
	s_delay_alu instid0(VALU_DEP_1) | instskip(NEXT) | instid1(VALU_DEP_1)
	v_fma_f32 v17, -v25, v28, v27
	v_fmac_f32_e32 v28, v17, v26
	ds_load_b64 v[17:18], v24 offset:264
	v_fma_f32 v25, -v25, v28, v27
	s_wait_alu 0xfffd
	s_delay_alu instid0(VALU_DEP_1) | instskip(NEXT) | instid1(VALU_DEP_1)
	v_div_fmas_f32 v25, v25, v26, v28
	v_div_fixup_f32 v19, v25, v22, v19
	s_delay_alu instid0(VALU_DEP_1) | instskip(SKIP_1) | instid1(VALU_DEP_1)
	v_fma_f32 v1, -v19, v23, v1
	s_wait_dscnt 0x0
	v_div_scale_f32 v22, null, v17, v17, v1
	v_div_scale_f32 v25, vcc_lo, v1, v17, v1
	s_delay_alu instid0(VALU_DEP_2) | instskip(NEXT) | instid1(TRANS32_DEP_1)
	v_rcp_f32_e32 v23, v22
	v_fma_f32 v24, -v22, v23, 1.0
	s_wait_alu 0xfffe
	s_delay_alu instid0(VALU_DEP_1)
	v_dual_fmac_f32 v23, v24, v23 :: v_dual_mov_b32 v24, s36
	s_add_co_i32 s36, s21, 4
	s_add_co_i32 s21, s21, 7
	s_wait_alu 0xfffe
	s_cmp_ge_i32 s21, s1
	v_mul_f32_e32 v26, v25, v23
	ds_load_b32 v24, v24 offset:12
	v_fma_f32 v27, -v22, v26, v25
	s_delay_alu instid0(VALU_DEP_1) | instskip(NEXT) | instid1(VALU_DEP_1)
	v_fmac_f32_e32 v26, v27, v23
	v_fma_f32 v22, -v22, v26, v25
	s_wait_alu 0xfffd
	s_delay_alu instid0(VALU_DEP_1) | instskip(SKIP_2) | instid1(VALU_DEP_2)
	v_div_fmas_f32 v21, v22, v23, v26
	s_wait_dscnt 0x0
	v_fma_f32 v15, -v19, v24, v15
	v_div_fixup_f32 v1, v21, v17, v1
	s_delay_alu instid0(VALU_DEP_1) | instskip(NEXT) | instid1(VALU_DEP_1)
	v_fma_f32 v15, -v1, v18, v15
	v_div_scale_f32 v17, null, v20, v20, v15
	v_div_scale_f32 v22, vcc_lo, v15, v20, v15
	s_delay_alu instid0(VALU_DEP_2) | instskip(NEXT) | instid1(TRANS32_DEP_1)
	v_rcp_f32_e32 v18, v17
	v_fma_f32 v21, -v17, v18, 1.0
	s_delay_alu instid0(VALU_DEP_1) | instskip(NEXT) | instid1(VALU_DEP_1)
	v_fmac_f32_e32 v18, v21, v18
	v_mul_f32_e32 v21, v22, v18
	s_delay_alu instid0(VALU_DEP_1) | instskip(NEXT) | instid1(VALU_DEP_1)
	v_fma_f32 v23, -v17, v21, v22
	v_fmac_f32_e32 v21, v23, v18
	s_delay_alu instid0(VALU_DEP_1) | instskip(SKIP_1) | instid1(VALU_DEP_1)
	v_fma_f32 v17, -v17, v21, v22
	s_wait_alu 0xfffd
	v_div_fmas_f32 v17, v17, v18, v21
	s_delay_alu instid0(VALU_DEP_1)
	v_div_fixup_f32 v15, v17, v20, v15
	ds_store_b32 v12, v0
	ds_store_b32 v14, v19
	;; [unrolled: 1-line block ×4, first 2 shown]
	s_cbranch_scc1 .LBB40_20
; %bb.19:                               ;   in Loop: Header=BB40_16 Depth=2
	s_mov_b32 s21, s36
	s_branch .LBB40_16
.LBB40_20:                              ;   in Loop: Header=BB40_3 Depth=1
	s_cmp_ge_i32 s36, s1
	s_cbranch_scc1 .LBB40_25
; %bb.21:                               ;   in Loop: Header=BB40_3 Depth=1
	s_lshl_b32 s20, s36, 2
	s_branch .LBB40_23
.LBB40_22:                              ;   in Loop: Header=BB40_23 Depth=2
	s_lshl_b32 s37, s36, 2
	s_add_co_i32 s36, s36, 1
	s_wait_alu 0xfffe
	s_add_co_i32 s21, s37, s21
	s_add_co_i32 s20, s20, 4
	s_wait_alu 0xfffe
	v_mov_b32_e32 v12, s21
	s_cmp_ge_i32 s36, s1
	ds_load_b32 v12, v12
	s_wait_dscnt 0x0
	v_div_scale_f32 v13, null, v12, v12, v1
	s_delay_alu instid0(VALU_DEP_1) | instskip(NEXT) | instid1(TRANS32_DEP_1)
	v_rcp_f32_e32 v14, v13
	v_fma_f32 v15, -v13, v14, 1.0
	s_delay_alu instid0(VALU_DEP_1) | instskip(SKIP_1) | instid1(VALU_DEP_1)
	v_fmac_f32_e32 v14, v15, v14
	v_div_scale_f32 v15, vcc_lo, v1, v12, v1
	v_mul_f32_e32 v16, v15, v14
	s_delay_alu instid0(VALU_DEP_1) | instskip(NEXT) | instid1(VALU_DEP_1)
	v_fma_f32 v17, -v13, v16, v15
	v_fmac_f32_e32 v16, v17, v14
	s_delay_alu instid0(VALU_DEP_1) | instskip(SKIP_1) | instid1(VALU_DEP_1)
	v_fma_f32 v13, -v13, v16, v15
	s_wait_alu 0xfffd
	v_div_fmas_f32 v13, v13, v14, v16
	s_delay_alu instid0(VALU_DEP_1)
	v_div_fixup_f32 v1, v13, v12, v1
	ds_store_b32 v0, v1
	s_cbranch_scc1 .LBB40_25
.LBB40_23:                              ;   Parent Loop BB40_3 Depth=1
                                        ; =>  This Loop Header: Depth=2
                                        ;       Child Loop BB40_24 Depth 3
	s_lshl_b32 s21, s36, 7
	v_mov_b32_e32 v12, v6
	s_wait_alu 0xfffe
	v_add_nc_u32_e32 v0, s21, v6
	s_cmp_eq_u32 s36, 0
	s_mov_b32 s37, s20
	s_mov_b32 s38, s36
	ds_load_b32 v1, v0
	s_cbranch_scc1 .LBB40_22
.LBB40_24:                              ;   Parent Loop BB40_3 Depth=1
                                        ;     Parent Loop BB40_23 Depth=2
                                        ; =>    This Inner Loop Header: Depth=3
	s_wait_alu 0xfffe
	v_mov_b32_e32 v13, s37
	s_add_co_i32 s38, s38, -1
	s_addk_co_i32 s37, 0x80
	s_wait_alu 0xfffe
	s_cmp_eq_u32 s38, 0
	ds_load_b32 v14, v12
	ds_load_b32 v13, v13
	v_add_nc_u32_e32 v12, 0x80, v12
	s_wait_dscnt 0x0
	v_fma_f32 v1, -v14, v13, v1
	s_cbranch_scc0 .LBB40_24
	s_branch .LBB40_22
.LBB40_25:                              ;   in Loop: Header=BB40_3 Depth=1
	s_mov_b32 s20, 0
.LBB40_26:                              ;   in Loop: Header=BB40_3 Depth=1
	s_wait_alu 0xfffe
	s_and_b32 vcc_lo, exec_lo, s20
	s_wait_alu 0xfffe
	s_cbranch_vccz .LBB40_45
; %bb.27:                               ;   in Loop: Header=BB40_3 Depth=1
	s_mov_b32 s36, s23
	s_and_not1_b32 vcc_lo, exec_lo, s27
	s_mov_b32 s20, s29
	s_mov_b32 s21, s23
	s_wait_alu 0xfffe
	s_cbranch_vccnz .LBB40_32
.LBB40_28:                              ;   Parent Loop BB40_3 Depth=1
                                        ; =>  This Loop Header: Depth=2
                                        ;       Child Loop BB40_29 Depth 3
	s_wait_alu 0xfffe
	s_add_co_i32 s38, s21, -1
	s_add_co_i32 s39, s21, -3
	v_lshl_add_u32 v0, s21, 7, v6
	s_add_co_i32 s37, s21, -2
	s_wait_alu 0xfffe
	v_lshl_add_u32 v1, s38, 7, v6
	s_lshl_b32 s36, s39, 7
	v_lshl_add_u32 v12, s37, 7, v6
	s_wait_alu 0xfffe
	v_dual_mov_b32 v18, v8 :: v_dual_add_nc_u32 v13, s36, v6
	ds_load_b32 v17, v0
	ds_load_b32 v16, v1
	;; [unrolled: 1-line block ×4, first 2 shown]
	s_cmp_le_i32 s23, s21
	s_mov_b32 s40, s20
	s_mov_b32 s41, s23
	s_cbranch_scc1 .LBB40_30
.LBB40_29:                              ;   Parent Loop BB40_3 Depth=1
                                        ;     Parent Loop BB40_28 Depth=2
                                        ; =>    This Inner Loop Header: Depth=3
	s_wait_alu 0xfffe
	v_mov_b32_e32 v21, s40
	s_add_co_i32 s41, s41, -1
	s_addk_co_i32 s40, 0xff80
	s_wait_alu 0xfffe
	s_cmp_le_i32 s41, s21
	ds_load_b32 v23, v18
	ds_load_2addr_b32 v[19:20], v21 offset0:2 offset1:3
	ds_load_2addr_b32 v[21:22], v21 offset1:1
	v_add_nc_u32_e32 v18, 0xffffff80, v18
	s_wait_dscnt 0x1
	v_fma_f32 v17, -v23, v20, v17
	v_fma_f32 v16, -v23, v19, v16
	s_wait_dscnt 0x0
	v_fma_f32 v15, -v23, v22, v15
	v_fma_f32 v14, -v23, v21, v14
	s_cbranch_scc0 .LBB40_29
.LBB40_30:                              ;   in Loop: Header=BB40_28 Depth=2
	s_lshl_b32 s40, s21, 2
	s_lshl_b32 s41, s21, 7
	s_lshl_b32 s39, s39, 2
	s_wait_alu 0xfffe
	s_add_co_i32 s41, s40, s41
	s_add_co_i32 s36, s40, s36
	s_wait_alu 0xfffe
	s_add_co_i32 s42, s41, -4
	s_add_co_i32 s41, s41, -12
	s_wait_alu 0xfffe
	v_dual_mov_b32 v18, s42 :: v_dual_mov_b32 v21, s41
	s_lshl_b32 s42, s38, 7
	s_lshl_b32 s38, s38, 2
	s_wait_alu 0xfffe
	s_add_co_i32 s42, s40, s42
	ds_load_2addr_b32 v[18:19], v18 offset1:1
	s_wait_alu 0xfffe
	s_add_co_i32 s42, s42, -4
	s_add_co_i32 s36, s36, -12
	s_wait_alu 0xfffe
	s_sub_co_i32 s38, s42, s38
	s_add_co_i32 s20, s20, -16
	s_wait_alu 0xfffe
	s_add_co_i32 s38, s38, s39
	s_wait_dscnt 0x0
	v_div_scale_f32 v25, null, v19, v19, v17
	v_div_scale_f32 v28, vcc_lo, v17, v19, v17
	s_delay_alu instid0(VALU_DEP_2) | instskip(NEXT) | instid1(TRANS32_DEP_1)
	v_rcp_f32_e32 v26, v25
	v_fma_f32 v27, -v25, v26, 1.0
	s_delay_alu instid0(VALU_DEP_1) | instskip(NEXT) | instid1(VALU_DEP_1)
	v_fmac_f32_e32 v26, v27, v26
	v_dual_mov_b32 v20, s42 :: v_dual_mul_f32 v27, v28, v26
	s_delay_alu instid0(VALU_DEP_1)
	v_fma_f32 v29, -v25, v27, v28
	s_wait_alu 0xfffe
	v_mov_b32_e32 v22, s38
	s_lshl_b32 s38, s37, 7
	s_lshl_b32 s37, s37, 2
	s_wait_alu 0xfffe
	s_add_co_i32 s38, s40, s38
	v_fmac_f32_e32 v27, v29, v26
	ds_load_b32 v24, v20
	ds_load_2addr_b32 v[20:21], v21 offset1:1
	ds_load_2addr_b32 v[22:23], v22 offset1:1
	s_wait_alu 0xfffe
	s_sub_co_i32 s37, s38, s37
	s_wait_alu 0xfffe
	s_add_co_i32 s37, s37, s39
	v_fma_f32 v25, -v25, v27, v28
	s_wait_alu 0xfffe
	s_add_co_i32 s37, s37, -8
	s_wait_alu 0xfffd
	s_delay_alu instid0(VALU_DEP_1) | instskip(NEXT) | instid1(VALU_DEP_1)
	v_div_fmas_f32 v25, v25, v26, v27
	v_div_fixup_f32 v19, v25, v19, v17
	s_wait_alu 0xfffe
	v_mov_b32_e32 v17, s37
	s_delay_alu instid0(VALU_DEP_2)
	v_fma_f32 v18, -v19, v18, v16
	s_wait_dscnt 0x1
	v_fma_f32 v15, -v19, v21, v15
	v_fma_f32 v14, -v19, v20, v14
	v_mov_b32_e32 v21, s36
	s_add_co_i32 s36, s21, -4
	v_div_scale_f32 v25, null, v24, v24, v18
	v_div_scale_f32 v27, vcc_lo, v18, v24, v18
	s_cmp_lt_i32 s21, 7
	v_rcp_f32_e32 v26, v25
	ds_load_b32 v21, v21
	v_fma_f32 v16, -v25, v26, 1.0
	s_delay_alu instid0(VALU_DEP_1) | instskip(NEXT) | instid1(VALU_DEP_1)
	v_fmac_f32_e32 v26, v16, v26
	v_mul_f32_e32 v28, v27, v26
	s_delay_alu instid0(VALU_DEP_1) | instskip(NEXT) | instid1(VALU_DEP_1)
	v_fma_f32 v16, -v25, v28, v27
	v_fmac_f32_e32 v28, v16, v26
	ds_load_2addr_b32 v[16:17], v17 offset1:1
	v_fma_f32 v25, -v25, v28, v27
	s_wait_alu 0xfffd
	s_delay_alu instid0(VALU_DEP_1) | instskip(NEXT) | instid1(VALU_DEP_1)
	v_div_fmas_f32 v25, v25, v26, v28
	v_div_fixup_f32 v18, v25, v24, v18
	s_wait_dscnt 0x2
	s_delay_alu instid0(VALU_DEP_1) | instskip(SKIP_2) | instid1(VALU_DEP_2)
	v_fma_f32 v15, -v18, v23, v15
	v_fma_f32 v14, -v18, v22, v14
	s_wait_dscnt 0x0
	v_div_scale_f32 v23, null, v17, v17, v15
	v_div_scale_f32 v26, vcc_lo, v15, v17, v15
	s_delay_alu instid0(VALU_DEP_2) | instskip(NEXT) | instid1(TRANS32_DEP_1)
	v_rcp_f32_e32 v24, v23
	v_fma_f32 v25, -v23, v24, 1.0
	s_delay_alu instid0(VALU_DEP_1) | instskip(NEXT) | instid1(VALU_DEP_1)
	v_fmac_f32_e32 v24, v25, v24
	v_mul_f32_e32 v25, v26, v24
	s_delay_alu instid0(VALU_DEP_1) | instskip(NEXT) | instid1(VALU_DEP_1)
	v_fma_f32 v27, -v23, v25, v26
	v_fmac_f32_e32 v25, v27, v24
	s_delay_alu instid0(VALU_DEP_1) | instskip(SKIP_1) | instid1(VALU_DEP_1)
	v_fma_f32 v23, -v23, v25, v26
	s_wait_alu 0xfffd
	v_div_fmas_f32 v20, v23, v24, v25
	s_delay_alu instid0(VALU_DEP_1) | instskip(NEXT) | instid1(VALU_DEP_1)
	v_div_fixup_f32 v15, v20, v17, v15
	v_fma_f32 v14, -v15, v16, v14
	s_delay_alu instid0(VALU_DEP_1) | instskip(SKIP_1) | instid1(VALU_DEP_2)
	v_div_scale_f32 v16, null, v21, v21, v14
	v_div_scale_f32 v22, vcc_lo, v14, v21, v14
	v_rcp_f32_e32 v17, v16
	s_delay_alu instid0(TRANS32_DEP_1) | instskip(NEXT) | instid1(VALU_DEP_1)
	v_fma_f32 v20, -v16, v17, 1.0
	v_fmac_f32_e32 v17, v20, v17
	s_delay_alu instid0(VALU_DEP_1) | instskip(NEXT) | instid1(VALU_DEP_1)
	v_mul_f32_e32 v20, v22, v17
	v_fma_f32 v23, -v16, v20, v22
	s_delay_alu instid0(VALU_DEP_1) | instskip(NEXT) | instid1(VALU_DEP_1)
	v_fmac_f32_e32 v20, v23, v17
	v_fma_f32 v16, -v16, v20, v22
	s_wait_alu 0xfffd
	s_delay_alu instid0(VALU_DEP_1) | instskip(NEXT) | instid1(VALU_DEP_1)
	v_div_fmas_f32 v16, v16, v17, v20
	v_div_fixup_f32 v14, v16, v21, v14
	ds_store_b32 v0, v19
	ds_store_b32 v1, v18
	;; [unrolled: 1-line block ×4, first 2 shown]
	s_cbranch_scc1 .LBB40_32
; %bb.31:                               ;   in Loop: Header=BB40_28 Depth=2
	s_wait_alu 0xfffe
	s_mov_b32 s21, s36
	s_branch .LBB40_28
.LBB40_32:                              ;   in Loop: Header=BB40_3 Depth=1
	s_wait_alu 0xfffe
	s_cmp_lt_i32 s36, 0
	s_cbranch_scc1 .LBB40_45
; %bb.33:                               ;   in Loop: Header=BB40_3 Depth=1
	s_bitcmp1_b32 s36, 0
	s_cselect_b32 s20, -1, 0
	s_wait_alu 0xfffe
	s_and_b32 vcc_lo, exec_lo, s20
	s_mov_b32 s20, s36
	s_wait_alu 0xfffe
	s_cbranch_vccnz .LBB40_38
; %bb.34:                               ;   in Loop: Header=BB40_3 Depth=1
	s_lshl_b32 s20, s36, 7
	s_cmp_le_i32 s23, s36
	s_wait_alu 0xfffe
	v_add_nc_u32_e32 v0, s20, v6
	ds_load_b32 v1, v0
	s_cbranch_scc1 .LBB40_37
; %bb.35:                               ;   in Loop: Header=BB40_3 Depth=1
	v_mov_b32_e32 v12, v8
	s_lshl_b32 s21, s36, 2
	s_mov_b32 s37, s23
	s_wait_alu 0xfffe
	s_add_co_i32 s21, s30, s21
.LBB40_36:                              ;   Parent Loop BB40_3 Depth=1
                                        ; =>  This Inner Loop Header: Depth=2
	s_wait_alu 0xfffe
	v_mov_b32_e32 v13, s21
	s_add_co_i32 s37, s37, -1
	s_addk_co_i32 s21, 0xff80
	s_wait_alu 0xfffe
	s_cmp_gt_i32 s37, s36
	ds_load_b32 v14, v12
	ds_load_b32 v13, v13
	v_add_nc_u32_e32 v12, 0xffffff80, v12
	s_wait_dscnt 0x0
	v_fma_f32 v1, -v14, v13, v1
	s_cbranch_scc1 .LBB40_36
.LBB40_37:                              ;   in Loop: Header=BB40_3 Depth=1
	s_lshl_b32 s21, s36, 2
	s_wait_alu 0xfffe
	s_add_co_i32 s20, s21, s20
	s_wait_alu 0xfffe
	v_mov_b32_e32 v12, s20
	s_add_co_i32 s20, s36, -1
	ds_load_b32 v12, v12
	s_wait_dscnt 0x0
	v_div_scale_f32 v13, null, v12, v12, v1
	s_delay_alu instid0(VALU_DEP_1) | instskip(NEXT) | instid1(TRANS32_DEP_1)
	v_rcp_f32_e32 v14, v13
	v_fma_f32 v15, -v13, v14, 1.0
	s_delay_alu instid0(VALU_DEP_1) | instskip(SKIP_1) | instid1(VALU_DEP_1)
	v_fmac_f32_e32 v14, v15, v14
	v_div_scale_f32 v15, vcc_lo, v1, v12, v1
	v_mul_f32_e32 v16, v15, v14
	s_delay_alu instid0(VALU_DEP_1) | instskip(NEXT) | instid1(VALU_DEP_1)
	v_fma_f32 v17, -v13, v16, v15
	v_fmac_f32_e32 v16, v17, v14
	s_delay_alu instid0(VALU_DEP_1) | instskip(SKIP_1) | instid1(VALU_DEP_1)
	v_fma_f32 v13, -v13, v16, v15
	s_wait_alu 0xfffd
	v_div_fmas_f32 v13, v13, v14, v16
	s_delay_alu instid0(VALU_DEP_1)
	v_div_fixup_f32 v1, v13, v12, v1
	ds_store_b32 v0, v1
.LBB40_38:                              ;   in Loop: Header=BB40_3 Depth=1
	s_cmp_eq_u32 s36, 0
	s_cbranch_scc1 .LBB40_45
; %bb.39:                               ;   in Loop: Header=BB40_3 Depth=1
	s_wait_alu 0xfffe
	s_lshl_b32 s36, s20, 2
	s_wait_alu 0xfffe
	s_add_co_i32 s21, s30, s36
	s_add_co_i32 s36, s31, s36
	s_branch .LBB40_41
.LBB40_40:                              ;   in Loop: Header=BB40_41 Depth=2
	s_add_co_i32 s37, s37, s38
	s_add_co_i32 s21, s21, -8
	s_wait_alu 0xfffe
	s_add_co_i32 s37, s37, -4
	s_add_co_i32 s36, s36, -8
	s_wait_alu 0xfffe
	v_mov_b32_e32 v0, s37
	s_add_co_i32 s37, s20, -2
	s_cmp_lt_i32 s20, 2
	s_wait_alu 0xfffe
	s_mov_b32 s20, s37
	ds_load_b32 v0, v0
	s_wait_dscnt 0x0
	v_div_scale_f32 v12, null, v0, v0, v13
	v_div_scale_f32 v16, vcc_lo, v13, v0, v13
	s_delay_alu instid0(VALU_DEP_2) | instskip(NEXT) | instid1(TRANS32_DEP_1)
	v_rcp_f32_e32 v14, v12
	v_fma_f32 v15, -v12, v14, 1.0
	s_delay_alu instid0(VALU_DEP_1) | instskip(NEXT) | instid1(VALU_DEP_1)
	v_fmac_f32_e32 v14, v15, v14
	v_mul_f32_e32 v15, v16, v14
	s_delay_alu instid0(VALU_DEP_1) | instskip(NEXT) | instid1(VALU_DEP_1)
	v_fma_f32 v17, -v12, v15, v16
	v_fmac_f32_e32 v15, v17, v14
	s_delay_alu instid0(VALU_DEP_1) | instskip(SKIP_1) | instid1(VALU_DEP_1)
	v_fma_f32 v12, -v12, v15, v16
	s_wait_alu 0xfffd
	v_div_fmas_f32 v12, v12, v14, v15
	s_delay_alu instid0(VALU_DEP_1)
	v_div_fixup_f32 v0, v12, v0, v13
	ds_store_b32 v1, v0
	s_cbranch_scc1 .LBB40_45
.LBB40_41:                              ;   Parent Loop BB40_3 Depth=1
                                        ; =>  This Loop Header: Depth=2
                                        ;       Child Loop BB40_42 Depth 3
                                        ;       Child Loop BB40_44 Depth 3
	s_wait_alu 0xfffe
	s_lshl_b32 s38, s20, 7
	s_cmp_le_i32 s23, s20
	s_wait_alu 0xfffe
	v_dual_mov_b32 v1, v8 :: v_dual_add_nc_u32 v0, s38, v6
	s_mov_b32 s37, s21
	s_mov_b32 s39, s23
	ds_load_b32 v12, v0
	s_cbranch_scc1 .LBB40_43
.LBB40_42:                              ;   Parent Loop BB40_3 Depth=1
                                        ;     Parent Loop BB40_41 Depth=2
                                        ; =>    This Inner Loop Header: Depth=3
	s_wait_alu 0xfffe
	v_mov_b32_e32 v13, s37
	s_add_co_i32 s39, s39, -1
	s_addk_co_i32 s37, 0xff80
	s_wait_alu 0xfffe
	s_cmp_le_i32 s39, s20
	ds_load_b32 v14, v1
	ds_load_b32 v13, v13
	v_add_nc_u32_e32 v1, 0xffffff80, v1
	s_wait_dscnt 0x0
	v_fma_f32 v12, -v14, v13, v12
	s_cbranch_scc0 .LBB40_42
.LBB40_43:                              ;   in Loop: Header=BB40_41 Depth=2
	s_lshl_b32 s37, s20, 2
	s_mov_b32 s40, s1
	s_wait_alu 0xfffe
	s_add_co_i32 s39, s37, s38
	s_addk_co_i32 s38, 0xff80
	s_wait_alu 0xfffe
	v_mov_b32_e32 v1, s39
	s_cmp_le_i32 s1, s20
	s_mov_b32 s39, s36
	ds_load_b32 v14, v1
	s_wait_dscnt 0x0
	v_div_scale_f32 v15, null, v14, v14, v12
	s_delay_alu instid0(VALU_DEP_1) | instskip(NEXT) | instid1(TRANS32_DEP_1)
	v_rcp_f32_e32 v16, v15
	v_fma_f32 v17, -v15, v16, 1.0
	s_delay_alu instid0(VALU_DEP_1) | instskip(SKIP_1) | instid1(VALU_DEP_1)
	v_fmac_f32_e32 v16, v17, v16
	v_div_scale_f32 v17, vcc_lo, v12, v14, v12
	v_dual_mul_f32 v18, v17, v16 :: v_dual_add_nc_u32 v1, s38, v6
	ds_load_b32 v13, v1
	v_fma_f32 v19, -v15, v18, v17
	s_delay_alu instid0(VALU_DEP_1) | instskip(NEXT) | instid1(VALU_DEP_1)
	v_fmac_f32_e32 v18, v19, v16
	v_fma_f32 v15, -v15, v18, v17
	s_wait_alu 0xfffd
	s_delay_alu instid0(VALU_DEP_1) | instskip(NEXT) | instid1(VALU_DEP_1)
	v_div_fmas_f32 v15, v15, v16, v18
	v_div_fixup_f32 v14, v15, v14, v12
	v_mov_b32_e32 v12, v8
	ds_store_b32 v0, v14
	s_cbranch_scc1 .LBB40_40
.LBB40_44:                              ;   Parent Loop BB40_3 Depth=1
                                        ;     Parent Loop BB40_41 Depth=2
                                        ; =>    This Inner Loop Header: Depth=3
	s_wait_alu 0xfffe
	v_mov_b32_e32 v0, s39
	s_add_co_i32 s40, s40, -1
	s_addk_co_i32 s39, 0xff80
	s_wait_alu 0xfffe
	s_cmp_gt_i32 s40, s20
	ds_load_b32 v14, v12
	ds_load_b32 v0, v0
	v_add_nc_u32_e32 v12, 0xffffff80, v12
	s_wait_dscnt 0x0
	v_fma_f32 v13, -v14, v0, v13
	s_cbranch_scc1 .LBB40_44
	s_branch .LBB40_40
.LBB40_45:                              ;   in Loop: Header=BB40_3 Depth=1
	s_mov_b32 s20, 0
.LBB40_46:                              ;   in Loop: Header=BB40_3 Depth=1
	s_wait_alu 0xfffe
	s_and_not1_b32 vcc_lo, exec_lo, s20
	s_wait_alu 0xfffe
	s_cbranch_vccnz .LBB40_66
; %bb.47:                               ;   in Loop: Header=BB40_3 Depth=1
	s_mov_b32 s36, s23
	s_and_not1_b32 vcc_lo, exec_lo, s27
	s_mov_b32 s20, s33
	s_mov_b32 s21, s23
	s_wait_alu 0xfffe
	s_cbranch_vccnz .LBB40_53
.LBB40_48:                              ;   Parent Loop BB40_3 Depth=1
                                        ; =>  This Loop Header: Depth=2
                                        ;       Child Loop BB40_49 Depth 3
	s_wait_alu 0xfffe
	s_add_co_i32 s39, s21, -1
	v_lshl_add_u32 v0, s21, 7, v6
	s_add_co_i32 s37, s21, -2
	s_wait_alu 0xfffe
	v_lshl_add_u32 v1, s39, 7, v6
	s_add_co_i32 s36, s21, -3
	v_lshl_add_u32 v12, s37, 7, v6
	s_wait_alu 0xfffe
	v_lshl_add_u32 v13, s36, 7, v6
	ds_load_b32 v17, v0
	ds_load_b32 v16, v1
	;; [unrolled: 1-line block ×4, first 2 shown]
	v_mov_b32_e32 v18, v8
	s_cmp_le_i32 s23, s21
	s_mov_b32 s38, s20
	s_mov_b32 s40, s23
	s_cbranch_scc1 .LBB40_50
.LBB40_49:                              ;   Parent Loop BB40_3 Depth=1
                                        ;     Parent Loop BB40_48 Depth=2
                                        ; =>    This Inner Loop Header: Depth=3
	s_wait_alu 0xfffe
	v_mov_b32_e32 v21, s38
	s_add_co_i32 s40, s40, -1
	s_add_co_i32 s38, s38, -4
	s_wait_alu 0xfffe
	s_cmp_le_i32 s40, s21
	ds_load_b32 v23, v18
	ds_load_2addr_b32 v[19:20], v21 offset0:64 offset1:96
	ds_load_2addr_b32 v[21:22], v21 offset1:32
	v_add_nc_u32_e32 v18, 0xffffff80, v18
	s_wait_dscnt 0x1
	v_fma_f32 v17, -v23, v20, v17
	v_fma_f32 v16, -v23, v19, v16
	s_wait_dscnt 0x0
	v_fma_f32 v15, -v23, v22, v15
	v_fma_f32 v14, -v23, v21, v14
	s_cbranch_scc0 .LBB40_49
.LBB40_50:                              ;   in Loop: Header=BB40_48 Depth=2
	s_lshl_b32 s41, s39, 5
	s_lshl_b32 s40, s37, 5
	;; [unrolled: 1-line block ×3, first 2 shown]
; %bb.51:                               ;   in Loop: Header=BB40_48 Depth=2
	s_mul_i32 s42, s21, 0x84
	s_wait_alu 0xfffe
	s_lshl_b32 s40, s40, 2
	s_lshl_b32 s37, s37, 2
	;; [unrolled: 1-line block ×3, first 2 shown]
	s_wait_alu 0xfffe
	s_add_co_i32 s37, s40, s37
	s_wait_alu 0xfffe
	v_dual_mov_b32 v18, s42 :: v_dual_mov_b32 v21, s37
	s_lshl_b32 s39, s39, 2
	s_lshl_b32 s37, s38, 2
	s_wait_alu 0xfffe
	s_add_co_i32 s39, s41, s39
	ds_load_b32 v22, v18
	s_lshl_b32 s36, s36, 2
	s_lshl_b32 s42, s21, 2
	s_wait_alu 0xfffe
	s_add_co_i32 s36, s37, s36
	s_add_co_i32 s41, s40, s42
	;; [unrolled: 1-line block ×3, first 2 shown]
	s_wait_alu 0xfffe
	v_mov_b32_e32 v20, s41
	s_add_co_i32 s38, s38, -4
	s_addk_co_i32 s20, 0xfe00
	s_wait_dscnt 0x0
	v_div_scale_f32 v24, null, v22, v22, v17
	v_div_scale_f32 v27, vcc_lo, v17, v22, v17
	s_delay_alu instid0(VALU_DEP_2) | instskip(NEXT) | instid1(TRANS32_DEP_1)
	v_rcp_f32_e32 v25, v24
	v_fma_f32 v26, -v24, v25, 1.0
	s_delay_alu instid0(VALU_DEP_1) | instskip(SKIP_4) | instid1(VALU_DEP_1)
	v_dual_mov_b32 v18, s39 :: v_dual_fmac_f32 v25, v26, v25
	ds_load_2addr_b32 v[18:19], v18 offset1:1
	ds_load_b32 v23, v20
	ds_load_2addr_b32 v[20:21], v21 offset1:1
	v_mul_f32_e32 v26, v27, v25
	v_fma_f32 v28, -v24, v26, v27
	s_delay_alu instid0(VALU_DEP_1) | instskip(NEXT) | instid1(VALU_DEP_1)
	v_fmac_f32_e32 v26, v28, v25
	v_fma_f32 v24, -v24, v26, v27
	s_wait_alu 0xfffd
	s_delay_alu instid0(VALU_DEP_1) | instskip(NEXT) | instid1(VALU_DEP_1)
	v_div_fmas_f32 v24, v24, v25, v26
	v_div_fixup_f32 v22, v24, v22, v17
	s_wait_dscnt 0x2
	s_delay_alu instid0(VALU_DEP_1) | instskip(SKIP_2) | instid1(VALU_DEP_2)
	v_fma_f32 v16, -v22, v19, v16
	s_wait_dscnt 0x1
	v_fma_f32 v15, -v22, v23, v15
	v_div_scale_f32 v17, null, v18, v18, v16
	v_div_scale_f32 v25, vcc_lo, v16, v18, v16
	s_delay_alu instid0(VALU_DEP_2) | instskip(NEXT) | instid1(TRANS32_DEP_1)
	v_rcp_f32_e32 v19, v17
	v_fma_f32 v24, -v17, v19, 1.0
	s_delay_alu instid0(VALU_DEP_1) | instskip(NEXT) | instid1(VALU_DEP_1)
	v_fmac_f32_e32 v19, v24, v19
	v_mul_f32_e32 v24, v25, v19
	s_delay_alu instid0(VALU_DEP_1) | instskip(NEXT) | instid1(VALU_DEP_1)
	v_fma_f32 v26, -v17, v24, v25
	v_fmac_f32_e32 v24, v26, v19
	s_delay_alu instid0(VALU_DEP_1) | instskip(SKIP_1) | instid1(VALU_DEP_1)
	v_fma_f32 v17, -v17, v24, v25
	s_wait_alu 0xfffd
	v_div_fmas_f32 v17, v17, v19, v24
	s_delay_alu instid0(VALU_DEP_1)
	v_div_fixup_f32 v19, v17, v18, v16
	s_wait_alu 0xfffe
	v_dual_mov_b32 v16, s38 :: v_dual_mov_b32 v17, s36
	s_add_co_i32 s36, s21, -4
	s_cmp_lt_i32 s21, 7
	s_wait_dscnt 0x0
	v_fma_f32 v21, -v19, v21, v15
	ds_load_2addr_b32 v[17:18], v17 offset1:1
	v_div_scale_f32 v23, null, v20, v20, v21
	v_div_scale_f32 v25, vcc_lo, v21, v20, v21
	s_delay_alu instid0(VALU_DEP_2) | instskip(NEXT) | instid1(TRANS32_DEP_1)
	v_rcp_f32_e32 v24, v23
	v_fma_f32 v15, -v23, v24, 1.0
	s_delay_alu instid0(VALU_DEP_1) | instskip(SKIP_2) | instid1(VALU_DEP_1)
	v_fmac_f32_e32 v24, v15, v24
	ds_load_2addr_b32 v[15:16], v16 offset1:1
	v_mul_f32_e32 v26, v25, v24
	v_fma_f32 v27, -v23, v26, v25
	s_delay_alu instid0(VALU_DEP_1) | instskip(NEXT) | instid1(VALU_DEP_1)
	v_fmac_f32_e32 v26, v27, v24
	v_fma_f32 v23, -v23, v26, v25
	s_wait_dscnt 0x0
	v_fma_f32 v14, -v22, v16, v14
	s_wait_alu 0xfffd
	s_delay_alu instid0(VALU_DEP_2) | instskip(NEXT) | instid1(VALU_DEP_2)
	v_div_fmas_f32 v16, v23, v24, v26
	v_fma_f32 v14, -v19, v15, v14
	s_delay_alu instid0(VALU_DEP_2) | instskip(NEXT) | instid1(VALU_DEP_1)
	v_div_fixup_f32 v15, v16, v20, v21
	v_fma_f32 v14, -v15, v18, v14
	s_delay_alu instid0(VALU_DEP_1) | instskip(SKIP_1) | instid1(VALU_DEP_2)
	v_div_scale_f32 v16, null, v17, v17, v14
	v_div_scale_f32 v21, vcc_lo, v14, v17, v14
	v_rcp_f32_e32 v18, v16
	s_delay_alu instid0(TRANS32_DEP_1) | instskip(NEXT) | instid1(VALU_DEP_1)
	v_fma_f32 v20, -v16, v18, 1.0
	v_fmac_f32_e32 v18, v20, v18
	s_delay_alu instid0(VALU_DEP_1) | instskip(NEXT) | instid1(VALU_DEP_1)
	v_mul_f32_e32 v20, v21, v18
	v_fma_f32 v23, -v16, v20, v21
	s_delay_alu instid0(VALU_DEP_1) | instskip(NEXT) | instid1(VALU_DEP_1)
	v_fmac_f32_e32 v20, v23, v18
	v_fma_f32 v16, -v16, v20, v21
	s_wait_alu 0xfffd
	s_delay_alu instid0(VALU_DEP_1) | instskip(NEXT) | instid1(VALU_DEP_1)
	v_div_fmas_f32 v16, v16, v18, v20
	v_div_fixup_f32 v14, v16, v17, v14
	ds_store_b32 v0, v22
	ds_store_b32 v1, v19
	ds_store_b32 v12, v15
	ds_store_b32 v13, v14
	s_cbranch_scc1 .LBB40_53
; %bb.52:                               ;   in Loop: Header=BB40_48 Depth=2
	s_wait_alu 0xfffe
	s_mov_b32 s21, s36
	s_branch .LBB40_48
.LBB40_53:                              ;   in Loop: Header=BB40_3 Depth=1
	s_wait_alu 0xfffe
	s_cmp_lt_i32 s36, 0
	s_cbranch_scc1 .LBB40_66
; %bb.54:                               ;   in Loop: Header=BB40_3 Depth=1
	s_bitcmp1_b32 s36, 0
	s_cselect_b32 s20, -1, 0
	s_wait_alu 0xfffe
	s_and_b32 vcc_lo, exec_lo, s20
	s_mov_b32 s20, s36
	s_wait_alu 0xfffe
	s_cbranch_vccnz .LBB40_59
; %bb.55:                               ;   in Loop: Header=BB40_3 Depth=1
	v_lshl_add_u32 v0, s36, 7, v6
	s_cmp_le_i32 s23, s36
	ds_load_b32 v1, v0
	s_cbranch_scc1 .LBB40_58
; %bb.56:                               ;   in Loop: Header=BB40_3 Depth=1
	v_mov_b32_e32 v12, v8
	s_lshl_b32 s20, s36, 7
	s_mov_b32 s21, s23
	s_wait_alu 0xfffe
	s_add_co_i32 s20, s34, s20
.LBB40_57:                              ;   Parent Loop BB40_3 Depth=1
                                        ; =>  This Inner Loop Header: Depth=2
	s_wait_alu 0xfffe
	v_mov_b32_e32 v13, s20
	s_add_co_i32 s21, s21, -1
	s_add_co_i32 s20, s20, -4
	s_wait_alu 0xfffe
	s_cmp_gt_u32 s21, s36
	ds_load_b32 v14, v12
	ds_load_b32 v13, v13
	v_add_nc_u32_e32 v12, 0xffffff80, v12
	s_wait_dscnt 0x0
	v_fma_f32 v1, -v14, v13, v1
	s_cbranch_scc1 .LBB40_57
.LBB40_58:                              ;   in Loop: Header=BB40_3 Depth=1
	s_mul_i32 s20, s36, 0x84
	s_wait_alu 0xfffe
	v_mov_b32_e32 v12, s20
	s_add_co_i32 s20, s36, -1
	ds_load_b32 v12, v12
	s_wait_dscnt 0x0
	v_div_scale_f32 v13, null, v12, v12, v1
	s_delay_alu instid0(VALU_DEP_1) | instskip(NEXT) | instid1(TRANS32_DEP_1)
	v_rcp_f32_e32 v14, v13
	v_fma_f32 v15, -v13, v14, 1.0
	s_delay_alu instid0(VALU_DEP_1) | instskip(SKIP_1) | instid1(VALU_DEP_1)
	v_fmac_f32_e32 v14, v15, v14
	v_div_scale_f32 v15, vcc_lo, v1, v12, v1
	v_mul_f32_e32 v16, v15, v14
	s_delay_alu instid0(VALU_DEP_1) | instskip(NEXT) | instid1(VALU_DEP_1)
	v_fma_f32 v17, -v13, v16, v15
	v_fmac_f32_e32 v16, v17, v14
	s_delay_alu instid0(VALU_DEP_1) | instskip(SKIP_1) | instid1(VALU_DEP_1)
	v_fma_f32 v13, -v13, v16, v15
	s_wait_alu 0xfffd
	v_div_fmas_f32 v13, v13, v14, v16
	s_delay_alu instid0(VALU_DEP_1)
	v_div_fixup_f32 v1, v13, v12, v1
	ds_store_b32 v0, v1
.LBB40_59:                              ;   in Loop: Header=BB40_3 Depth=1
	s_cmp_eq_u32 s36, 0
	s_cbranch_scc1 .LBB40_66
; %bb.60:                               ;   in Loop: Header=BB40_3 Depth=1
	s_wait_alu 0xfffe
	s_lshl_b32 s36, s20, 7
	s_wait_alu 0xfffe
	s_add_co_i32 s21, s34, s36
	s_add_co_i32 s36, s35, s36
	s_branch .LBB40_62
.LBB40_61:                              ;   in Loop: Header=BB40_62 Depth=2
	s_addk_co_i32 s38, 0xff7c
	s_add_co_i32 s20, s20, -2
	s_wait_alu 0xfffe
	v_mov_b32_e32 v0, s38
	s_addk_co_i32 s21, 0xff00
	s_addk_co_i32 s36, 0xff00
	s_cmp_eq_u32 s37, 0
	ds_load_b32 v0, v0
	s_wait_dscnt 0x0
	v_div_scale_f32 v12, null, v0, v0, v13
	v_div_scale_f32 v16, vcc_lo, v13, v0, v13
	s_delay_alu instid0(VALU_DEP_2) | instskip(NEXT) | instid1(TRANS32_DEP_1)
	v_rcp_f32_e32 v14, v12
	v_fma_f32 v15, -v12, v14, 1.0
	s_delay_alu instid0(VALU_DEP_1) | instskip(NEXT) | instid1(VALU_DEP_1)
	v_fmac_f32_e32 v14, v15, v14
	v_mul_f32_e32 v15, v16, v14
	s_delay_alu instid0(VALU_DEP_1) | instskip(NEXT) | instid1(VALU_DEP_1)
	v_fma_f32 v17, -v12, v15, v16
	v_fmac_f32_e32 v15, v17, v14
	s_delay_alu instid0(VALU_DEP_1) | instskip(SKIP_1) | instid1(VALU_DEP_1)
	v_fma_f32 v12, -v12, v15, v16
	s_wait_alu 0xfffd
	v_div_fmas_f32 v12, v12, v14, v15
	s_delay_alu instid0(VALU_DEP_1)
	v_div_fixup_f32 v0, v12, v0, v13
	ds_store_b32 v1, v0
	s_cbranch_scc1 .LBB40_66
.LBB40_62:                              ;   Parent Loop BB40_3 Depth=1
                                        ; =>  This Loop Header: Depth=2
                                        ;       Child Loop BB40_63 Depth 3
                                        ;       Child Loop BB40_65 Depth 3
	v_lshl_add_u32 v0, s20, 7, v6
	v_mov_b32_e32 v1, v8
	s_cmp_le_i32 s23, s20
	s_wait_alu 0xfffe
	s_mov_b32 s37, s21
	s_mov_b32 s38, s23
	ds_load_b32 v12, v0
	s_cbranch_scc1 .LBB40_64
.LBB40_63:                              ;   Parent Loop BB40_3 Depth=1
                                        ;     Parent Loop BB40_62 Depth=2
                                        ; =>    This Inner Loop Header: Depth=3
	s_wait_alu 0xfffe
	v_mov_b32_e32 v13, s37
	s_add_co_i32 s38, s38, -1
	s_add_co_i32 s37, s37, -4
	s_wait_alu 0xfffe
	s_cmp_le_u32 s38, s20
	ds_load_b32 v14, v1
	ds_load_b32 v13, v13
	v_add_nc_u32_e32 v1, 0xffffff80, v1
	s_wait_dscnt 0x0
	v_fma_f32 v12, -v14, v13, v12
	s_cbranch_scc0 .LBB40_63
.LBB40_64:                              ;   in Loop: Header=BB40_62 Depth=2
	s_mul_i32 s38, s20, 0x84
	s_add_co_i32 s37, s20, -1
	s_wait_alu 0xfffe
	v_mov_b32_e32 v1, s38
	s_cmp_le_i32 s1, s20
	s_mov_b32 s39, s36
	s_mov_b32 s40, s23
	ds_load_b32 v14, v1
	v_lshl_add_u32 v1, s37, 7, v6
	ds_load_b32 v13, v1
	s_wait_dscnt 0x1
	v_div_scale_f32 v15, null, v14, v14, v12
	s_delay_alu instid0(VALU_DEP_1) | instskip(NEXT) | instid1(TRANS32_DEP_1)
	v_rcp_f32_e32 v16, v15
	v_fma_f32 v17, -v15, v16, 1.0
	s_delay_alu instid0(VALU_DEP_1) | instskip(SKIP_1) | instid1(VALU_DEP_1)
	v_fmac_f32_e32 v16, v17, v16
	v_div_scale_f32 v17, vcc_lo, v12, v14, v12
	v_mul_f32_e32 v18, v17, v16
	s_delay_alu instid0(VALU_DEP_1) | instskip(NEXT) | instid1(VALU_DEP_1)
	v_fma_f32 v19, -v15, v18, v17
	v_fmac_f32_e32 v18, v19, v16
	s_delay_alu instid0(VALU_DEP_1) | instskip(SKIP_1) | instid1(VALU_DEP_1)
	v_fma_f32 v15, -v15, v18, v17
	s_wait_alu 0xfffd
	v_div_fmas_f32 v15, v15, v16, v18
	s_delay_alu instid0(VALU_DEP_1)
	v_div_fixup_f32 v14, v15, v14, v12
	v_mov_b32_e32 v12, v8
	ds_store_b32 v0, v14
	s_cbranch_scc1 .LBB40_61
.LBB40_65:                              ;   Parent Loop BB40_3 Depth=1
                                        ;     Parent Loop BB40_62 Depth=2
                                        ; =>    This Inner Loop Header: Depth=3
	s_wait_alu 0xfffe
	v_mov_b32_e32 v0, s39
	s_add_co_i32 s40, s40, -1
	s_add_co_i32 s39, s39, -4
	s_wait_alu 0xfffe
	s_cmp_gt_u32 s40, s37
	ds_load_b32 v14, v12
	ds_load_b32 v0, v0
	v_add_nc_u32_e32 v12, 0xffffff80, v12
	s_wait_dscnt 0x0
	v_fma_f32 v13, -v14, v0, v13
	s_cbranch_scc1 .LBB40_65
	s_branch .LBB40_61
.LBB40_66:                              ;   in Loop: Header=BB40_3 Depth=1
	s_mov_b32 s20, 0
.LBB40_67:                              ;   in Loop: Header=BB40_3 Depth=1
	s_wait_alu 0xfffe
	s_and_not1_b32 vcc_lo, exec_lo, s20
	s_wait_alu 0xfffe
	s_cbranch_vccnz .LBB40_79
; %bb.68:                               ;   in Loop: Header=BB40_3 Depth=1
	s_and_not1_b32 vcc_lo, exec_lo, s27
	s_mov_b32 s36, 0
	s_wait_alu 0xfffe
	s_cbranch_vccnz .LBB40_74
; %bb.69:                               ;   in Loop: Header=BB40_3 Depth=1
	s_mov_b32 s20, 0
	s_mov_b32 s21, 0
.LBB40_70:                              ;   Parent Loop BB40_3 Depth=1
                                        ; =>  This Loop Header: Depth=2
                                        ;       Child Loop BB40_71 Depth 3
	s_wait_alu 0xfffe
	s_or_b32 s37, s21, 1
	v_lshl_add_u32 v0, s21, 7, v6
	s_or_b32 s38, s21, 2
	s_or_b32 s36, s21, 3
	s_wait_alu 0xfffe
	v_lshl_add_u32 v1, s37, 7, v6
	v_lshl_add_u32 v12, s38, 7, v6
	;; [unrolled: 1-line block ×3, first 2 shown]
	ds_load_b32 v17, v0
	ds_load_b32 v16, v1
	;; [unrolled: 1-line block ×4, first 2 shown]
	v_mov_b32_e32 v18, v6
	s_cmp_eq_u32 s21, 0
	s_mov_b32 s39, s20
	s_mov_b32 s40, s21
	s_cbranch_scc1 .LBB40_72
.LBB40_71:                              ;   Parent Loop BB40_3 Depth=1
                                        ;     Parent Loop BB40_70 Depth=2
                                        ; =>    This Inner Loop Header: Depth=3
	s_wait_alu 0xfffe
	v_mov_b32_e32 v21, s39
	s_add_co_i32 s40, s40, -1
	s_add_co_i32 s39, s39, 4
	s_wait_alu 0xfffe
	s_cmp_eq_u32 s40, 0
	ds_load_b32 v23, v18
	ds_load_2addr_b32 v[19:20], v21 offset1:32
	ds_load_2addr_b32 v[21:22], v21 offset0:64 offset1:96
	v_add_nc_u32_e32 v18, 0x80, v18
	s_wait_dscnt 0x1
	v_fma_f32 v17, -v23, v19, v17
	v_fma_f32 v16, -v23, v20, v16
	s_wait_dscnt 0x0
	v_fma_f32 v15, -v23, v21, v15
	v_fma_f32 v14, -v23, v22, v14
	s_cbranch_scc0 .LBB40_71
.LBB40_72:                              ;   in Loop: Header=BB40_70 Depth=2
	s_lshl_b32 s39, s37, 5
	s_lshl_b32 s37, s38, 5
	s_mul_i32 s38, s21, 0x84
	s_wait_alu 0xfffe
	s_lshl_b32 s37, s37, 2
	v_mov_b32_e32 v18, s38
	s_lshl_b32 s38, s39, 2
	s_lshl_b32 s39, s21, 2
	;; [unrolled: 1-line block ×3, first 2 shown]
	s_wait_alu 0xfffe
	s_add_co_i32 s37, s37, s39
	s_add_co_i32 s38, s38, s39
	s_wait_alu 0xfffe
	v_mov_b32_e32 v19, s37
	ds_load_b32 v23, v18
	s_lshl_b32 s36, s36, 2
	s_addk_co_i32 s20, 0x200
	s_wait_alu 0xfffe
	s_add_co_i32 s36, s36, s39
	s_wait_dscnt 0x0
	v_div_scale_f32 v24, null, v23, v23, v17
	v_div_scale_f32 v27, vcc_lo, v17, v23, v17
	s_delay_alu instid0(VALU_DEP_2) | instskip(NEXT) | instid1(TRANS32_DEP_1)
	v_rcp_f32_e32 v25, v24
	v_fma_f32 v26, -v24, v25, 1.0
	s_delay_alu instid0(VALU_DEP_1) | instskip(SKIP_3) | instid1(VALU_DEP_1)
	v_dual_mov_b32 v18, s38 :: v_dual_fmac_f32 v25, v26, v25
	ds_load_b64 v[21:22], v18
	ds_load_b96 v[18:20], v19
	v_mul_f32_e32 v26, v27, v25
	v_fma_f32 v28, -v24, v26, v27
	s_delay_alu instid0(VALU_DEP_1) | instskip(NEXT) | instid1(VALU_DEP_1)
	v_fmac_f32_e32 v26, v28, v25
	v_fma_f32 v24, -v24, v26, v27
	s_wait_alu 0xfffd
	s_delay_alu instid0(VALU_DEP_1) | instskip(NEXT) | instid1(VALU_DEP_1)
	v_div_fmas_f32 v24, v24, v25, v26
	v_div_fixup_f32 v23, v24, v23, v17
	s_wait_dscnt 0x1
	s_delay_alu instid0(VALU_DEP_1) | instskip(SKIP_2) | instid1(VALU_DEP_2)
	v_fma_f32 v16, -v23, v21, v16
	s_wait_dscnt 0x0
	v_fma_f32 v15, -v23, v18, v15
	v_div_scale_f32 v17, null, v22, v22, v16
	v_div_scale_f32 v25, vcc_lo, v16, v22, v16
	s_delay_alu instid0(VALU_DEP_2) | instskip(NEXT) | instid1(TRANS32_DEP_1)
	v_rcp_f32_e32 v21, v17
	v_fma_f32 v24, -v17, v21, 1.0
	s_delay_alu instid0(VALU_DEP_1) | instskip(NEXT) | instid1(VALU_DEP_1)
	v_fmac_f32_e32 v21, v24, v21
	v_mul_f32_e32 v24, v25, v21
	s_delay_alu instid0(VALU_DEP_1) | instskip(NEXT) | instid1(VALU_DEP_1)
	v_fma_f32 v26, -v17, v24, v25
	v_fmac_f32_e32 v24, v26, v21
	s_delay_alu instid0(VALU_DEP_1) | instskip(SKIP_1) | instid1(VALU_DEP_1)
	v_fma_f32 v17, -v17, v24, v25
	s_wait_alu 0xfffd
	v_div_fmas_f32 v17, v17, v21, v24
	s_delay_alu instid0(VALU_DEP_1)
	v_div_fixup_f32 v21, v17, v22, v16
	s_wait_alu 0xfffe
	v_mov_b32_e32 v16, s36
	s_add_co_i32 s36, s21, 4
	s_add_co_i32 s21, s21, 7
	v_fma_f32 v19, -v21, v19, v15
	s_wait_alu 0xfffe
	s_cmp_ge_i32 s21, s1
	s_delay_alu instid0(VALU_DEP_1) | instskip(SKIP_1) | instid1(VALU_DEP_2)
	v_div_scale_f32 v22, null, v20, v20, v19
	v_div_scale_f32 v25, vcc_lo, v19, v20, v19
	v_rcp_f32_e32 v24, v22
	s_delay_alu instid0(TRANS32_DEP_1) | instskip(NEXT) | instid1(VALU_DEP_1)
	v_fma_f32 v15, -v22, v24, 1.0
	v_fmac_f32_e32 v24, v15, v24
	ds_load_b128 v[15:18], v16
	v_mul_f32_e32 v26, v25, v24
	s_delay_alu instid0(VALU_DEP_1) | instskip(NEXT) | instid1(VALU_DEP_1)
	v_fma_f32 v27, -v22, v26, v25
	v_fmac_f32_e32 v26, v27, v24
	s_delay_alu instid0(VALU_DEP_1) | instskip(SKIP_3) | instid1(VALU_DEP_2)
	v_fma_f32 v22, -v22, v26, v25
	s_wait_dscnt 0x0
	v_fma_f32 v14, -v23, v15, v14
	s_wait_alu 0xfffd
	v_div_fmas_f32 v15, v22, v24, v26
	s_delay_alu instid0(VALU_DEP_2) | instskip(NEXT) | instid1(VALU_DEP_2)
	v_fma_f32 v14, -v21, v16, v14
	v_div_fixup_f32 v15, v15, v20, v19
	s_delay_alu instid0(VALU_DEP_1) | instskip(NEXT) | instid1(VALU_DEP_1)
	v_fma_f32 v14, -v15, v17, v14
	v_div_scale_f32 v16, null, v18, v18, v14
	v_div_scale_f32 v20, vcc_lo, v14, v18, v14
	s_delay_alu instid0(VALU_DEP_2) | instskip(NEXT) | instid1(TRANS32_DEP_1)
	v_rcp_f32_e32 v17, v16
	v_fma_f32 v19, -v16, v17, 1.0
	s_delay_alu instid0(VALU_DEP_1) | instskip(NEXT) | instid1(VALU_DEP_1)
	v_fmac_f32_e32 v17, v19, v17
	v_mul_f32_e32 v19, v20, v17
	s_delay_alu instid0(VALU_DEP_1) | instskip(NEXT) | instid1(VALU_DEP_1)
	v_fma_f32 v22, -v16, v19, v20
	v_fmac_f32_e32 v19, v22, v17
	s_delay_alu instid0(VALU_DEP_1) | instskip(SKIP_1) | instid1(VALU_DEP_1)
	v_fma_f32 v16, -v16, v19, v20
	s_wait_alu 0xfffd
	v_div_fmas_f32 v16, v16, v17, v19
	s_delay_alu instid0(VALU_DEP_1)
	v_div_fixup_f32 v14, v16, v18, v14
	ds_store_b32 v0, v23
	ds_store_b32 v1, v21
	;; [unrolled: 1-line block ×4, first 2 shown]
	s_cbranch_scc1 .LBB40_74
; %bb.73:                               ;   in Loop: Header=BB40_70 Depth=2
	s_mov_b32 s21, s36
	s_branch .LBB40_70
.LBB40_74:                              ;   in Loop: Header=BB40_3 Depth=1
	s_cmp_ge_i32 s36, s1
	s_cbranch_scc1 .LBB40_79
; %bb.75:                               ;   in Loop: Header=BB40_3 Depth=1
	s_lshl_b32 s20, s36, 7
	s_branch .LBB40_77
.LBB40_76:                              ;   in Loop: Header=BB40_77 Depth=2
	s_mul_i32 s21, s36, 0x84
	s_add_co_i32 s36, s36, 1
	s_wait_alu 0xfffe
	v_mov_b32_e32 v12, s21
	s_addk_co_i32 s20, 0x80
	s_cmp_ge_i32 s36, s1
	ds_load_b32 v12, v12
	s_wait_dscnt 0x0
	v_div_scale_f32 v13, null, v12, v12, v1
	s_delay_alu instid0(VALU_DEP_1) | instskip(NEXT) | instid1(TRANS32_DEP_1)
	v_rcp_f32_e32 v14, v13
	v_fma_f32 v15, -v13, v14, 1.0
	s_delay_alu instid0(VALU_DEP_1) | instskip(SKIP_1) | instid1(VALU_DEP_1)
	v_fmac_f32_e32 v14, v15, v14
	v_div_scale_f32 v15, vcc_lo, v1, v12, v1
	v_mul_f32_e32 v16, v15, v14
	s_delay_alu instid0(VALU_DEP_1) | instskip(NEXT) | instid1(VALU_DEP_1)
	v_fma_f32 v17, -v13, v16, v15
	v_fmac_f32_e32 v16, v17, v14
	s_delay_alu instid0(VALU_DEP_1) | instskip(SKIP_1) | instid1(VALU_DEP_1)
	v_fma_f32 v13, -v13, v16, v15
	s_wait_alu 0xfffd
	v_div_fmas_f32 v13, v13, v14, v16
	s_delay_alu instid0(VALU_DEP_1)
	v_div_fixup_f32 v1, v13, v12, v1
	ds_store_b32 v0, v1
	s_cbranch_scc1 .LBB40_79
.LBB40_77:                              ;   Parent Loop BB40_3 Depth=1
                                        ; =>  This Loop Header: Depth=2
                                        ;       Child Loop BB40_78 Depth 3
	v_lshl_add_u32 v0, s36, 7, v6
	v_mov_b32_e32 v12, v6
	s_cmp_eq_u32 s36, 0
	s_wait_alu 0xfffe
	s_mov_b32 s21, s20
	s_mov_b32 s37, s36
	ds_load_b32 v1, v0
	s_cbranch_scc1 .LBB40_76
.LBB40_78:                              ;   Parent Loop BB40_3 Depth=1
                                        ;     Parent Loop BB40_77 Depth=2
                                        ; =>    This Inner Loop Header: Depth=3
	s_wait_alu 0xfffe
	v_mov_b32_e32 v13, s21
	s_add_co_i32 s37, s37, -1
	s_add_co_i32 s21, s21, 4
	s_wait_alu 0xfffe
	s_cmp_eq_u32 s37, 0
	ds_load_b32 v14, v12
	ds_load_b32 v13, v13
	v_add_nc_u32_e32 v12, 0x80, v12
	s_wait_dscnt 0x0
	v_fma_f32 v1, -v14, v13, v1
	s_cbranch_scc0 .LBB40_78
	s_branch .LBB40_76
.LBB40_79:                              ;   in Loop: Header=BB40_3 Depth=1
	s_and_saveexec_b32 s20, s28
	s_cbranch_execz .LBB40_2
; %bb.80:                               ;   in Loop: Header=BB40_3 Depth=1
	v_add_co_u32 v0, vcc_lo, v2, v11
	s_wait_alu 0xfffd
	v_add_co_ci_u32_e64 v1, null, 0, v3, vcc_lo
	v_mov_b32_e32 v2, v6
	s_mov_b32 s21, s16
.LBB40_81:                              ;   Parent Loop BB40_3 Depth=1
                                        ; =>  This Inner Loop Header: Depth=2
	ds_load_b32 v3, v2
	v_add_nc_u32_e32 v2, 0x80, v2
	s_wait_alu 0xfffe
	s_add_co_i32 s21, s21, -1
	s_wait_alu 0xfffe
	s_cmp_lg_u32 s21, 0
	s_wait_dscnt 0x0
	flat_store_b32 v[0:1], v3
	v_add_co_u32 v0, vcc_lo, v0, s14
	s_wait_alu 0xfffd
	v_add_co_ci_u32_e64 v1, null, s15, v1, vcc_lo
	s_cbranch_scc1 .LBB40_81
	s_branch .LBB40_2
.LBB40_82:
	s_endpgm
	.section	.rodata,"a",@progbits
	.p2align	6, 0x0
	.amdhsa_kernel _ZL31rocblas_trsm_small_right_deviceIffPKPKfPKPfLi32EEv13rocblas_fill_18rocblas_operation_17rocblas_diagonal_iiT0_T1_lilT2_lili
		.amdhsa_group_segment_fixed_size 8192
		.amdhsa_private_segment_fixed_size 0
		.amdhsa_kernarg_size 352
		.amdhsa_user_sgpr_count 2
		.amdhsa_user_sgpr_dispatch_ptr 0
		.amdhsa_user_sgpr_queue_ptr 0
		.amdhsa_user_sgpr_kernarg_segment_ptr 1
		.amdhsa_user_sgpr_dispatch_id 0
		.amdhsa_user_sgpr_private_segment_size 0
		.amdhsa_wavefront_size32 1
		.amdhsa_uses_dynamic_stack 0
		.amdhsa_enable_private_segment 0
		.amdhsa_system_sgpr_workgroup_id_x 1
		.amdhsa_system_sgpr_workgroup_id_y 0
		.amdhsa_system_sgpr_workgroup_id_z 1
		.amdhsa_system_sgpr_workgroup_info 0
		.amdhsa_system_vgpr_workitem_id 0
		.amdhsa_next_free_vgpr 241
		.amdhsa_next_free_sgpr 43
		.amdhsa_reserve_vcc 1
		.amdhsa_float_round_mode_32 0
		.amdhsa_float_round_mode_16_64 0
		.amdhsa_float_denorm_mode_32 3
		.amdhsa_float_denorm_mode_16_64 3
		.amdhsa_fp16_overflow 0
		.amdhsa_workgroup_processor_mode 1
		.amdhsa_memory_ordered 1
		.amdhsa_forward_progress 1
		.amdhsa_inst_pref_size 53
		.amdhsa_round_robin_scheduling 0
		.amdhsa_exception_fp_ieee_invalid_op 0
		.amdhsa_exception_fp_denorm_src 0
		.amdhsa_exception_fp_ieee_div_zero 0
		.amdhsa_exception_fp_ieee_overflow 0
		.amdhsa_exception_fp_ieee_underflow 0
		.amdhsa_exception_fp_ieee_inexact 0
		.amdhsa_exception_int_div_zero 0
	.end_amdhsa_kernel
	.section	.text._ZL31rocblas_trsm_small_right_deviceIffPKPKfPKPfLi32EEv13rocblas_fill_18rocblas_operation_17rocblas_diagonal_iiT0_T1_lilT2_lili,"axG",@progbits,_ZL31rocblas_trsm_small_right_deviceIffPKPKfPKPfLi32EEv13rocblas_fill_18rocblas_operation_17rocblas_diagonal_iiT0_T1_lilT2_lili,comdat
.Lfunc_end40:
	.size	_ZL31rocblas_trsm_small_right_deviceIffPKPKfPKPfLi32EEv13rocblas_fill_18rocblas_operation_17rocblas_diagonal_iiT0_T1_lilT2_lili, .Lfunc_end40-_ZL31rocblas_trsm_small_right_deviceIffPKPKfPKPfLi32EEv13rocblas_fill_18rocblas_operation_17rocblas_diagonal_iiT0_T1_lilT2_lili
                                        ; -- End function
	.set _ZL31rocblas_trsm_small_right_deviceIffPKPKfPKPfLi32EEv13rocblas_fill_18rocblas_operation_17rocblas_diagonal_iiT0_T1_lilT2_lili.num_vgpr, 30
	.set _ZL31rocblas_trsm_small_right_deviceIffPKPKfPKPfLi32EEv13rocblas_fill_18rocblas_operation_17rocblas_diagonal_iiT0_T1_lilT2_lili.num_agpr, 0
	.set _ZL31rocblas_trsm_small_right_deviceIffPKPKfPKPfLi32EEv13rocblas_fill_18rocblas_operation_17rocblas_diagonal_iiT0_T1_lilT2_lili.numbered_sgpr, 43
	.set _ZL31rocblas_trsm_small_right_deviceIffPKPKfPKPfLi32EEv13rocblas_fill_18rocblas_operation_17rocblas_diagonal_iiT0_T1_lilT2_lili.num_named_barrier, 0
	.set _ZL31rocblas_trsm_small_right_deviceIffPKPKfPKPfLi32EEv13rocblas_fill_18rocblas_operation_17rocblas_diagonal_iiT0_T1_lilT2_lili.private_seg_size, 0
	.set _ZL31rocblas_trsm_small_right_deviceIffPKPKfPKPfLi32EEv13rocblas_fill_18rocblas_operation_17rocblas_diagonal_iiT0_T1_lilT2_lili.uses_vcc, 1
	.set _ZL31rocblas_trsm_small_right_deviceIffPKPKfPKPfLi32EEv13rocblas_fill_18rocblas_operation_17rocblas_diagonal_iiT0_T1_lilT2_lili.uses_flat_scratch, 0
	.set _ZL31rocblas_trsm_small_right_deviceIffPKPKfPKPfLi32EEv13rocblas_fill_18rocblas_operation_17rocblas_diagonal_iiT0_T1_lilT2_lili.has_dyn_sized_stack, 0
	.set _ZL31rocblas_trsm_small_right_deviceIffPKPKfPKPfLi32EEv13rocblas_fill_18rocblas_operation_17rocblas_diagonal_iiT0_T1_lilT2_lili.has_recursion, 0
	.set _ZL31rocblas_trsm_small_right_deviceIffPKPKfPKPfLi32EEv13rocblas_fill_18rocblas_operation_17rocblas_diagonal_iiT0_T1_lilT2_lili.has_indirect_call, 0
	.section	.AMDGPU.csdata,"",@progbits
; Kernel info:
; codeLenInByte = 6708
; TotalNumSgprs: 45
; NumVgprs: 30
; ScratchSize: 0
; MemoryBound: 0
; FloatMode: 240
; IeeeMode: 1
; LDSByteSize: 8192 bytes/workgroup (compile time only)
; SGPRBlocks: 0
; VGPRBlocks: 30
; NumSGPRsForWavesPerEU: 45
; NumVGPRsForWavesPerEU: 241
; Occupancy: 4
; WaveLimiterHint : 0
; COMPUTE_PGM_RSRC2:SCRATCH_EN: 0
; COMPUTE_PGM_RSRC2:USER_SGPR: 2
; COMPUTE_PGM_RSRC2:TRAP_HANDLER: 0
; COMPUTE_PGM_RSRC2:TGID_X_EN: 1
; COMPUTE_PGM_RSRC2:TGID_Y_EN: 0
; COMPUTE_PGM_RSRC2:TGID_Z_EN: 1
; COMPUTE_PGM_RSRC2:TIDIG_COMP_CNT: 0
	.section	.text._ZL38rocblas_trsm_small_left_device_sharedBILi64ELi32ELb0EffPKPKfPKPfEv13rocblas_fill_18rocblas_operation_17rocblas_diagonal_iiT3_T4_lilT5_lili,"axG",@progbits,_ZL38rocblas_trsm_small_left_device_sharedBILi64ELi32ELb0EffPKPKfPKPfEv13rocblas_fill_18rocblas_operation_17rocblas_diagonal_iiT3_T4_lilT5_lili,comdat
	.globl	_ZL38rocblas_trsm_small_left_device_sharedBILi64ELi32ELb0EffPKPKfPKPfEv13rocblas_fill_18rocblas_operation_17rocblas_diagonal_iiT3_T4_lilT5_lili ; -- Begin function _ZL38rocblas_trsm_small_left_device_sharedBILi64ELi32ELb0EffPKPKfPKPfEv13rocblas_fill_18rocblas_operation_17rocblas_diagonal_iiT3_T4_lilT5_lili
	.p2align	8
	.type	_ZL38rocblas_trsm_small_left_device_sharedBILi64ELi32ELb0EffPKPKfPKPfEv13rocblas_fill_18rocblas_operation_17rocblas_diagonal_iiT3_T4_lilT5_lili,@function
_ZL38rocblas_trsm_small_left_device_sharedBILi64ELi32ELb0EffPKPKfPKPfEv13rocblas_fill_18rocblas_operation_17rocblas_diagonal_iiT3_T4_lilT5_lili: ; @_ZL38rocblas_trsm_small_left_device_sharedBILi64ELi32ELb0EffPKPKfPKPfEv13rocblas_fill_18rocblas_operation_17rocblas_diagonal_iiT3_T4_lilT5_lili
; %bb.0:
	s_load_b32 s24, s[0:1], 0x58
	s_lshr_b32 s2, ttmp7, 16
	s_wait_kmcnt 0x0
	s_cmp_ge_u32 s2, s24
	s_cbranch_scc1 .LBB41_57
; %bb.1:
	s_clause 0x6
	s_load_b32 s18, s[0:1], 0x28
	s_load_b32 s20, s[0:1], 0x48
	s_load_b128 s[12:15], s[0:1], 0x4
	s_load_b32 s3, s[0:1], 0x60
	s_load_b128 s[4:7], s[0:1], 0x18
	s_load_b128 s[8:11], s[0:1], 0x38
	s_load_b32 s1, s[0:1], 0x14
	v_dual_mov_b32 v1, 0 :: v_dual_lshlrev_b32 v68, 2, v0
	s_lshl_b32 s22, ttmp9, 6
	v_lshlrev_b32_e32 v35, 8, v0
	s_mov_b32 s17, 0
	s_delay_alu instid0(VALU_DEP_2)
	v_or_b32_e32 v69, 0x4000, v68
	v_dual_mov_b32 v31, v1 :: v_dual_mov_b32 v32, v1
	v_dual_mov_b32 v2, v1 :: v_dual_mov_b32 v3, v1
	;; [unrolled: 1-line block ×3, first 2 shown]
	v_mov_b32_e32 v6, v1
	s_wait_kmcnt 0x0
	s_ashr_i32 s19, s18, 31
	s_ashr_i32 s21, s20, 31
	s_min_i32 s25, s14, 64
	s_add_co_i32 s3, s3, -1
	s_sub_co_i32 s0, s15, s22
	s_add_co_i32 s26, s25, -1
	v_mad_co_i64_i32 v[33:34], null, s20, v0, 0
	s_cmp_ge_u32 ttmp9, s3
	v_dual_mov_b32 v7, v1 :: v_dual_mov_b32 v8, v1
	s_cselect_b32 s3, s0, 64
	s_ashr_i32 s23, s22, 31
	s_cmp_lg_u32 s13, 0x84
	v_cmp_gt_i32_e32 vcc_lo, s3, v0
	s_cselect_b32 s27, -1, 0
	s_cmp_gt_i32 s14, 0
	v_dual_mov_b32 v9, v1 :: v_dual_mov_b32 v10, v1
	v_dual_mov_b32 v11, v1 :: v_dual_mov_b32 v12, v1
	;; [unrolled: 1-line block ×11, first 2 shown]
	v_cmp_gt_i32_e64 s0, s25, v0
	s_cselect_b32 s3, -1, 0
	s_cmp_lg_u32 s12, 0x6f
	v_lshlrev_b32_e32 v0, 2, v0
	v_lshlrev_b64_e32 v[66:67], 2, v[33:34]
	v_mov_b32_e32 v33, v32
	v_mov_b32_e32 v32, v31
	v_dual_mov_b32 v31, v30 :: v_dual_add_nc_u32 v70, v68, v35
	v_mov_b32_e32 v30, v29
	v_mov_b32_e32 v29, v28
	v_mov_b32_e32 v28, v27
	v_mov_b32_e32 v27, v26
	v_mov_b32_e32 v26, v25
	v_mov_b32_e32 v25, v24
	v_mov_b32_e32 v24, v23
	v_mov_b32_e32 v23, v22
	v_mov_b32_e32 v22, v21
	v_mov_b32_e32 v21, v20
	v_mov_b32_e32 v20, v19
	v_mov_b32_e32 v19, v18
	v_mov_b32_e32 v18, v17
	v_mov_b32_e32 v17, v16
	v_mov_b32_e32 v16, v15
	v_mov_b32_e32 v15, v14
	v_mov_b32_e32 v14, v13
	v_mov_b32_e32 v13, v12
	v_mov_b32_e32 v12, v11
	v_mov_b32_e32 v11, v10
	v_mov_b32_e32 v10, v9
	v_mov_b32_e32 v9, v8
	v_mov_b32_e32 v8, v7
	v_mov_b32_e32 v7, v6
	v_mov_b32_e32 v6, v5
	v_mov_b32_e32 v5, v4
	v_mov_b32_e32 v4, v3
	v_mov_b32_e32 v3, v2
	v_mov_b32_e32 v2, v1
	s_mul_u64 s[14:15], s[20:21], s[22:23]
	s_cselect_b32 s28, -1, 0
	s_lshl_b32 s30, s25, 8
	s_wait_alu 0xfffe
	s_and_b32 s29, vcc_lo, s3
	s_lshl_b64 s[12:13], s[18:19], 2
	s_addk_co_i32 s30, 0xff00
	s_lshl_b64 s[6:7], s[6:7], 2
	s_lshl_b64 s[10:11], s[10:11], 2
	;; [unrolled: 1-line block ×3, first 2 shown]
	s_branch .LBB41_3
.LBB41_2:                               ;   in Loop: Header=BB41_3 Depth=1
	s_wait_alu 0xfffe
	s_or_b32 exec_lo, exec_lo, s3
	v_dual_mov_b32 v2, v34 :: v_dual_mov_b32 v3, v35
	v_dual_mov_b32 v4, v36 :: v_dual_mov_b32 v5, v37
	;; [unrolled: 1-line block ×16, first 2 shown]
	s_add_co_i32 s2, s2, 0x10000
	s_wait_alu 0xfffe
	s_cmp_lt_u32 s2, s24
	s_cbranch_scc0 .LBB41_57
.LBB41_3:                               ; =>This Loop Header: Depth=1
                                        ;     Child Loop BB41_5 Depth 2
                                        ;     Child Loop BB41_11 Depth 2
	;; [unrolled: 1-line block ×3, first 2 shown]
                                        ;       Child Loop BB41_17 Depth 3
                                        ;         Child Loop BB41_18 Depth 4
                                        ;         Child Loop BB41_21 Depth 4
                                        ;           Child Loop BB41_22 Depth 5
                                        ;         Child Loop BB41_27 Depth 4
                                        ;           Child Loop BB41_29 Depth 5
                                        ;     Child Loop BB41_35 Depth 2
                                        ;       Child Loop BB41_38 Depth 3
                                        ;         Child Loop BB41_39 Depth 4
                                        ;         Child Loop BB41_41 Depth 4
                                        ;           Child Loop BB41_42 Depth 5
                                        ;         Child Loop BB41_47 Depth 4
                                        ;           Child Loop BB41_49 Depth 5
                                        ;     Child Loop BB41_56 Depth 2
	s_mov_b32 s3, s17
	s_wait_alu 0xfffe
	s_lshl_b64 s[18:19], s[2:3], 3
	s_delay_alu instid0(SALU_CYCLE_1)
	s_add_nc_u64 s[20:21], s[8:9], s[18:19]
	global_load_b64 v[34:35], v1, s[20:21]
	s_and_saveexec_b32 s3, s0
	s_cbranch_execz .LBB41_9
; %bb.4:                                ;   in Loop: Header=BB41_3 Depth=1
	s_add_nc_u64 s[18:19], s[4:5], s[18:19]
	v_mov_b32_e32 v38, v68
	global_load_b64 v[36:37], v1, s[18:19]
	s_mov_b32 s16, s25
	s_wait_loadcnt 0x0
	v_add_co_u32 v36, vcc_lo, v36, s6
	s_wait_alu 0xfffd
	v_add_co_ci_u32_e64 v37, null, s7, v37, vcc_lo
	s_delay_alu instid0(VALU_DEP_2) | instskip(SKIP_1) | instid1(VALU_DEP_2)
	v_add_co_u32 v36, vcc_lo, v36, v0
	s_wait_alu 0xfffd
	v_add_co_ci_u32_e64 v37, null, 0, v37, vcc_lo
.LBB41_5:                               ;   Parent Loop BB41_3 Depth=1
                                        ; =>  This Inner Loop Header: Depth=2
	flat_load_b32 v39, v[36:37]
	v_add_co_u32 v36, vcc_lo, v36, s12
	s_wait_alu 0xfffd
	v_add_co_ci_u32_e64 v37, null, s13, v37, vcc_lo
	s_add_co_i32 s16, s16, -1
	s_delay_alu instid0(SALU_CYCLE_1)
	s_cmp_eq_u32 s16, 0
	s_wait_loadcnt_dscnt 0x0
	ds_store_b32 v38, v39
	v_add_nc_u32_e32 v38, 0x100, v38
	s_cbranch_scc0 .LBB41_5
; %bb.6:                                ;   in Loop: Header=BB41_3 Depth=1
	v_mov_b32_e32 v36, 1.0
	s_and_b32 vcc_lo, exec_lo, s27
	s_wait_alu 0xfffe
	s_cbranch_vccz .LBB41_8
; %bb.7:                                ;   in Loop: Header=BB41_3 Depth=1
	ds_load_b32 v36, v70
	s_wait_dscnt 0x0
	v_div_scale_f32 v37, null, v36, v36, 1.0
	s_delay_alu instid0(VALU_DEP_1) | instskip(NEXT) | instid1(TRANS32_DEP_1)
	v_rcp_f32_e32 v38, v37
	v_fma_f32 v39, -v37, v38, 1.0
	s_delay_alu instid0(VALU_DEP_1) | instskip(SKIP_1) | instid1(VALU_DEP_1)
	v_fmac_f32_e32 v38, v39, v38
	v_div_scale_f32 v39, vcc_lo, 1.0, v36, 1.0
	v_mul_f32_e32 v40, v39, v38
	s_delay_alu instid0(VALU_DEP_1) | instskip(NEXT) | instid1(VALU_DEP_1)
	v_fma_f32 v41, -v37, v40, v39
	v_fmac_f32_e32 v40, v41, v38
	s_delay_alu instid0(VALU_DEP_1) | instskip(SKIP_1) | instid1(VALU_DEP_1)
	v_fma_f32 v37, -v37, v40, v39
	s_wait_alu 0xfffd
	v_div_fmas_f32 v37, v37, v38, v40
	s_delay_alu instid0(VALU_DEP_1)
	v_div_fixup_f32 v36, v37, v36, 1.0
.LBB41_8:                               ;   in Loop: Header=BB41_3 Depth=1
	ds_store_b32 v70, v36
.LBB41_9:                               ;   in Loop: Header=BB41_3 Depth=1
	s_wait_alu 0xfffe
	s_or_b32 exec_lo, exec_lo, s3
	s_wait_loadcnt 0x0
	v_add_co_u32 v34, vcc_lo, v34, s10
	s_wait_alu 0xfffd
	v_add_co_ci_u32_e64 v35, null, s11, v35, vcc_lo
	s_delay_alu instid0(VALU_DEP_2) | instskip(SKIP_1) | instid1(VALU_DEP_2)
	v_add_co_u32 v71, vcc_lo, v34, s14
	s_wait_alu 0xfffd
	v_add_co_ci_u32_e64 v72, null, s15, v35, vcc_lo
	s_and_saveexec_b32 s3, s29
	s_cbranch_execz .LBB41_12
; %bb.10:                               ;   in Loop: Header=BB41_3 Depth=1
	v_add_co_u32 v34, vcc_lo, v71, v66
	s_wait_alu 0xfffd
	v_add_co_ci_u32_e64 v35, null, v72, v67, vcc_lo
	v_mov_b32_e32 v36, v69
	s_mov_b32 s16, s25
.LBB41_11:                              ;   Parent Loop BB41_3 Depth=1
                                        ; =>  This Inner Loop Header: Depth=2
	flat_load_b32 v37, v[34:35]
	v_add_co_u32 v34, vcc_lo, v34, 4
	s_wait_alu 0xfffd
	v_add_co_ci_u32_e64 v35, null, 0, v35, vcc_lo
	s_add_co_i32 s16, s16, -1
	s_delay_alu instid0(SALU_CYCLE_1)
	s_cmp_lg_u32 s16, 0
	s_wait_loadcnt_dscnt 0x0
	v_mul_f32_e32 v37, s1, v37
	ds_store_b32 v36, v37
	v_add_nc_u32_e32 v36, 0x100, v36
	s_cbranch_scc1 .LBB41_11
.LBB41_12:                              ;   in Loop: Header=BB41_3 Depth=1
	s_wait_alu 0xfffe
	s_or_b32 exec_lo, exec_lo, s3
	s_delay_alu instid0(SALU_CYCLE_1)
	s_and_not1_b32 vcc_lo, exec_lo, s28
	s_mov_b32 s3, -1
	s_wait_dscnt 0x0
	s_barrier_signal -1
	s_barrier_wait -1
	global_inv scope:SCOPE_SE
                                        ; implicit-def: $vgpr34_vgpr35_vgpr36_vgpr37_vgpr38_vgpr39_vgpr40_vgpr41_vgpr42_vgpr43_vgpr44_vgpr45_vgpr46_vgpr47_vgpr48_vgpr49_vgpr50_vgpr51_vgpr52_vgpr53_vgpr54_vgpr55_vgpr56_vgpr57_vgpr58_vgpr59_vgpr60_vgpr61_vgpr62_vgpr63_vgpr64_vgpr65
	s_wait_alu 0xfffe
	s_cbranch_vccnz .LBB41_33
; %bb.13:                               ;   in Loop: Header=BB41_3 Depth=1
	v_dual_mov_b32 v65, v33 :: v_dual_mov_b32 v64, v32
	v_dual_mov_b32 v63, v31 :: v_dual_mov_b32 v62, v30
	;; [unrolled: 1-line block ×16, first 2 shown]
	s_mov_b32 s16, 0
	s_delay_alu instid0(SALU_CYCLE_1)
	s_mov_b32 s3, s16
.LBB41_14:                              ;   Parent Loop BB41_3 Depth=1
                                        ; =>  This Loop Header: Depth=2
                                        ;       Child Loop BB41_17 Depth 3
                                        ;         Child Loop BB41_18 Depth 4
                                        ;         Child Loop BB41_21 Depth 4
                                        ;           Child Loop BB41_22 Depth 5
                                        ;         Child Loop BB41_27 Depth 4
                                        ;           Child Loop BB41_29 Depth 5
	s_getpc_b64 s[18:19]
	s_sext_i32_i16 s19, s19
	s_add_co_u32 s18, s18, __const._ZL38rocblas_trsm_small_left_device_sharedBILi64ELi32ELb0EffPKPKfPKPfEv13rocblas_fill_18rocblas_operation_17rocblas_diagonal_iiT3_T4_lilT5_lili.step_sizes@rel32@lo+8
	s_add_co_ci_u32 s19, s19, __const._ZL38rocblas_trsm_small_left_device_sharedBILi64ELi32ELb0EffPKPKfPKPfEv13rocblas_fill_18rocblas_operation_17rocblas_diagonal_iiT3_T4_lilT5_lili.step_sizes@rel32@hi+16
	s_lshl_b64 s[20:21], s[16:17], 2
	s_wait_alu 0xfffe
	s_add_nc_u64 s[18:19], s[18:19], s[20:21]
	s_load_b32 s31, s[18:19], 0x0
	s_wait_kmcnt 0x0
	s_add_co_i32 s33, s31, -1
	s_wait_alu 0xfffe
	s_add_co_i32 s18, s33, s3
	s_delay_alu instid0(SALU_CYCLE_1)
	s_cmp_ge_i32 s18, s25
	s_cbranch_scc1 .LBB41_30
; %bb.15:                               ;   in Loop: Header=BB41_14 Depth=2
	s_lshl_b32 s34, s3, 8
	s_max_i32 s35, s31, 1
	s_wait_alu 0xfffe
	v_add_nc_u32_e32 v73, s34, v69
	s_lshl_b32 s36, s31, 8
	s_mul_i32 s37, s3, 0x104
	s_mul_i32 s38, s31, 0x104
	s_branch .LBB41_17
.LBB41_16:                              ;   in Loop: Header=BB41_17 Depth=3
	s_add_co_i32 s3, s3, s31
	v_add_nc_u32_e32 v73, s36, v73
	s_wait_alu 0xfffe
	s_add_co_i32 s18, s33, s3
	s_add_co_i32 s34, s34, s36
	;; [unrolled: 1-line block ×3, first 2 shown]
	s_cmp_ge_i32 s18, s25
	s_cbranch_scc1 .LBB41_30
.LBB41_17:                              ;   Parent Loop BB41_3 Depth=1
                                        ;     Parent Loop BB41_14 Depth=2
                                        ; =>    This Loop Header: Depth=3
                                        ;         Child Loop BB41_18 Depth 4
                                        ;         Child Loop BB41_21 Depth 4
                                        ;           Child Loop BB41_22 Depth 5
                                        ;         Child Loop BB41_27 Depth 4
                                        ;           Child Loop BB41_29 Depth 5
	v_mov_b32_e32 v74, v73
	s_mov_b64 s[18:19], 0
.LBB41_18:                              ;   Parent Loop BB41_3 Depth=1
                                        ;     Parent Loop BB41_14 Depth=2
                                        ;       Parent Loop BB41_17 Depth=3
                                        ; =>      This Inner Loop Header: Depth=4
	ds_load_b32 v75, v74
	v_add_nc_u32_e32 v74, 0x100, v74
	s_mov_b32 m0, s18
	s_add_nc_u64 s[18:19], s[18:19], 1
	s_delay_alu instid0(SALU_CYCLE_1)
	s_cmp_eq_u32 s35, s18
	s_wait_dscnt 0x0
	v_movreld_b32_e32 v34, v75
	s_cbranch_scc0 .LBB41_18
; %bb.19:                               ;   in Loop: Header=BB41_17 Depth=3
	s_cmp_lt_i32 s3, 1
	s_cbranch_scc1 .LBB41_24
; %bb.20:                               ;   in Loop: Header=BB41_17 Depth=3
	s_mov_b32 s20, 0
	s_wait_alu 0xfffe
	s_mov_b32 s21, s34
.LBB41_21:                              ;   Parent Loop BB41_3 Depth=1
                                        ;     Parent Loop BB41_14 Depth=2
                                        ;       Parent Loop BB41_17 Depth=3
                                        ; =>      This Loop Header: Depth=4
                                        ;           Child Loop BB41_22 Depth 5
	s_wait_alu 0xfffe
	v_lshl_add_u32 v74, s20, 8, v69
	s_mov_b64 s[18:19], 0
	s_mov_b32 s22, s21
	ds_load_b32 v74, v74
.LBB41_22:                              ;   Parent Loop BB41_3 Depth=1
                                        ;     Parent Loop BB41_14 Depth=2
                                        ;       Parent Loop BB41_17 Depth=3
                                        ;         Parent Loop BB41_21 Depth=4
                                        ; =>        This Inner Loop Header: Depth=5
	s_wait_alu 0xfffe
	v_mov_b32_e32 v75, s22
	s_mov_b32 m0, s18
	s_add_nc_u64 s[18:19], s[18:19], 1
	v_movrels_b32_e32 v76, v34
	s_addk_co_i32 s22, 0x100
	ds_load_b32 v75, v75
	s_cmp_eq_u32 s35, s18
	s_wait_dscnt 0x0
	v_fma_f32 v75, -v74, v75, v76
	s_delay_alu instid0(VALU_DEP_1)
	v_movreld_b32_e32 v34, v75
	s_cbranch_scc0 .LBB41_22
; %bb.23:                               ;   in Loop: Header=BB41_21 Depth=4
	s_add_co_i32 s20, s20, 1
	s_add_co_i32 s21, s21, 4
	s_wait_alu 0xfffe
	s_cmp_eq_u32 s20, s3
	s_cbranch_scc0 .LBB41_21
.LBB41_24:                              ;   in Loop: Header=BB41_17 Depth=3
	s_lshl_b32 s39, s3, 8
	s_mov_b64 s[18:19], 0
	s_wait_alu 0xfffe
	s_mov_b32 s40, s37
	s_branch .LBB41_27
.LBB41_25:                              ;   in Loop: Header=BB41_27 Depth=4
	s_mov_b32 s42, s3
	s_mov_b64 s[20:21], 0
	s_mov_b32 s41, s39
.LBB41_26:                              ;   in Loop: Header=BB41_27 Depth=4
	s_wait_alu 0xfffe
	s_mov_b32 m0, s20
	s_mul_i32 s20, s42, 0x104
	v_movrels_b32_e32 v75, v34
	s_wait_alu 0xfffe
	v_mov_b32_e32 v74, s20
	s_add_nc_u64 s[18:19], s[18:19], 1
	s_addk_co_i32 s40, 0x100
	s_cmp_eq_u32 s18, s35
	ds_load_b32 v74, v74
	s_wait_dscnt 0x0
	v_dual_mul_f32 v74, v75, v74 :: v_dual_add_nc_u32 v75, s41, v69
	s_delay_alu instid0(VALU_DEP_1)
	v_movreld_b32_e32 v34, v74
	ds_store_b32 v75, v74
	s_cbranch_scc1 .LBB41_16
.LBB41_27:                              ;   Parent Loop BB41_3 Depth=1
                                        ;     Parent Loop BB41_14 Depth=2
                                        ;       Parent Loop BB41_17 Depth=3
                                        ; =>      This Loop Header: Depth=4
                                        ;           Child Loop BB41_29 Depth 5
	s_cmp_eq_u32 s18, 0
	s_cbranch_scc1 .LBB41_25
; %bb.28:                               ;   in Loop: Header=BB41_27 Depth=4
	s_add_co_i32 s42, s18, s3
	s_mov_b64 s[20:21], s[18:19]
	s_mov_b64 s[22:23], 0
	s_lshl_b32 s41, s42, 8
	s_wait_alu 0xfffe
	s_mov_b32 s21, s40
.LBB41_29:                              ;   Parent Loop BB41_3 Depth=1
                                        ;     Parent Loop BB41_14 Depth=2
                                        ;       Parent Loop BB41_17 Depth=3
                                        ;         Parent Loop BB41_27 Depth=4
                                        ; =>        This Inner Loop Header: Depth=5
	s_wait_alu 0xfffe
	v_mov_b32_e32 v74, s21
	s_mov_b32 m0, s22
	s_add_nc_u64 s[22:23], s[22:23], 1
	v_movrels_b32_e32 v75, v34
	s_mov_b32 m0, s18
	ds_load_b32 v74, v74
	v_movrels_b32_e32 v76, v34
	s_add_co_i32 s21, s21, 4
	s_wait_alu 0xfffe
	s_cmp_eq_u32 s18, s22
	s_wait_dscnt 0x0
	v_fma_f32 v74, -v75, v74, v76
	s_delay_alu instid0(VALU_DEP_1)
	v_movreld_b32_e32 v34, v74
	s_cbranch_scc0 .LBB41_29
	s_branch .LBB41_26
.LBB41_30:                              ;   in Loop: Header=BB41_14 Depth=2
	s_cmp_lt_i32 s3, s25
	s_cselect_b32 s19, -1, 0
	s_add_co_i32 s18, s16, 1
	s_cmp_lt_u32 s16, 2
	s_cselect_b32 s16, -1, 0
	s_delay_alu instid0(SALU_CYCLE_1) | instskip(NEXT) | instid1(SALU_CYCLE_1)
	s_and_b32 s16, s19, s16
	s_and_b32 vcc_lo, exec_lo, s16
	s_wait_alu 0xfffe
	s_cbranch_vccz .LBB41_32
; %bb.31:                               ;   in Loop: Header=BB41_14 Depth=2
	s_mov_b32 s16, s18
	s_branch .LBB41_14
.LBB41_32:                              ;   in Loop: Header=BB41_3 Depth=1
	s_mov_b32 s3, 0
.LBB41_33:                              ;   in Loop: Header=BB41_3 Depth=1
	s_wait_alu 0xfffe
	s_and_b32 vcc_lo, exec_lo, s3
	s_wait_alu 0xfffe
	s_cbranch_vccz .LBB41_54
; %bb.34:                               ;   in Loop: Header=BB41_3 Depth=1
	s_mov_b32 s16, 0
	s_mov_b32 s3, s26
.LBB41_35:                              ;   Parent Loop BB41_3 Depth=1
                                        ; =>  This Loop Header: Depth=2
                                        ;       Child Loop BB41_38 Depth 3
                                        ;         Child Loop BB41_39 Depth 4
                                        ;         Child Loop BB41_41 Depth 4
                                        ;           Child Loop BB41_42 Depth 5
                                        ;         Child Loop BB41_47 Depth 4
                                        ;           Child Loop BB41_49 Depth 5
	s_getpc_b64 s[18:19]
	s_sext_i32_i16 s19, s19
	s_add_co_u32 s18, s18, __const._ZL38rocblas_trsm_small_left_device_sharedBILi64ELi32ELb0EffPKPKfPKPfEv13rocblas_fill_18rocblas_operation_17rocblas_diagonal_iiT3_T4_lilT5_lili.step_sizes@rel32@lo+8
	s_add_co_ci_u32 s19, s19, __const._ZL38rocblas_trsm_small_left_device_sharedBILi64ELi32ELb0EffPKPKfPKPfEv13rocblas_fill_18rocblas_operation_17rocblas_diagonal_iiT3_T4_lilT5_lili.step_sizes@rel32@hi+16
	s_lshl_b64 s[20:21], s[16:17], 2
	s_wait_alu 0xfffe
	s_add_nc_u64 s[18:19], s[18:19], s[20:21]
	s_load_b32 s22, s[18:19], 0x0
	s_wait_kmcnt 0x0
	s_add_co_i32 s23, s22, -1
	s_wait_alu 0xfffe
	s_cmp_lt_i32 s3, s23
	s_cbranch_scc1 .LBB41_51
; %bb.36:                               ;   in Loop: Header=BB41_35 Depth=2
	s_lshl_b32 s18, s22, 8
	v_lshl_add_u32 v34, s3, 8, v69
	s_sub_co_i32 s33, 0, s18
	s_lshl_b32 s18, s3, 2
	s_lshl_b32 s19, s22, 2
	s_max_i32 s31, s22, 1
	s_add_co_i32 s34, s30, s18
	s_sub_co_i32 s35, 0, s19
	s_mul_i32 s36, s3, 0x104
	s_mul_i32 s37, s22, 0xfffffefc
	s_branch .LBB41_38
.LBB41_37:                              ;   in Loop: Header=BB41_38 Depth=3
	v_add_nc_u32_e32 v34, s33, v34
	s_sub_co_i32 s3, s3, s22
	s_add_co_i32 s34, s34, s35
	s_add_co_i32 s36, s36, s37
	s_wait_alu 0xfffe
	s_cmp_lt_i32 s3, s23
	s_cbranch_scc1 .LBB41_51
.LBB41_38:                              ;   Parent Loop BB41_3 Depth=1
                                        ;     Parent Loop BB41_35 Depth=2
                                        ; =>    This Loop Header: Depth=3
                                        ;         Child Loop BB41_39 Depth 4
                                        ;         Child Loop BB41_41 Depth 4
                                        ;           Child Loop BB41_42 Depth 5
                                        ;         Child Loop BB41_47 Depth 4
                                        ;           Child Loop BB41_49 Depth 5
	v_mov_b32_e32 v35, v34
	s_mov_b64 s[18:19], 0
.LBB41_39:                              ;   Parent Loop BB41_3 Depth=1
                                        ;     Parent Loop BB41_35 Depth=2
                                        ;       Parent Loop BB41_38 Depth=3
                                        ; =>      This Inner Loop Header: Depth=4
	ds_load_b32 v36, v35
	v_add_nc_u32_e32 v35, 0xffffff00, v35
	s_mov_b32 m0, s18
	s_add_nc_u64 s[18:19], s[18:19], 1
	s_delay_alu instid0(SALU_CYCLE_1)
	s_cmp_eq_u32 s31, s18
	s_wait_dscnt 0x0
	v_movreld_b32_e32 v2, v36
	s_cbranch_scc0 .LBB41_39
; %bb.40:                               ;   in Loop: Header=BB41_38 Depth=3
	s_cmp_le_i32 s26, s3
	s_wait_alu 0xfffe
	s_mov_b32 s20, s34
	s_mov_b32 s21, s26
	s_cbranch_scc1 .LBB41_44
.LBB41_41:                              ;   Parent Loop BB41_3 Depth=1
                                        ;     Parent Loop BB41_35 Depth=2
                                        ;       Parent Loop BB41_38 Depth=3
                                        ; =>      This Loop Header: Depth=4
                                        ;           Child Loop BB41_42 Depth 5
	s_wait_alu 0xfffe
	v_lshl_add_u32 v35, s21, 8, v69
	s_mov_b64 s[18:19], 0
	s_mov_b32 s38, s20
	ds_load_b32 v35, v35
.LBB41_42:                              ;   Parent Loop BB41_3 Depth=1
                                        ;     Parent Loop BB41_35 Depth=2
                                        ;       Parent Loop BB41_38 Depth=3
                                        ;         Parent Loop BB41_41 Depth=4
                                        ; =>        This Inner Loop Header: Depth=5
	s_wait_alu 0xfffe
	v_mov_b32_e32 v36, s38
	s_mov_b32 m0, s18
	s_add_nc_u64 s[18:19], s[18:19], 1
	v_movrels_b32_e32 v37, v2
	s_add_co_i32 s38, s38, -4
	ds_load_b32 v36, v36
	s_cmp_eq_u32 s31, s18
	s_wait_dscnt 0x0
	v_fma_f32 v36, -v35, v36, v37
	s_delay_alu instid0(VALU_DEP_1)
	v_movreld_b32_e32 v2, v36
	s_cbranch_scc0 .LBB41_42
; %bb.43:                               ;   in Loop: Header=BB41_41 Depth=4
	s_add_co_i32 s21, s21, -1
	s_addk_co_i32 s20, 0xff00
	s_wait_alu 0xfffe
	s_cmp_le_i32 s21, s3
	s_cbranch_scc0 .LBB41_41
.LBB41_44:                              ;   in Loop: Header=BB41_38 Depth=3
	s_mov_b64 s[18:19], 0
	s_mov_b32 s38, s36
	s_branch .LBB41_47
.LBB41_45:                              ;   in Loop: Header=BB41_47 Depth=4
	s_mov_b32 s39, s3
	s_mov_b64 s[20:21], 0
.LBB41_46:                              ;   in Loop: Header=BB41_47 Depth=4
	s_wait_alu 0xfffe
	s_mov_b32 m0, s20
	s_mul_i32 s20, s39, 0x104
	v_movrels_b32_e32 v36, v2
	s_wait_alu 0xfffe
	v_mov_b32_e32 v35, s20
	s_add_nc_u64 s[18:19], s[18:19], 1
	s_add_co_i32 s38, s38, -4
	s_cmp_eq_u32 s18, s31
	ds_load_b32 v35, v35
	s_wait_dscnt 0x0
	v_mul_f32_e32 v35, v36, v35
	v_lshl_add_u32 v36, s39, 8, v69
	s_delay_alu instid0(VALU_DEP_2)
	v_movreld_b32_e32 v2, v35
	ds_store_b32 v36, v35
	s_cbranch_scc1 .LBB41_37
.LBB41_47:                              ;   Parent Loop BB41_3 Depth=1
                                        ;     Parent Loop BB41_35 Depth=2
                                        ;       Parent Loop BB41_38 Depth=3
                                        ; =>      This Loop Header: Depth=4
                                        ;           Child Loop BB41_49 Depth 5
	s_cmp_eq_u32 s18, 0
	s_cbranch_scc1 .LBB41_45
; %bb.48:                               ;   in Loop: Header=BB41_47 Depth=4
	s_sub_co_i32 s39, s3, s18
	s_mov_b64 s[20:21], 0
	s_wait_alu 0xfffe
	s_mov_b32 s40, s38
.LBB41_49:                              ;   Parent Loop BB41_3 Depth=1
                                        ;     Parent Loop BB41_35 Depth=2
                                        ;       Parent Loop BB41_38 Depth=3
                                        ;         Parent Loop BB41_47 Depth=4
                                        ; =>        This Inner Loop Header: Depth=5
	s_wait_alu 0xfffe
	v_mov_b32_e32 v35, s40
	s_mov_b32 m0, s20
	s_add_nc_u64 s[20:21], s[20:21], 1
	v_movrels_b32_e32 v36, v2
	s_mov_b32 m0, s18
	ds_load_b32 v35, v35
	v_movrels_b32_e32 v37, v2
	s_addk_co_i32 s40, 0xff00
	s_wait_alu 0xfffe
	s_cmp_eq_u32 s18, s20
	s_wait_dscnt 0x0
	v_fma_f32 v35, -v36, v35, v37
	s_delay_alu instid0(VALU_DEP_1)
	v_movreld_b32_e32 v2, v35
	s_cbranch_scc0 .LBB41_49
; %bb.50:                               ;   in Loop: Header=BB41_47 Depth=4
	s_mov_b64 s[20:21], s[18:19]
	s_branch .LBB41_46
.LBB41_51:                              ;   in Loop: Header=BB41_35 Depth=2
	s_cmp_gt_i32 s3, -1
	s_cselect_b32 s19, -1, 0
	s_add_co_i32 s18, s16, 1
	s_cmp_lt_u32 s16, 2
	s_cselect_b32 s16, -1, 0
	s_delay_alu instid0(SALU_CYCLE_1) | instskip(NEXT) | instid1(SALU_CYCLE_1)
	s_and_b32 s16, s19, s16
	s_and_not1_b32 vcc_lo, exec_lo, s16
	s_wait_alu 0xfffe
	s_cbranch_vccnz .LBB41_53
; %bb.52:                               ;   in Loop: Header=BB41_35 Depth=2
	s_mov_b32 s16, s18
	s_branch .LBB41_35
.LBB41_53:                              ;   in Loop: Header=BB41_3 Depth=1
	v_dual_mov_b32 v65, v33 :: v_dual_mov_b32 v64, v32
	v_dual_mov_b32 v63, v31 :: v_dual_mov_b32 v62, v30
	;; [unrolled: 1-line block ×16, first 2 shown]
.LBB41_54:                              ;   in Loop: Header=BB41_3 Depth=1
	s_wait_loadcnt_dscnt 0x0
	s_barrier_signal -1
	s_barrier_wait -1
	global_inv scope:SCOPE_SE
	s_and_saveexec_b32 s3, s29
	s_cbranch_execz .LBB41_2
; %bb.55:                               ;   in Loop: Header=BB41_3 Depth=1
	v_add_co_u32 v2, vcc_lo, v71, v66
	s_wait_alu 0xfffd
	v_add_co_ci_u32_e64 v3, null, v72, v67, vcc_lo
	v_mov_b32_e32 v4, v69
	s_mov_b32 s16, s25
.LBB41_56:                              ;   Parent Loop BB41_3 Depth=1
                                        ; =>  This Inner Loop Header: Depth=2
	ds_load_b32 v5, v4
	v_add_nc_u32_e32 v4, 0x100, v4
	s_add_co_i32 s16, s16, -1
	s_delay_alu instid0(SALU_CYCLE_1)
	s_cmp_lg_u32 s16, 0
	s_wait_dscnt 0x0
	flat_store_b32 v[2:3], v5
	v_add_co_u32 v2, vcc_lo, v2, 4
	s_wait_alu 0xfffd
	v_add_co_ci_u32_e64 v3, null, 0, v3, vcc_lo
	s_cbranch_scc1 .LBB41_56
	s_branch .LBB41_2
.LBB41_57:
	s_endpgm
	.section	.rodata,"a",@progbits
	.p2align	6, 0x0
	.amdhsa_kernel _ZL38rocblas_trsm_small_left_device_sharedBILi64ELi32ELb0EffPKPKfPKPfEv13rocblas_fill_18rocblas_operation_17rocblas_diagonal_iiT3_T4_lilT5_lili
		.amdhsa_group_segment_fixed_size 32768
		.amdhsa_private_segment_fixed_size 0
		.amdhsa_kernarg_size 352
		.amdhsa_user_sgpr_count 2
		.amdhsa_user_sgpr_dispatch_ptr 0
		.amdhsa_user_sgpr_queue_ptr 0
		.amdhsa_user_sgpr_kernarg_segment_ptr 1
		.amdhsa_user_sgpr_dispatch_id 0
		.amdhsa_user_sgpr_private_segment_size 0
		.amdhsa_wavefront_size32 1
		.amdhsa_uses_dynamic_stack 0
		.amdhsa_enable_private_segment 0
		.amdhsa_system_sgpr_workgroup_id_x 1
		.amdhsa_system_sgpr_workgroup_id_y 0
		.amdhsa_system_sgpr_workgroup_id_z 1
		.amdhsa_system_sgpr_workgroup_info 0
		.amdhsa_system_vgpr_workitem_id 0
		.amdhsa_next_free_vgpr 241
		.amdhsa_next_free_sgpr 43
		.amdhsa_reserve_vcc 1
		.amdhsa_float_round_mode_32 0
		.amdhsa_float_round_mode_16_64 0
		.amdhsa_float_denorm_mode_32 3
		.amdhsa_float_denorm_mode_16_64 3
		.amdhsa_fp16_overflow 0
		.amdhsa_workgroup_processor_mode 1
		.amdhsa_memory_ordered 1
		.amdhsa_forward_progress 1
		.amdhsa_inst_pref_size 22
		.amdhsa_round_robin_scheduling 0
		.amdhsa_exception_fp_ieee_invalid_op 0
		.amdhsa_exception_fp_denorm_src 0
		.amdhsa_exception_fp_ieee_div_zero 0
		.amdhsa_exception_fp_ieee_overflow 0
		.amdhsa_exception_fp_ieee_underflow 0
		.amdhsa_exception_fp_ieee_inexact 0
		.amdhsa_exception_int_div_zero 0
	.end_amdhsa_kernel
	.section	.text._ZL38rocblas_trsm_small_left_device_sharedBILi64ELi32ELb0EffPKPKfPKPfEv13rocblas_fill_18rocblas_operation_17rocblas_diagonal_iiT3_T4_lilT5_lili,"axG",@progbits,_ZL38rocblas_trsm_small_left_device_sharedBILi64ELi32ELb0EffPKPKfPKPfEv13rocblas_fill_18rocblas_operation_17rocblas_diagonal_iiT3_T4_lilT5_lili,comdat
.Lfunc_end41:
	.size	_ZL38rocblas_trsm_small_left_device_sharedBILi64ELi32ELb0EffPKPKfPKPfEv13rocblas_fill_18rocblas_operation_17rocblas_diagonal_iiT3_T4_lilT5_lili, .Lfunc_end41-_ZL38rocblas_trsm_small_left_device_sharedBILi64ELi32ELb0EffPKPKfPKPfEv13rocblas_fill_18rocblas_operation_17rocblas_diagonal_iiT3_T4_lilT5_lili
                                        ; -- End function
	.set _ZL38rocblas_trsm_small_left_device_sharedBILi64ELi32ELb0EffPKPKfPKPfEv13rocblas_fill_18rocblas_operation_17rocblas_diagonal_iiT3_T4_lilT5_lili.num_vgpr, 77
	.set _ZL38rocblas_trsm_small_left_device_sharedBILi64ELi32ELb0EffPKPKfPKPfEv13rocblas_fill_18rocblas_operation_17rocblas_diagonal_iiT3_T4_lilT5_lili.num_agpr, 0
	.set _ZL38rocblas_trsm_small_left_device_sharedBILi64ELi32ELb0EffPKPKfPKPfEv13rocblas_fill_18rocblas_operation_17rocblas_diagonal_iiT3_T4_lilT5_lili.numbered_sgpr, 43
	.set _ZL38rocblas_trsm_small_left_device_sharedBILi64ELi32ELb0EffPKPKfPKPfEv13rocblas_fill_18rocblas_operation_17rocblas_diagonal_iiT3_T4_lilT5_lili.num_named_barrier, 0
	.set _ZL38rocblas_trsm_small_left_device_sharedBILi64ELi32ELb0EffPKPKfPKPfEv13rocblas_fill_18rocblas_operation_17rocblas_diagonal_iiT3_T4_lilT5_lili.private_seg_size, 0
	.set _ZL38rocblas_trsm_small_left_device_sharedBILi64ELi32ELb0EffPKPKfPKPfEv13rocblas_fill_18rocblas_operation_17rocblas_diagonal_iiT3_T4_lilT5_lili.uses_vcc, 1
	.set _ZL38rocblas_trsm_small_left_device_sharedBILi64ELi32ELb0EffPKPKfPKPfEv13rocblas_fill_18rocblas_operation_17rocblas_diagonal_iiT3_T4_lilT5_lili.uses_flat_scratch, 0
	.set _ZL38rocblas_trsm_small_left_device_sharedBILi64ELi32ELb0EffPKPKfPKPfEv13rocblas_fill_18rocblas_operation_17rocblas_diagonal_iiT3_T4_lilT5_lili.has_dyn_sized_stack, 0
	.set _ZL38rocblas_trsm_small_left_device_sharedBILi64ELi32ELb0EffPKPKfPKPfEv13rocblas_fill_18rocblas_operation_17rocblas_diagonal_iiT3_T4_lilT5_lili.has_recursion, 0
	.set _ZL38rocblas_trsm_small_left_device_sharedBILi64ELi32ELb0EffPKPKfPKPfEv13rocblas_fill_18rocblas_operation_17rocblas_diagonal_iiT3_T4_lilT5_lili.has_indirect_call, 0
	.section	.AMDGPU.csdata,"",@progbits
; Kernel info:
; codeLenInByte = 2804
; TotalNumSgprs: 45
; NumVgprs: 77
; ScratchSize: 0
; MemoryBound: 0
; FloatMode: 240
; IeeeMode: 1
; LDSByteSize: 32768 bytes/workgroup (compile time only)
; SGPRBlocks: 0
; VGPRBlocks: 30
; NumSGPRsForWavesPerEU: 45
; NumVGPRsForWavesPerEU: 241
; Occupancy: 2
; WaveLimiterHint : 0
; COMPUTE_PGM_RSRC2:SCRATCH_EN: 0
; COMPUTE_PGM_RSRC2:USER_SGPR: 2
; COMPUTE_PGM_RSRC2:TRAP_HANDLER: 0
; COMPUTE_PGM_RSRC2:TGID_X_EN: 1
; COMPUTE_PGM_RSRC2:TGID_Y_EN: 0
; COMPUTE_PGM_RSRC2:TGID_Z_EN: 1
; COMPUTE_PGM_RSRC2:TIDIG_COMP_CNT: 0
	.section	.text._ZL30rocblas_trsm_small_left_deviceILi64ELi32ELb0EffPKPKfPKPfEv13rocblas_fill_18rocblas_operation_17rocblas_diagonal_iiT3_T4_lilT5_lili,"axG",@progbits,_ZL30rocblas_trsm_small_left_deviceILi64ELi32ELb0EffPKPKfPKPfEv13rocblas_fill_18rocblas_operation_17rocblas_diagonal_iiT3_T4_lilT5_lili,comdat
	.globl	_ZL30rocblas_trsm_small_left_deviceILi64ELi32ELb0EffPKPKfPKPfEv13rocblas_fill_18rocblas_operation_17rocblas_diagonal_iiT3_T4_lilT5_lili ; -- Begin function _ZL30rocblas_trsm_small_left_deviceILi64ELi32ELb0EffPKPKfPKPfEv13rocblas_fill_18rocblas_operation_17rocblas_diagonal_iiT3_T4_lilT5_lili
	.p2align	8
	.type	_ZL30rocblas_trsm_small_left_deviceILi64ELi32ELb0EffPKPKfPKPfEv13rocblas_fill_18rocblas_operation_17rocblas_diagonal_iiT3_T4_lilT5_lili,@function
_ZL30rocblas_trsm_small_left_deviceILi64ELi32ELb0EffPKPKfPKPfEv13rocblas_fill_18rocblas_operation_17rocblas_diagonal_iiT3_T4_lilT5_lili: ; @_ZL30rocblas_trsm_small_left_deviceILi64ELi32ELb0EffPKPKfPKPfEv13rocblas_fill_18rocblas_operation_17rocblas_diagonal_iiT3_T4_lilT5_lili
; %bb.0:
	s_load_b32 s33, s[0:1], 0x58
	s_lshr_b32 s2, ttmp7, 16
	s_wait_kmcnt 0x0
	s_cmp_ge_u32 s2, s33
	s_cbranch_scc1 .LBB42_53
; %bb.1:
	s_clause 0x6
	s_load_b32 s16, s[0:1], 0x28
	s_load_b128 s[12:15], s[0:1], 0x4
	s_load_b32 s3, s[0:1], 0x60
	s_load_b32 s18, s[0:1], 0x48
	s_load_b128 s[4:7], s[0:1], 0x18
	s_load_b128 s[8:11], s[0:1], 0x38
	s_load_b32 s34, s[0:1], 0x14
	s_lshl_b32 s0, ttmp9, 6
	v_dual_mov_b32 v1, 0 :: v_dual_lshlrev_b32 v74, 2, v0
	v_or_b32_e32 v2, s0, v0
	v_lshlrev_b32_e32 v33, 8, v0
	s_mov_b32 s40, 0
	s_delay_alu instid0(VALU_DEP_3)
	v_dual_mov_b32 v31, v1 :: v_dual_mov_b32 v32, v1
	v_dual_mov_b32 v5, v1 :: v_dual_mov_b32 v6, v1
	;; [unrolled: 1-line block ×3, first 2 shown]
	s_wait_kmcnt 0x0
	s_ashr_i32 s17, s16, 31
	s_min_i32 s35, s14, 64
	s_add_co_i32 s3, s3, -1
	v_mad_co_i64_i32 v[2:3], null, s18, v2, 0
	s_sub_co_i32 s0, s15, s0
	s_add_co_i32 s36, s35, -1
	s_wait_alu 0xfffe
	s_cmp_ge_u32 ttmp9, s3
	v_dual_mov_b32 v9, v1 :: v_dual_mov_b32 v10, v1
	s_cselect_b32 s1, s0, 64
	s_cmp_lg_u32 s13, 0x84
	v_lshlrev_b64_e32 v[66:67], 2, v[2:3]
	s_cselect_b32 s37, -1, 0
	s_cmp_lg_u32 s12, 0x6f
	v_mov_b32_e32 v2, v1
	s_cselect_b32 s38, -1, 0
	s_lshl_b64 s[10:11], s[10:11], 2
	v_dual_mov_b32 v3, v1 :: v_dual_mov_b32 v4, v1
	v_dual_mov_b32 v11, v1 :: v_dual_mov_b32 v12, v1
	;; [unrolled: 1-line block ×11, first 2 shown]
	v_add_co_u32 v75, vcc_lo, v66, s10
	v_cmp_gt_i32_e64 s0, s35, v0
	s_wait_alu 0xfffe
	v_cmp_gt_i32_e64 s1, s1, v0
	v_lshlrev_b32_e32 v0, 2, v0
	v_add_nc_u32_e32 v77, v74, v33
	v_mov_b32_e32 v33, v32
	v_add_co_ci_u32_e64 v76, null, s11, v67, vcc_lo
	v_mov_b32_e32 v32, v31
	v_mov_b32_e32 v31, v30
	;; [unrolled: 1-line block ×31, first 2 shown]
	s_lshl_b32 s39, s35, 8
	s_lshl_b64 s[12:13], s[16:17], 2
	s_addk_co_i32 s39, 0xff00
	s_mov_b32 s15, 0
	s_lshl_b64 s[6:7], s[6:7], 2
	s_branch .LBB42_5
.LBB42_2:                               ;   in Loop: Header=BB42_5 Depth=1
	v_dual_mov_b32 v65, v33 :: v_dual_mov_b32 v64, v32
	v_dual_mov_b32 v63, v31 :: v_dual_mov_b32 v62, v30
	;; [unrolled: 1-line block ×16, first 2 shown]
.LBB42_3:                               ;   in Loop: Header=BB42_5 Depth=1
	s_add_co_i32 s2, s2, 0x10000
	s_delay_alu instid0(SALU_CYCLE_1) | instskip(SKIP_1) | instid1(SALU_CYCLE_1)
	s_cmp_ge_u32 s2, s33
	s_cselect_b32 s14, -1, 0
	s_or_not1_b32 s14, s14, exec_lo
.LBB42_4:                               ;   in Loop: Header=BB42_5 Depth=1
	s_or_b32 exec_lo, exec_lo, s3
	v_dual_mov_b32 v2, v34 :: v_dual_mov_b32 v3, v35
	v_dual_mov_b32 v4, v36 :: v_dual_mov_b32 v5, v37
	;; [unrolled: 1-line block ×16, first 2 shown]
	s_and_b32 s3, exec_lo, s14
	s_delay_alu instid0(SALU_CYCLE_1) | instskip(NEXT) | instid1(SALU_CYCLE_1)
	s_or_b32 s40, s3, s40
	s_and_not1_b32 exec_lo, exec_lo, s40
	s_cbranch_execz .LBB42_53
.LBB42_5:                               ; =>This Loop Header: Depth=1
                                        ;     Child Loop BB42_7 Depth 2
                                        ;     Child Loop BB42_14 Depth 2
                                        ;       Child Loop BB42_17 Depth 3
                                        ;         Child Loop BB42_18 Depth 4
                                        ;         Child Loop BB42_21 Depth 4
                                        ;           Child Loop BB42_22 Depth 5
                                        ;         Child Loop BB42_27 Depth 4
                                        ;           Child Loop BB42_29 Depth 5
                                        ;     Child Loop BB42_35 Depth 2
                                        ;       Child Loop BB42_38 Depth 3
                                        ;         Child Loop BB42_39 Depth 4
                                        ;         Child Loop BB42_41 Depth 4
                                        ;           Child Loop BB42_42 Depth 5
                                        ;         Child Loop BB42_47 Depth 4
                                        ;           Child Loop BB42_49 Depth 5
	s_mov_b32 s3, s15
	s_delay_alu instid0(SALU_CYCLE_1) | instskip(NEXT) | instid1(SALU_CYCLE_1)
	s_lshl_b64 s[16:17], s[2:3], 3
	s_add_nc_u64 s[18:19], s[8:9], s[16:17]
	global_load_b64 v[68:69], v1, s[18:19]
	s_and_saveexec_b32 s3, s0
	s_cbranch_execz .LBB42_11
; %bb.6:                                ;   in Loop: Header=BB42_5 Depth=1
	s_add_nc_u64 s[16:17], s[4:5], s[16:17]
	v_mov_b32_e32 v36, v74
	global_load_b64 v[34:35], v1, s[16:17]
	s_mov_b32 s14, s35
	s_wait_loadcnt 0x0
	v_add_co_u32 v34, vcc_lo, v34, s6
	s_wait_alu 0xfffd
	v_add_co_ci_u32_e64 v35, null, s7, v35, vcc_lo
	s_delay_alu instid0(VALU_DEP_2) | instskip(SKIP_1) | instid1(VALU_DEP_2)
	v_add_co_u32 v34, vcc_lo, v34, v0
	s_wait_alu 0xfffd
	v_add_co_ci_u32_e64 v35, null, 0, v35, vcc_lo
.LBB42_7:                               ;   Parent Loop BB42_5 Depth=1
                                        ; =>  This Inner Loop Header: Depth=2
	flat_load_b32 v37, v[34:35]
	v_add_co_u32 v34, vcc_lo, v34, s12
	s_wait_alu 0xfffd
	v_add_co_ci_u32_e64 v35, null, s13, v35, vcc_lo
	s_add_co_i32 s14, s14, -1
	s_delay_alu instid0(SALU_CYCLE_1)
	s_cmp_eq_u32 s14, 0
	s_wait_loadcnt_dscnt 0x0
	ds_store_b32 v36, v37
	v_add_nc_u32_e32 v36, 0x100, v36
	s_cbranch_scc0 .LBB42_7
; %bb.8:                                ;   in Loop: Header=BB42_5 Depth=1
	v_mov_b32_e32 v34, 1.0
	s_and_b32 vcc_lo, exec_lo, s37
	s_wait_alu 0xfffe
	s_cbranch_vccz .LBB42_10
; %bb.9:                                ;   in Loop: Header=BB42_5 Depth=1
	ds_load_b32 v34, v77
	s_wait_dscnt 0x0
	v_div_scale_f32 v35, null, v34, v34, 1.0
	s_delay_alu instid0(VALU_DEP_1) | instskip(NEXT) | instid1(TRANS32_DEP_1)
	v_rcp_f32_e32 v36, v35
	v_fma_f32 v37, -v35, v36, 1.0
	s_delay_alu instid0(VALU_DEP_1) | instskip(SKIP_1) | instid1(VALU_DEP_1)
	v_fmac_f32_e32 v36, v37, v36
	v_div_scale_f32 v37, vcc_lo, 1.0, v34, 1.0
	v_mul_f32_e32 v38, v37, v36
	s_delay_alu instid0(VALU_DEP_1) | instskip(NEXT) | instid1(VALU_DEP_1)
	v_fma_f32 v39, -v35, v38, v37
	v_fmac_f32_e32 v38, v39, v36
	s_delay_alu instid0(VALU_DEP_1) | instskip(SKIP_1) | instid1(VALU_DEP_1)
	v_fma_f32 v35, -v35, v38, v37
	s_wait_alu 0xfffd
	v_div_fmas_f32 v35, v35, v36, v38
	s_delay_alu instid0(VALU_DEP_1)
	v_div_fixup_f32 v34, v35, v34, 1.0
.LBB42_10:                              ;   in Loop: Header=BB42_5 Depth=1
	ds_store_b32 v77, v34
.LBB42_11:                              ;   in Loop: Header=BB42_5 Depth=1
	s_or_b32 exec_lo, exec_lo, s3
	s_mov_b32 s14, -1
	s_wait_loadcnt_dscnt 0x0
	s_barrier_signal -1
	s_barrier_wait -1
	global_inv scope:SCOPE_SE
                                        ; implicit-def: $vgpr34_vgpr35_vgpr36_vgpr37_vgpr38_vgpr39_vgpr40_vgpr41_vgpr42_vgpr43_vgpr44_vgpr45_vgpr46_vgpr47_vgpr48_vgpr49_vgpr50_vgpr51_vgpr52_vgpr53_vgpr54_vgpr55_vgpr56_vgpr57_vgpr58_vgpr59_vgpr60_vgpr61_vgpr62_vgpr63_vgpr64_vgpr65
	s_and_saveexec_b32 s3, s1
	s_cbranch_execz .LBB42_4
; %bb.12:                               ;   in Loop: Header=BB42_5 Depth=1
	v_add_co_u32 v34, vcc_lo, v68, s10
	s_wait_alu 0xfffd
	v_add_co_ci_u32_e64 v35, null, s11, v69, vcc_lo
	s_delay_alu instid0(VALU_DEP_2) | instskip(SKIP_1) | instid1(VALU_DEP_2)
	v_add_co_u32 v78, vcc_lo, v34, v66
	s_wait_alu 0xfffd
	v_add_co_ci_u32_e64 v79, null, v35, v67, vcc_lo
	s_and_not1_b32 vcc_lo, exec_lo, s38
                                        ; implicit-def: $vgpr34_vgpr35_vgpr36_vgpr37_vgpr38_vgpr39_vgpr40_vgpr41_vgpr42_vgpr43_vgpr44_vgpr45_vgpr46_vgpr47_vgpr48_vgpr49_vgpr50_vgpr51_vgpr52_vgpr53_vgpr54_vgpr55_vgpr56_vgpr57_vgpr58_vgpr59_vgpr60_vgpr61_vgpr62_vgpr63_vgpr64_vgpr65
	s_wait_alu 0xfffe
	s_cbranch_vccnz .LBB42_33
; %bb.13:                               ;   in Loop: Header=BB42_5 Depth=1
	v_add_co_u32 v80, vcc_lo, v68, v75
	v_dual_mov_b32 v65, v33 :: v_dual_mov_b32 v64, v32
	v_dual_mov_b32 v63, v31 :: v_dual_mov_b32 v62, v30
	;; [unrolled: 1-line block ×16, first 2 shown]
	s_wait_alu 0xfffd
	v_add_co_ci_u32_e64 v81, null, v69, v76, vcc_lo
	s_mov_b32 s18, 0
	s_mov_b32 s16, 0
.LBB42_14:                              ;   Parent Loop BB42_5 Depth=1
                                        ; =>  This Loop Header: Depth=2
                                        ;       Child Loop BB42_17 Depth 3
                                        ;         Child Loop BB42_18 Depth 4
                                        ;         Child Loop BB42_21 Depth 4
                                        ;           Child Loop BB42_22 Depth 5
                                        ;         Child Loop BB42_27 Depth 4
                                        ;           Child Loop BB42_29 Depth 5
	s_mov_b32 s19, s15
	s_getpc_b64 s[20:21]
	s_wait_alu 0xfffe
	s_sext_i32_i16 s21, s21
	s_add_co_u32 s20, s20, __const._ZL30rocblas_trsm_small_left_deviceILi64ELi32ELb0EffPKPKfPKPfEv13rocblas_fill_18rocblas_operation_17rocblas_diagonal_iiT3_T4_lilT5_lili.step_sizes@rel32@lo+12
	s_wait_alu 0xfffe
	s_add_co_ci_u32 s21, s21, __const._ZL30rocblas_trsm_small_left_deviceILi64ELi32ELb0EffPKPKfPKPfEv13rocblas_fill_18rocblas_operation_17rocblas_diagonal_iiT3_T4_lilT5_lili.step_sizes@rel32@hi+24
	s_lshl_b64 s[22:23], s[18:19], 2
	s_wait_alu 0xfffe
	s_add_nc_u64 s[20:21], s[20:21], s[22:23]
	s_load_b32 s20, s[20:21], 0x0
	s_wait_kmcnt 0x0
	s_add_co_i32 s19, s20, -1
	s_wait_alu 0xfffe
	s_add_co_i32 s14, s19, s16
	s_delay_alu instid0(SALU_CYCLE_1)
	s_cmp_ge_i32 s14, s35
	s_cbranch_scc1 .LBB42_30
; %bb.15:                               ;   in Loop: Header=BB42_14 Depth=2
	s_ashr_i32 s17, s16, 31
	s_ashr_i32 s21, s20, 31
	s_lshl_b64 s[22:23], s[16:17], 2
	s_max_i32 s41, s20, 1
	s_wait_alu 0xfffe
	v_add_co_u32 v70, vcc_lo, v80, s22
	s_wait_alu 0xfffd
	v_add_co_ci_u32_e64 v71, null, s23, v81, vcc_lo
	s_lshl_b64 s[22:23], s[20:21], 2
	s_lshl_b32 s17, s16, 8
	s_lshl_b32 s21, s20, 8
	s_mul_i32 s42, s16, 0x104
	s_mul_i32 s43, s20, 0x104
	s_branch .LBB42_17
.LBB42_16:                              ;   in Loop: Header=BB42_17 Depth=3
	v_add_co_u32 v70, vcc_lo, v70, s22
	s_add_co_i32 s16, s16, s20
	s_wait_alu 0xfffd
	v_add_co_ci_u32_e64 v71, null, s23, v71, vcc_lo
	s_add_co_i32 s14, s19, s16
	s_add_co_i32 s17, s17, s21
	;; [unrolled: 1-line block ×3, first 2 shown]
	s_cmp_ge_i32 s14, s35
	s_cbranch_scc1 .LBB42_30
.LBB42_17:                              ;   Parent Loop BB42_5 Depth=1
                                        ;     Parent Loop BB42_14 Depth=2
                                        ; =>    This Loop Header: Depth=3
                                        ;         Child Loop BB42_18 Depth 4
                                        ;         Child Loop BB42_21 Depth 4
                                        ;           Child Loop BB42_22 Depth 5
                                        ;         Child Loop BB42_27 Depth 4
                                        ;           Child Loop BB42_29 Depth 5
	v_dual_mov_b32 v73, v71 :: v_dual_mov_b32 v72, v70
	s_mov_b64 s[24:25], 0
.LBB42_18:                              ;   Parent Loop BB42_5 Depth=1
                                        ;     Parent Loop BB42_14 Depth=2
                                        ;       Parent Loop BB42_17 Depth=3
                                        ; =>      This Inner Loop Header: Depth=4
	flat_load_b32 v82, v[72:73]
	v_add_co_u32 v72, vcc_lo, v72, 4
	s_wait_alu 0xfffd
	v_add_co_ci_u32_e64 v73, null, 0, v73, vcc_lo
	s_wait_alu 0xfffe
	s_mov_b32 m0, s24
	s_add_nc_u64 s[24:25], s[24:25], 1
	s_wait_alu 0xfffe
	s_cmp_eq_u32 s41, s24
	s_wait_loadcnt_dscnt 0x0
	v_mul_f32_e32 v82, s34, v82
	s_delay_alu instid0(VALU_DEP_1)
	v_movreld_b32_e32 v34, v82
	s_cbranch_scc0 .LBB42_18
; %bb.19:                               ;   in Loop: Header=BB42_17 Depth=3
	s_cmp_lt_i32 s16, 1
	s_cbranch_scc1 .LBB42_24
; %bb.20:                               ;   in Loop: Header=BB42_17 Depth=3
	s_mov_b32 s14, 0
	s_mov_b32 s26, s17
.LBB42_21:                              ;   Parent Loop BB42_5 Depth=1
                                        ;     Parent Loop BB42_14 Depth=2
                                        ;       Parent Loop BB42_17 Depth=3
                                        ; =>      This Loop Header: Depth=4
                                        ;           Child Loop BB42_22 Depth 5
	s_lshl_b64 s[24:25], s[14:15], 2
	s_wait_alu 0xfffe
	s_mov_b32 s27, s26
	v_add_co_u32 v72, vcc_lo, v78, s24
	s_wait_alu 0xfffd
	v_add_co_ci_u32_e64 v73, null, s25, v79, vcc_lo
	s_mov_b64 s[24:25], 0
	flat_load_b32 v72, v[72:73]
.LBB42_22:                              ;   Parent Loop BB42_5 Depth=1
                                        ;     Parent Loop BB42_14 Depth=2
                                        ;       Parent Loop BB42_17 Depth=3
                                        ;         Parent Loop BB42_21 Depth=4
                                        ; =>        This Inner Loop Header: Depth=5
	s_wait_alu 0xfffe
	v_mov_b32_e32 v73, s27
	s_mov_b32 m0, s24
	s_add_nc_u64 s[24:25], s[24:25], 1
	v_movrels_b32_e32 v82, v34
	s_addk_co_i32 s27, 0x100
	ds_load_b32 v73, v73
	s_wait_alu 0xfffe
	s_cmp_eq_u32 s41, s24
	s_wait_loadcnt_dscnt 0x0
	v_fma_f32 v73, -v72, v73, v82
	s_delay_alu instid0(VALU_DEP_1)
	v_movreld_b32_e32 v34, v73
	s_cbranch_scc0 .LBB42_22
; %bb.23:                               ;   in Loop: Header=BB42_21 Depth=4
	s_add_co_i32 s14, s14, 1
	s_add_co_i32 s26, s26, 4
	s_cmp_eq_u32 s14, s16
	s_cbranch_scc0 .LBB42_21
.LBB42_24:                              ;   in Loop: Header=BB42_17 Depth=3
	s_mov_b64 s[24:25], 0
	s_mov_b32 s14, s42
	s_branch .LBB42_27
.LBB42_25:                              ;   in Loop: Header=BB42_27 Depth=4
	s_mov_b32 s26, s16
	s_mov_b64 s[28:29], 0
.LBB42_26:                              ;   in Loop: Header=BB42_27 Depth=4
	s_wait_alu 0xfffe
	s_mul_i32 s27, s26, 0x104
	s_mov_b32 m0, s28
	s_wait_alu 0xfffe
	v_mov_b32_e32 v72, s27
	v_movrels_b32_e32 v73, v34
	s_ashr_i32 s27, s26, 31
	s_add_nc_u64 s[24:25], s[24:25], 1
	s_wait_alu 0xfffe
	s_lshl_b64 s[26:27], s[26:27], 2
	ds_load_b32 v72, v72
	s_addk_co_i32 s14, 0x100
	s_cmp_eq_u32 s24, s41
	s_wait_dscnt 0x0
	v_mul_f32_e32 v82, v73, v72
	s_wait_alu 0xfffe
	v_add_co_u32 v72, vcc_lo, v78, s26
	s_wait_alu 0xfffd
	v_add_co_ci_u32_e64 v73, null, s27, v79, vcc_lo
	v_movreld_b32_e32 v34, v82
	flat_store_b32 v[72:73], v82
	s_cbranch_scc1 .LBB42_16
.LBB42_27:                              ;   Parent Loop BB42_5 Depth=1
                                        ;     Parent Loop BB42_14 Depth=2
                                        ;       Parent Loop BB42_17 Depth=3
                                        ; =>      This Loop Header: Depth=4
                                        ;           Child Loop BB42_29 Depth 5
	s_wait_alu 0xfffe
	s_cmp_eq_u32 s24, 0
	s_cbranch_scc1 .LBB42_25
; %bb.28:                               ;   in Loop: Header=BB42_27 Depth=4
	s_add_co_i32 s26, s24, s16
	s_mov_b64 s[30:31], 0
	s_mov_b64 s[28:29], s[24:25]
	s_mov_b32 s27, s14
.LBB42_29:                              ;   Parent Loop BB42_5 Depth=1
                                        ;     Parent Loop BB42_14 Depth=2
                                        ;       Parent Loop BB42_17 Depth=3
                                        ;         Parent Loop BB42_27 Depth=4
                                        ; =>        This Inner Loop Header: Depth=5
	s_wait_alu 0xfffe
	v_mov_b32_e32 v72, s27
	s_mov_b32 m0, s30
	s_add_nc_u64 s[30:31], s[30:31], 1
	v_movrels_b32_e32 v73, v34
	s_mov_b32 m0, s24
	ds_load_b32 v72, v72
	v_movrels_b32_e32 v82, v34
	s_add_co_i32 s27, s27, 4
	s_cmp_eq_u32 s24, s30
	s_wait_dscnt 0x0
	s_delay_alu instid0(VALU_DEP_1) | instskip(NEXT) | instid1(VALU_DEP_1)
	v_fma_f32 v72, -v73, v72, v82
	v_movreld_b32_e32 v34, v72
	s_cbranch_scc0 .LBB42_29
	s_branch .LBB42_26
.LBB42_30:                              ;   in Loop: Header=BB42_14 Depth=2
	s_cmp_lt_i32 s16, s35
	s_cselect_b32 s17, -1, 0
	s_add_co_i32 s14, s18, 1
	s_cmp_lt_u32 s18, 2
	s_cselect_b32 s18, -1, 0
	s_wait_alu 0xfffe
	s_and_b32 s17, s17, s18
	s_delay_alu instid0(SALU_CYCLE_1)
	s_and_b32 vcc_lo, exec_lo, s17
	s_wait_alu 0xfffe
	s_cbranch_vccz .LBB42_32
; %bb.31:                               ;   in Loop: Header=BB42_14 Depth=2
	s_mov_b32 s18, s14
	s_branch .LBB42_14
.LBB42_32:                              ;   in Loop: Header=BB42_5 Depth=1
	s_mov_b32 s14, 0
.LBB42_33:                              ;   in Loop: Header=BB42_5 Depth=1
	s_delay_alu instid0(SALU_CYCLE_1)
	s_and_b32 vcc_lo, exec_lo, s14
	s_wait_alu 0xfffe
	s_cbranch_vccz .LBB42_3
; %bb.34:                               ;   in Loop: Header=BB42_5 Depth=1
	v_add_co_u32 v36, vcc_lo, v68, v75
	s_wait_alu 0xfffd
	v_add_co_ci_u32_e64 v37, null, v69, v76, vcc_lo
	s_mov_b32 s14, 0
	s_mov_b32 s16, s36
.LBB42_35:                              ;   Parent Loop BB42_5 Depth=1
                                        ; =>  This Loop Header: Depth=2
                                        ;       Child Loop BB42_38 Depth 3
                                        ;         Child Loop BB42_39 Depth 4
                                        ;         Child Loop BB42_41 Depth 4
                                        ;           Child Loop BB42_42 Depth 5
                                        ;         Child Loop BB42_47 Depth 4
                                        ;           Child Loop BB42_49 Depth 5
	s_getpc_b64 s[18:19]
	s_wait_alu 0xfffe
	s_sext_i32_i16 s19, s19
	s_add_co_u32 s18, s18, __const._ZL30rocblas_trsm_small_left_deviceILi64ELi32ELb0EffPKPKfPKPfEv13rocblas_fill_18rocblas_operation_17rocblas_diagonal_iiT3_T4_lilT5_lili.step_sizes@rel32@lo+12
	s_wait_alu 0xfffe
	s_add_co_ci_u32 s19, s19, __const._ZL30rocblas_trsm_small_left_deviceILi64ELi32ELb0EffPKPKfPKPfEv13rocblas_fill_18rocblas_operation_17rocblas_diagonal_iiT3_T4_lilT5_lili.step_sizes@rel32@hi+24
	s_lshl_b64 s[20:21], s[14:15], 2
	s_wait_alu 0xfffe
	s_add_nc_u64 s[18:19], s[18:19], s[20:21]
	s_load_b32 s26, s[18:19], 0x0
	s_wait_kmcnt 0x0
	s_add_co_i32 s27, s26, -1
	s_wait_alu 0xfffe
	s_cmp_lt_i32 s16, s27
	s_cbranch_scc1 .LBB42_51
; %bb.36:                               ;   in Loop: Header=BB42_35 Depth=2
	s_lshl_b32 s17, s16, 2
	s_lshl_b32 s18, s26, 2
	s_max_i32 s28, s26, 1
	s_add_co_i32 s29, s39, s17
	s_wait_alu 0xfffe
	s_sub_co_i32 s30, 0, s18
	s_mul_i32 s31, s16, 0x104
	s_mul_i32 s41, s26, 0xfffffefc
	s_branch .LBB42_38
.LBB42_37:                              ;   in Loop: Header=BB42_38 Depth=3
	s_sub_co_i32 s16, s16, s26
	s_add_co_i32 s29, s29, s30
	s_add_co_i32 s31, s31, s41
	s_cmp_lt_i32 s16, s27
	s_cbranch_scc1 .LBB42_51
.LBB42_38:                              ;   Parent Loop BB42_5 Depth=1
                                        ;     Parent Loop BB42_35 Depth=2
                                        ; =>    This Loop Header: Depth=3
                                        ;         Child Loop BB42_39 Depth 4
                                        ;         Child Loop BB42_41 Depth 4
                                        ;           Child Loop BB42_42 Depth 5
                                        ;         Child Loop BB42_47 Depth 4
                                        ;           Child Loop BB42_49 Depth 5
	s_ashr_i32 s17, s16, 31
	s_delay_alu instid0(SALU_CYCLE_1)
	s_lshl_b64 s[18:19], s[16:17], 2
	s_wait_alu 0xfffe
	v_add_co_u32 v34, vcc_lo, v36, s18
	s_wait_alu 0xfffd
	v_add_co_ci_u32_e64 v35, null, s19, v37, vcc_lo
	s_mov_b64 s[18:19], 0
.LBB42_39:                              ;   Parent Loop BB42_5 Depth=1
                                        ;     Parent Loop BB42_35 Depth=2
                                        ;       Parent Loop BB42_38 Depth=3
                                        ; =>      This Inner Loop Header: Depth=4
	flat_load_b32 v38, v[34:35]
	v_add_co_u32 v34, vcc_lo, v34, -4
	s_wait_alu 0xfffd
	v_add_co_ci_u32_e64 v35, null, -1, v35, vcc_lo
	s_wait_alu 0xfffe
	s_mov_b32 m0, s18
	s_add_nc_u64 s[18:19], s[18:19], 1
	s_wait_alu 0xfffe
	s_cmp_eq_u32 s28, s18
	s_wait_loadcnt_dscnt 0x0
	v_mul_f32_e32 v38, s34, v38
	s_delay_alu instid0(VALU_DEP_1)
	v_movreld_b32_e32 v2, v38
	s_cbranch_scc0 .LBB42_39
; %bb.40:                               ;   in Loop: Header=BB42_38 Depth=3
	s_cmp_le_i32 s36, s16
	s_mov_b32 s22, s29
	s_mov_b32 s18, s36
	s_cbranch_scc1 .LBB42_44
.LBB42_41:                              ;   Parent Loop BB42_5 Depth=1
                                        ;     Parent Loop BB42_35 Depth=2
                                        ;       Parent Loop BB42_38 Depth=3
                                        ; =>      This Loop Header: Depth=4
                                        ;           Child Loop BB42_42 Depth 5
	s_wait_alu 0xfffe
	s_ashr_i32 s19, s18, 31
	s_wait_alu 0xfffe
	s_lshl_b64 s[20:21], s[18:19], 2
	s_mov_b32 s19, s22
	s_wait_alu 0xfffe
	v_add_co_u32 v34, vcc_lo, v78, s20
	s_wait_alu 0xfffd
	v_add_co_ci_u32_e64 v35, null, s21, v79, vcc_lo
	s_mov_b64 s[20:21], 0
	flat_load_b32 v34, v[34:35]
.LBB42_42:                              ;   Parent Loop BB42_5 Depth=1
                                        ;     Parent Loop BB42_35 Depth=2
                                        ;       Parent Loop BB42_38 Depth=3
                                        ;         Parent Loop BB42_41 Depth=4
                                        ; =>        This Inner Loop Header: Depth=5
	s_wait_alu 0xfffe
	v_mov_b32_e32 v35, s19
	s_mov_b32 m0, s20
	s_add_nc_u64 s[20:21], s[20:21], 1
	v_movrels_b32_e32 v38, v2
	s_add_co_i32 s19, s19, -4
	ds_load_b32 v35, v35
	s_wait_alu 0xfffe
	s_cmp_eq_u32 s28, s20
	s_wait_loadcnt_dscnt 0x0
	v_fma_f32 v35, -v34, v35, v38
	s_delay_alu instid0(VALU_DEP_1)
	v_movreld_b32_e32 v2, v35
	s_cbranch_scc0 .LBB42_42
; %bb.43:                               ;   in Loop: Header=BB42_41 Depth=4
	s_add_co_i32 s18, s18, -1
	s_addk_co_i32 s22, 0xff00
	s_wait_alu 0xfffe
	s_cmp_le_i32 s18, s16
	s_cbranch_scc0 .LBB42_41
.LBB42_44:                              ;   in Loop: Header=BB42_38 Depth=3
	s_mov_b64 s[18:19], 0
	s_mov_b32 s42, s31
	s_branch .LBB42_47
.LBB42_45:                              ;   in Loop: Header=BB42_47 Depth=4
	s_mov_b32 s20, s16
	s_mov_b64 s[24:25], 0
	s_mov_b64 s[22:23], s[16:17]
.LBB42_46:                              ;   in Loop: Header=BB42_47 Depth=4
	s_wait_alu 0xfffe
	s_mulk_i32 s20, 0x104
	s_mov_b32 m0, s24
	s_wait_alu 0xfffe
	v_mov_b32_e32 v34, s20
	v_movrels_b32_e32 v35, v2
	s_lshl_b64 s[20:21], s[22:23], 2
	s_add_nc_u64 s[18:19], s[18:19], 1
	s_add_co_i32 s42, s42, -4
	ds_load_b32 v34, v34
	s_wait_alu 0xfffe
	s_cmp_eq_u32 s18, s28
	s_wait_dscnt 0x0
	v_mul_f32_e32 v38, v35, v34
	v_add_co_u32 v34, vcc_lo, v78, s20
	s_wait_alu 0xfffd
	v_add_co_ci_u32_e64 v35, null, s21, v79, vcc_lo
	s_delay_alu instid0(VALU_DEP_3)
	v_movreld_b32_e32 v2, v38
	flat_store_b32 v[34:35], v38
	s_cbranch_scc1 .LBB42_37
.LBB42_47:                              ;   Parent Loop BB42_5 Depth=1
                                        ;     Parent Loop BB42_35 Depth=2
                                        ;       Parent Loop BB42_38 Depth=3
                                        ; =>      This Loop Header: Depth=4
                                        ;           Child Loop BB42_49 Depth 5
	s_wait_alu 0xfffe
	s_cmp_eq_u32 s18, 0
	s_cbranch_scc1 .LBB42_45
; %bb.48:                               ;   in Loop: Header=BB42_47 Depth=4
	s_mov_b64 s[20:21], 0
	s_mov_b32 s22, s42
.LBB42_49:                              ;   Parent Loop BB42_5 Depth=1
                                        ;     Parent Loop BB42_35 Depth=2
                                        ;       Parent Loop BB42_38 Depth=3
                                        ;         Parent Loop BB42_47 Depth=4
                                        ; =>        This Inner Loop Header: Depth=5
	s_wait_alu 0xfffe
	v_mov_b32_e32 v34, s22
	s_mov_b32 m0, s20
	s_add_nc_u64 s[20:21], s[20:21], 1
	v_movrels_b32_e32 v35, v2
	s_mov_b32 m0, s18
	ds_load_b32 v34, v34
	v_movrels_b32_e32 v38, v2
	s_addk_co_i32 s22, 0xff00
	s_wait_alu 0xfffe
	s_cmp_eq_u32 s18, s20
	s_wait_dscnt 0x0
	v_fma_f32 v34, -v35, v34, v38
	s_delay_alu instid0(VALU_DEP_1)
	v_movreld_b32_e32 v2, v34
	s_cbranch_scc0 .LBB42_49
; %bb.50:                               ;   in Loop: Header=BB42_47 Depth=4
	s_sub_co_i32 s20, s16, s18
	s_mov_b64 s[24:25], s[18:19]
	s_wait_alu 0xfffe
	s_ashr_i32 s21, s20, 31
	s_wait_alu 0xfffe
	s_mov_b64 s[22:23], s[20:21]
	s_branch .LBB42_46
.LBB42_51:                              ;   in Loop: Header=BB42_35 Depth=2
	s_cmp_gt_i32 s16, -1
	s_cselect_b32 s18, -1, 0
	s_add_co_i32 s17, s14, 1
	s_cmp_lt_u32 s14, 2
	s_cselect_b32 s14, -1, 0
	s_wait_alu 0xfffe
	s_and_b32 s14, s18, s14
	s_delay_alu instid0(SALU_CYCLE_1)
	s_and_not1_b32 vcc_lo, exec_lo, s14
	s_wait_alu 0xfffe
	s_cbranch_vccnz .LBB42_2
; %bb.52:                               ;   in Loop: Header=BB42_35 Depth=2
	s_mov_b32 s14, s17
	s_branch .LBB42_35
.LBB42_53:
	s_endpgm
	.section	.rodata,"a",@progbits
	.p2align	6, 0x0
	.amdhsa_kernel _ZL30rocblas_trsm_small_left_deviceILi64ELi32ELb0EffPKPKfPKPfEv13rocblas_fill_18rocblas_operation_17rocblas_diagonal_iiT3_T4_lilT5_lili
		.amdhsa_group_segment_fixed_size 16384
		.amdhsa_private_segment_fixed_size 0
		.amdhsa_kernarg_size 352
		.amdhsa_user_sgpr_count 2
		.amdhsa_user_sgpr_dispatch_ptr 0
		.amdhsa_user_sgpr_queue_ptr 0
		.amdhsa_user_sgpr_kernarg_segment_ptr 1
		.amdhsa_user_sgpr_dispatch_id 0
		.amdhsa_user_sgpr_private_segment_size 0
		.amdhsa_wavefront_size32 1
		.amdhsa_uses_dynamic_stack 0
		.amdhsa_enable_private_segment 0
		.amdhsa_system_sgpr_workgroup_id_x 1
		.amdhsa_system_sgpr_workgroup_id_y 0
		.amdhsa_system_sgpr_workgroup_id_z 1
		.amdhsa_system_sgpr_workgroup_info 0
		.amdhsa_system_vgpr_workitem_id 0
		.amdhsa_next_free_vgpr 241
		.amdhsa_next_free_sgpr 44
		.amdhsa_reserve_vcc 1
		.amdhsa_float_round_mode_32 0
		.amdhsa_float_round_mode_16_64 0
		.amdhsa_float_denorm_mode_32 3
		.amdhsa_float_denorm_mode_16_64 3
		.amdhsa_fp16_overflow 0
		.amdhsa_workgroup_processor_mode 1
		.amdhsa_memory_ordered 1
		.amdhsa_forward_progress 1
		.amdhsa_inst_pref_size 23
		.amdhsa_round_robin_scheduling 0
		.amdhsa_exception_fp_ieee_invalid_op 0
		.amdhsa_exception_fp_denorm_src 0
		.amdhsa_exception_fp_ieee_div_zero 0
		.amdhsa_exception_fp_ieee_overflow 0
		.amdhsa_exception_fp_ieee_underflow 0
		.amdhsa_exception_fp_ieee_inexact 0
		.amdhsa_exception_int_div_zero 0
	.end_amdhsa_kernel
	.section	.text._ZL30rocblas_trsm_small_left_deviceILi64ELi32ELb0EffPKPKfPKPfEv13rocblas_fill_18rocblas_operation_17rocblas_diagonal_iiT3_T4_lilT5_lili,"axG",@progbits,_ZL30rocblas_trsm_small_left_deviceILi64ELi32ELb0EffPKPKfPKPfEv13rocblas_fill_18rocblas_operation_17rocblas_diagonal_iiT3_T4_lilT5_lili,comdat
.Lfunc_end42:
	.size	_ZL30rocblas_trsm_small_left_deviceILi64ELi32ELb0EffPKPKfPKPfEv13rocblas_fill_18rocblas_operation_17rocblas_diagonal_iiT3_T4_lilT5_lili, .Lfunc_end42-_ZL30rocblas_trsm_small_left_deviceILi64ELi32ELb0EffPKPKfPKPfEv13rocblas_fill_18rocblas_operation_17rocblas_diagonal_iiT3_T4_lilT5_lili
                                        ; -- End function
	.set _ZL30rocblas_trsm_small_left_deviceILi64ELi32ELb0EffPKPKfPKPfEv13rocblas_fill_18rocblas_operation_17rocblas_diagonal_iiT3_T4_lilT5_lili.num_vgpr, 83
	.set _ZL30rocblas_trsm_small_left_deviceILi64ELi32ELb0EffPKPKfPKPfEv13rocblas_fill_18rocblas_operation_17rocblas_diagonal_iiT3_T4_lilT5_lili.num_agpr, 0
	.set _ZL30rocblas_trsm_small_left_deviceILi64ELi32ELb0EffPKPKfPKPfEv13rocblas_fill_18rocblas_operation_17rocblas_diagonal_iiT3_T4_lilT5_lili.numbered_sgpr, 44
	.set _ZL30rocblas_trsm_small_left_deviceILi64ELi32ELb0EffPKPKfPKPfEv13rocblas_fill_18rocblas_operation_17rocblas_diagonal_iiT3_T4_lilT5_lili.num_named_barrier, 0
	.set _ZL30rocblas_trsm_small_left_deviceILi64ELi32ELb0EffPKPKfPKPfEv13rocblas_fill_18rocblas_operation_17rocblas_diagonal_iiT3_T4_lilT5_lili.private_seg_size, 0
	.set _ZL30rocblas_trsm_small_left_deviceILi64ELi32ELb0EffPKPKfPKPfEv13rocblas_fill_18rocblas_operation_17rocblas_diagonal_iiT3_T4_lilT5_lili.uses_vcc, 1
	.set _ZL30rocblas_trsm_small_left_deviceILi64ELi32ELb0EffPKPKfPKPfEv13rocblas_fill_18rocblas_operation_17rocblas_diagonal_iiT3_T4_lilT5_lili.uses_flat_scratch, 0
	.set _ZL30rocblas_trsm_small_left_deviceILi64ELi32ELb0EffPKPKfPKPfEv13rocblas_fill_18rocblas_operation_17rocblas_diagonal_iiT3_T4_lilT5_lili.has_dyn_sized_stack, 0
	.set _ZL30rocblas_trsm_small_left_deviceILi64ELi32ELb0EffPKPKfPKPfEv13rocblas_fill_18rocblas_operation_17rocblas_diagonal_iiT3_T4_lilT5_lili.has_recursion, 0
	.set _ZL30rocblas_trsm_small_left_deviceILi64ELi32ELb0EffPKPKfPKPfEv13rocblas_fill_18rocblas_operation_17rocblas_diagonal_iiT3_T4_lilT5_lili.has_indirect_call, 0
	.section	.AMDGPU.csdata,"",@progbits
; Kernel info:
; codeLenInByte = 2844
; TotalNumSgprs: 46
; NumVgprs: 83
; ScratchSize: 0
; MemoryBound: 0
; FloatMode: 240
; IeeeMode: 1
; LDSByteSize: 16384 bytes/workgroup (compile time only)
; SGPRBlocks: 0
; VGPRBlocks: 30
; NumSGPRsForWavesPerEU: 46
; NumVGPRsForWavesPerEU: 241
; Occupancy: 4
; WaveLimiterHint : 1
; COMPUTE_PGM_RSRC2:SCRATCH_EN: 0
; COMPUTE_PGM_RSRC2:USER_SGPR: 2
; COMPUTE_PGM_RSRC2:TRAP_HANDLER: 0
; COMPUTE_PGM_RSRC2:TGID_X_EN: 1
; COMPUTE_PGM_RSRC2:TGID_Y_EN: 0
; COMPUTE_PGM_RSRC2:TGID_Z_EN: 1
; COMPUTE_PGM_RSRC2:TIDIG_COMP_CNT: 0
	.section	.text._ZL38rocblas_trsm_small_left_device_sharedBILi64ELi32ELb1EffPKPKfPKPfEv13rocblas_fill_18rocblas_operation_17rocblas_diagonal_iiT3_T4_lilT5_lili,"axG",@progbits,_ZL38rocblas_trsm_small_left_device_sharedBILi64ELi32ELb1EffPKPKfPKPfEv13rocblas_fill_18rocblas_operation_17rocblas_diagonal_iiT3_T4_lilT5_lili,comdat
	.globl	_ZL38rocblas_trsm_small_left_device_sharedBILi64ELi32ELb1EffPKPKfPKPfEv13rocblas_fill_18rocblas_operation_17rocblas_diagonal_iiT3_T4_lilT5_lili ; -- Begin function _ZL38rocblas_trsm_small_left_device_sharedBILi64ELi32ELb1EffPKPKfPKPfEv13rocblas_fill_18rocblas_operation_17rocblas_diagonal_iiT3_T4_lilT5_lili
	.p2align	8
	.type	_ZL38rocblas_trsm_small_left_device_sharedBILi64ELi32ELb1EffPKPKfPKPfEv13rocblas_fill_18rocblas_operation_17rocblas_diagonal_iiT3_T4_lilT5_lili,@function
_ZL38rocblas_trsm_small_left_device_sharedBILi64ELi32ELb1EffPKPKfPKPfEv13rocblas_fill_18rocblas_operation_17rocblas_diagonal_iiT3_T4_lilT5_lili: ; @_ZL38rocblas_trsm_small_left_device_sharedBILi64ELi32ELb1EffPKPKfPKPfEv13rocblas_fill_18rocblas_operation_17rocblas_diagonal_iiT3_T4_lilT5_lili
; %bb.0:
	s_load_b32 s24, s[0:1], 0x58
	s_lshr_b32 s2, ttmp7, 16
	s_wait_kmcnt 0x0
	s_cmp_ge_u32 s2, s24
	s_cbranch_scc1 .LBB43_56
; %bb.1:
	s_clause 0x6
	s_load_b32 s18, s[0:1], 0x28
	s_load_b32 s20, s[0:1], 0x48
	s_load_b128 s[12:15], s[0:1], 0x4
	s_load_b32 s3, s[0:1], 0x60
	s_load_b128 s[4:7], s[0:1], 0x18
	s_load_b128 s[8:11], s[0:1], 0x38
	s_load_b32 s1, s[0:1], 0x14
	v_dual_mov_b32 v1, 0 :: v_dual_lshlrev_b32 v68, 2, v0
	s_lshl_b32 s22, ttmp9, 6
	v_lshlrev_b32_e32 v35, 8, v0
	s_mov_b32 s17, 0
	s_delay_alu instid0(VALU_DEP_2)
	v_or_b32_e32 v69, 0x4000, v68
	v_dual_mov_b32 v31, v1 :: v_dual_mov_b32 v32, v1
	v_dual_mov_b32 v2, v1 :: v_dual_mov_b32 v3, v1
	;; [unrolled: 1-line block ×3, first 2 shown]
	v_mov_b32_e32 v6, v1
	s_wait_kmcnt 0x0
	s_ashr_i32 s19, s18, 31
	s_ashr_i32 s21, s20, 31
	s_min_i32 s25, s14, 64
	s_add_co_i32 s3, s3, -1
	s_sub_co_i32 s0, s15, s22
	s_add_co_i32 s26, s25, -1
	v_mad_co_i64_i32 v[33:34], null, s20, v0, 0
	s_cmp_ge_u32 ttmp9, s3
	v_dual_mov_b32 v7, v1 :: v_dual_mov_b32 v8, v1
	s_cselect_b32 s3, s0, 64
	s_ashr_i32 s23, s22, 31
	s_cmp_lg_u32 s13, 0x84
	v_cmp_gt_i32_e32 vcc_lo, s3, v0
	s_cselect_b32 s27, -1, 0
	s_cmp_gt_i32 s14, 0
	v_dual_mov_b32 v9, v1 :: v_dual_mov_b32 v10, v1
	v_dual_mov_b32 v11, v1 :: v_dual_mov_b32 v12, v1
	;; [unrolled: 1-line block ×11, first 2 shown]
	v_cmp_gt_i32_e64 s0, s25, v0
	s_cselect_b32 s3, -1, 0
	s_cmp_lg_u32 s12, 0x6f
	v_lshlrev_b32_e32 v0, 2, v0
	v_lshlrev_b64_e32 v[66:67], 2, v[33:34]
	v_mov_b32_e32 v33, v32
	v_mov_b32_e32 v32, v31
	v_dual_mov_b32 v31, v30 :: v_dual_add_nc_u32 v70, v68, v35
	v_mov_b32_e32 v30, v29
	v_mov_b32_e32 v29, v28
	;; [unrolled: 1-line block ×29, first 2 shown]
	s_mul_u64 s[14:15], s[20:21], s[22:23]
	s_cselect_b32 s28, -1, 0
	s_lshl_b32 s30, s25, 2
	s_wait_alu 0xfffe
	s_and_b32 s29, vcc_lo, s3
	s_lshl_b64 s[12:13], s[18:19], 2
	s_add_co_i32 s30, s30, -4
	s_lshl_b64 s[6:7], s[6:7], 2
	s_lshl_b64 s[10:11], s[10:11], 2
	;; [unrolled: 1-line block ×3, first 2 shown]
	s_branch .LBB43_3
.LBB43_2:                               ;   in Loop: Header=BB43_3 Depth=1
	s_wait_alu 0xfffe
	s_or_b32 exec_lo, exec_lo, s3
	v_dual_mov_b32 v2, v34 :: v_dual_mov_b32 v3, v35
	v_dual_mov_b32 v4, v36 :: v_dual_mov_b32 v5, v37
	v_dual_mov_b32 v6, v38 :: v_dual_mov_b32 v7, v39
	v_dual_mov_b32 v8, v40 :: v_dual_mov_b32 v9, v41
	v_dual_mov_b32 v10, v42 :: v_dual_mov_b32 v11, v43
	v_dual_mov_b32 v12, v44 :: v_dual_mov_b32 v13, v45
	v_dual_mov_b32 v14, v46 :: v_dual_mov_b32 v15, v47
	v_dual_mov_b32 v16, v48 :: v_dual_mov_b32 v17, v49
	v_dual_mov_b32 v18, v50 :: v_dual_mov_b32 v19, v51
	v_dual_mov_b32 v20, v52 :: v_dual_mov_b32 v21, v53
	v_dual_mov_b32 v22, v54 :: v_dual_mov_b32 v23, v55
	v_dual_mov_b32 v24, v56 :: v_dual_mov_b32 v25, v57
	v_dual_mov_b32 v26, v58 :: v_dual_mov_b32 v27, v59
	v_dual_mov_b32 v28, v60 :: v_dual_mov_b32 v29, v61
	v_dual_mov_b32 v30, v62 :: v_dual_mov_b32 v31, v63
	v_dual_mov_b32 v32, v64 :: v_dual_mov_b32 v33, v65
	s_add_co_i32 s2, s2, 0x10000
	s_wait_alu 0xfffe
	s_cmp_lt_u32 s2, s24
	s_cbranch_scc0 .LBB43_56
.LBB43_3:                               ; =>This Loop Header: Depth=1
                                        ;     Child Loop BB43_5 Depth 2
                                        ;     Child Loop BB43_11 Depth 2
	;; [unrolled: 1-line block ×3, first 2 shown]
                                        ;       Child Loop BB43_17 Depth 3
                                        ;         Child Loop BB43_18 Depth 4
                                        ;         Child Loop BB43_20 Depth 4
                                        ;           Child Loop BB43_21 Depth 5
                                        ;         Child Loop BB43_26 Depth 4
                                        ;           Child Loop BB43_28 Depth 5
                                        ;     Child Loop BB43_34 Depth 2
                                        ;       Child Loop BB43_37 Depth 3
                                        ;         Child Loop BB43_38 Depth 4
                                        ;         Child Loop BB43_41 Depth 4
                                        ;           Child Loop BB43_42 Depth 5
                                        ;         Child Loop BB43_47 Depth 4
                                        ;           Child Loop BB43_49 Depth 5
                                        ;     Child Loop BB43_55 Depth 2
	s_mov_b32 s3, s17
	s_wait_alu 0xfffe
	s_lshl_b64 s[18:19], s[2:3], 3
	s_wait_alu 0xfffe
	s_add_nc_u64 s[20:21], s[8:9], s[18:19]
	global_load_b64 v[34:35], v1, s[20:21]
	s_and_saveexec_b32 s3, s0
	s_cbranch_execz .LBB43_9
; %bb.4:                                ;   in Loop: Header=BB43_3 Depth=1
	s_add_nc_u64 s[18:19], s[4:5], s[18:19]
	v_mov_b32_e32 v38, v68
	global_load_b64 v[36:37], v1, s[18:19]
	s_mov_b32 s16, s25
	s_wait_loadcnt 0x0
	v_add_co_u32 v36, vcc_lo, v36, s6
	s_wait_alu 0xfffd
	v_add_co_ci_u32_e64 v37, null, s7, v37, vcc_lo
	s_delay_alu instid0(VALU_DEP_2) | instskip(SKIP_1) | instid1(VALU_DEP_2)
	v_add_co_u32 v36, vcc_lo, v36, v0
	s_wait_alu 0xfffd
	v_add_co_ci_u32_e64 v37, null, 0, v37, vcc_lo
.LBB43_5:                               ;   Parent Loop BB43_3 Depth=1
                                        ; =>  This Inner Loop Header: Depth=2
	flat_load_b32 v39, v[36:37]
	v_add_co_u32 v36, vcc_lo, v36, s12
	s_wait_alu 0xfffd
	v_add_co_ci_u32_e64 v37, null, s13, v37, vcc_lo
	s_add_co_i32 s16, s16, -1
	s_delay_alu instid0(SALU_CYCLE_1)
	s_cmp_eq_u32 s16, 0
	s_wait_loadcnt_dscnt 0x0
	ds_store_b32 v38, v39
	v_add_nc_u32_e32 v38, 0x100, v38
	s_cbranch_scc0 .LBB43_5
; %bb.6:                                ;   in Loop: Header=BB43_3 Depth=1
	v_mov_b32_e32 v36, 1.0
	s_and_b32 vcc_lo, exec_lo, s27
	s_wait_alu 0xfffe
	s_cbranch_vccz .LBB43_8
; %bb.7:                                ;   in Loop: Header=BB43_3 Depth=1
	ds_load_b32 v36, v70
	s_wait_dscnt 0x0
	v_div_scale_f32 v37, null, v36, v36, 1.0
	s_delay_alu instid0(VALU_DEP_1) | instskip(NEXT) | instid1(TRANS32_DEP_1)
	v_rcp_f32_e32 v38, v37
	v_fma_f32 v39, -v37, v38, 1.0
	s_delay_alu instid0(VALU_DEP_1) | instskip(SKIP_1) | instid1(VALU_DEP_1)
	v_fmac_f32_e32 v38, v39, v38
	v_div_scale_f32 v39, vcc_lo, 1.0, v36, 1.0
	v_mul_f32_e32 v40, v39, v38
	s_delay_alu instid0(VALU_DEP_1) | instskip(NEXT) | instid1(VALU_DEP_1)
	v_fma_f32 v41, -v37, v40, v39
	v_fmac_f32_e32 v40, v41, v38
	s_delay_alu instid0(VALU_DEP_1) | instskip(SKIP_1) | instid1(VALU_DEP_1)
	v_fma_f32 v37, -v37, v40, v39
	s_wait_alu 0xfffd
	v_div_fmas_f32 v37, v37, v38, v40
	s_delay_alu instid0(VALU_DEP_1)
	v_div_fixup_f32 v36, v37, v36, 1.0
.LBB43_8:                               ;   in Loop: Header=BB43_3 Depth=1
	ds_store_b32 v70, v36
.LBB43_9:                               ;   in Loop: Header=BB43_3 Depth=1
	s_wait_alu 0xfffe
	s_or_b32 exec_lo, exec_lo, s3
	s_wait_loadcnt 0x0
	v_add_co_u32 v34, vcc_lo, v34, s10
	s_wait_alu 0xfffd
	v_add_co_ci_u32_e64 v35, null, s11, v35, vcc_lo
	s_delay_alu instid0(VALU_DEP_2) | instskip(SKIP_1) | instid1(VALU_DEP_2)
	v_add_co_u32 v71, vcc_lo, v34, s14
	s_wait_alu 0xfffd
	v_add_co_ci_u32_e64 v72, null, s15, v35, vcc_lo
	s_and_saveexec_b32 s3, s29
	s_cbranch_execz .LBB43_12
; %bb.10:                               ;   in Loop: Header=BB43_3 Depth=1
	v_add_co_u32 v34, vcc_lo, v71, v66
	s_wait_alu 0xfffd
	v_add_co_ci_u32_e64 v35, null, v72, v67, vcc_lo
	v_mov_b32_e32 v36, v69
	s_mov_b32 s16, s25
.LBB43_11:                              ;   Parent Loop BB43_3 Depth=1
                                        ; =>  This Inner Loop Header: Depth=2
	flat_load_b32 v37, v[34:35]
	v_add_co_u32 v34, vcc_lo, v34, 4
	s_wait_alu 0xfffd
	v_add_co_ci_u32_e64 v35, null, 0, v35, vcc_lo
	s_add_co_i32 s16, s16, -1
	s_delay_alu instid0(SALU_CYCLE_1)
	s_cmp_lg_u32 s16, 0
	s_wait_loadcnt_dscnt 0x0
	v_mul_f32_e32 v37, s1, v37
	ds_store_b32 v36, v37
	v_add_nc_u32_e32 v36, 0x100, v36
	s_cbranch_scc1 .LBB43_11
.LBB43_12:                              ;   in Loop: Header=BB43_3 Depth=1
	s_wait_alu 0xfffe
	s_or_b32 exec_lo, exec_lo, s3
	s_delay_alu instid0(SALU_CYCLE_1)
	s_and_not1_b32 vcc_lo, exec_lo, s28
	s_mov_b32 s3, -1
	s_wait_dscnt 0x0
	s_barrier_signal -1
	s_barrier_wait -1
	global_inv scope:SCOPE_SE
                                        ; implicit-def: $vgpr34_vgpr35_vgpr36_vgpr37_vgpr38_vgpr39_vgpr40_vgpr41_vgpr42_vgpr43_vgpr44_vgpr45_vgpr46_vgpr47_vgpr48_vgpr49_vgpr50_vgpr51_vgpr52_vgpr53_vgpr54_vgpr55_vgpr56_vgpr57_vgpr58_vgpr59_vgpr60_vgpr61_vgpr62_vgpr63_vgpr64_vgpr65
	s_wait_alu 0xfffe
	s_cbranch_vccnz .LBB43_32
; %bb.13:                               ;   in Loop: Header=BB43_3 Depth=1
	v_dual_mov_b32 v65, v33 :: v_dual_mov_b32 v64, v32
	v_dual_mov_b32 v63, v31 :: v_dual_mov_b32 v62, v30
	v_dual_mov_b32 v61, v29 :: v_dual_mov_b32 v60, v28
	v_dual_mov_b32 v59, v27 :: v_dual_mov_b32 v58, v26
	v_dual_mov_b32 v57, v25 :: v_dual_mov_b32 v56, v24
	v_dual_mov_b32 v55, v23 :: v_dual_mov_b32 v54, v22
	v_dual_mov_b32 v53, v21 :: v_dual_mov_b32 v52, v20
	v_dual_mov_b32 v51, v19 :: v_dual_mov_b32 v50, v18
	v_dual_mov_b32 v49, v17 :: v_dual_mov_b32 v48, v16
	v_dual_mov_b32 v47, v15 :: v_dual_mov_b32 v46, v14
	v_dual_mov_b32 v45, v13 :: v_dual_mov_b32 v44, v12
	v_dual_mov_b32 v43, v11 :: v_dual_mov_b32 v42, v10
	v_dual_mov_b32 v41, v9 :: v_dual_mov_b32 v40, v8
	v_dual_mov_b32 v39, v7 :: v_dual_mov_b32 v38, v6
	v_dual_mov_b32 v37, v5 :: v_dual_mov_b32 v36, v4
	v_dual_mov_b32 v35, v3 :: v_dual_mov_b32 v34, v2
	s_mov_b32 s16, 0
	s_mov_b32 s3, s26
.LBB43_14:                              ;   Parent Loop BB43_3 Depth=1
                                        ; =>  This Loop Header: Depth=2
                                        ;       Child Loop BB43_17 Depth 3
                                        ;         Child Loop BB43_18 Depth 4
                                        ;         Child Loop BB43_20 Depth 4
                                        ;           Child Loop BB43_21 Depth 5
                                        ;         Child Loop BB43_26 Depth 4
                                        ;           Child Loop BB43_28 Depth 5
	s_getpc_b64 s[18:19]
	s_wait_alu 0xfffe
	s_sext_i32_i16 s19, s19
	s_add_co_u32 s18, s18, __const._ZL38rocblas_trsm_small_left_device_sharedBILi64ELi32ELb1EffPKPKfPKPfEv13rocblas_fill_18rocblas_operation_17rocblas_diagonal_iiT3_T4_lilT5_lili.step_sizes@rel32@lo+12
	s_wait_alu 0xfffe
	s_add_co_ci_u32 s19, s19, __const._ZL38rocblas_trsm_small_left_device_sharedBILi64ELi32ELb1EffPKPKfPKPfEv13rocblas_fill_18rocblas_operation_17rocblas_diagonal_iiT3_T4_lilT5_lili.step_sizes@rel32@hi+24
	s_lshl_b64 s[20:21], s[16:17], 2
	s_wait_alu 0xfffe
	s_add_nc_u64 s[18:19], s[18:19], s[20:21]
	s_load_b32 s31, s[18:19], 0x0
	s_wait_kmcnt 0x0
	s_add_co_i32 s33, s31, -1
	s_wait_alu 0xfffe
	s_cmp_lt_i32 s3, s33
	s_cbranch_scc1 .LBB43_29
; %bb.15:                               ;   in Loop: Header=BB43_14 Depth=2
	s_lshl_b32 s18, s3, 8
	s_lshl_b32 s19, s31, 8
	s_wait_alu 0xfffe
	v_add_nc_u32_e32 v73, s18, v69
	s_max_i32 s34, s31, 1
	s_sub_co_i32 s35, 0, s19
	s_add_co_i32 s36, s30, s18
	s_mul_i32 s37, s3, 0x104
	s_mul_i32 s38, s31, 0xfffffefc
	s_branch .LBB43_17
.LBB43_16:                              ;   in Loop: Header=BB43_17 Depth=3
	v_add_nc_u32_e32 v73, s35, v73
	s_sub_co_i32 s3, s3, s31
	s_add_co_i32 s36, s36, s35
	s_add_co_i32 s37, s37, s38
	s_wait_alu 0xfffe
	s_cmp_lt_i32 s3, s33
	s_cbranch_scc1 .LBB43_29
.LBB43_17:                              ;   Parent Loop BB43_3 Depth=1
                                        ;     Parent Loop BB43_14 Depth=2
                                        ; =>    This Loop Header: Depth=3
                                        ;         Child Loop BB43_18 Depth 4
                                        ;         Child Loop BB43_20 Depth 4
                                        ;           Child Loop BB43_21 Depth 5
                                        ;         Child Loop BB43_26 Depth 4
                                        ;           Child Loop BB43_28 Depth 5
	v_mov_b32_e32 v74, v73
	s_mov_b64 s[18:19], 0
.LBB43_18:                              ;   Parent Loop BB43_3 Depth=1
                                        ;     Parent Loop BB43_14 Depth=2
                                        ;       Parent Loop BB43_17 Depth=3
                                        ; =>      This Inner Loop Header: Depth=4
	ds_load_b32 v75, v74
	v_add_nc_u32_e32 v74, 0xffffff00, v74
	s_wait_alu 0xfffe
	s_mov_b32 m0, s18
	s_add_nc_u64 s[18:19], s[18:19], 1
	s_wait_alu 0xfffe
	s_cmp_eq_u32 s34, s18
	s_wait_dscnt 0x0
	v_movreld_b32_e32 v34, v75
	s_cbranch_scc0 .LBB43_18
; %bb.19:                               ;   in Loop: Header=BB43_17 Depth=3
	s_cmp_le_i32 s26, s3
	s_mov_b32 s20, s36
	s_mov_b32 s21, s26
	s_cbranch_scc1 .LBB43_23
.LBB43_20:                              ;   Parent Loop BB43_3 Depth=1
                                        ;     Parent Loop BB43_14 Depth=2
                                        ;       Parent Loop BB43_17 Depth=3
                                        ; =>      This Loop Header: Depth=4
                                        ;           Child Loop BB43_21 Depth 5
	s_wait_alu 0xfffe
	v_lshl_add_u32 v74, s21, 8, v69
	s_mov_b64 s[18:19], 0
	s_mov_b32 s22, s20
	ds_load_b32 v74, v74
.LBB43_21:                              ;   Parent Loop BB43_3 Depth=1
                                        ;     Parent Loop BB43_14 Depth=2
                                        ;       Parent Loop BB43_17 Depth=3
                                        ;         Parent Loop BB43_20 Depth=4
                                        ; =>        This Inner Loop Header: Depth=5
	s_wait_alu 0xfffe
	v_mov_b32_e32 v75, s22
	s_mov_b32 m0, s18
	s_add_nc_u64 s[18:19], s[18:19], 1
	v_movrels_b32_e32 v76, v34
	s_addk_co_i32 s22, 0xff00
	ds_load_b32 v75, v75
	s_wait_alu 0xfffe
	s_cmp_eq_u32 s34, s18
	s_wait_dscnt 0x0
	v_fma_f32 v75, -v74, v75, v76
	s_delay_alu instid0(VALU_DEP_1)
	v_movreld_b32_e32 v34, v75
	s_cbranch_scc0 .LBB43_21
; %bb.22:                               ;   in Loop: Header=BB43_20 Depth=4
	s_add_co_i32 s21, s21, -1
	s_add_co_i32 s20, s20, -4
	s_wait_alu 0xfffe
	s_cmp_le_i32 s21, s3
	s_cbranch_scc0 .LBB43_20
.LBB43_23:                              ;   in Loop: Header=BB43_17 Depth=3
	s_lshl_b32 s39, s3, 8
	s_mov_b64 s[18:19], 0
	s_mov_b32 s40, s37
	s_branch .LBB43_26
.LBB43_24:                              ;   in Loop: Header=BB43_26 Depth=4
	s_mov_b32 s42, s3
	s_mov_b64 s[20:21], 0
	s_mov_b32 s41, s39
.LBB43_25:                              ;   in Loop: Header=BB43_26 Depth=4
	s_wait_alu 0xfffe
	s_mov_b32 m0, s20
	s_mul_i32 s20, s42, 0x104
	v_movrels_b32_e32 v75, v34
	s_wait_alu 0xfffe
	v_mov_b32_e32 v74, s20
	s_add_nc_u64 s[18:19], s[18:19], 1
	s_addk_co_i32 s40, 0xff00
	s_wait_alu 0xfffe
	s_cmp_eq_u32 s18, s34
	ds_load_b32 v74, v74
	s_wait_dscnt 0x0
	v_dual_mul_f32 v74, v75, v74 :: v_dual_add_nc_u32 v75, s41, v69
	s_delay_alu instid0(VALU_DEP_1)
	v_movreld_b32_e32 v34, v74
	ds_store_b32 v75, v74
	s_cbranch_scc1 .LBB43_16
.LBB43_26:                              ;   Parent Loop BB43_3 Depth=1
                                        ;     Parent Loop BB43_14 Depth=2
                                        ;       Parent Loop BB43_17 Depth=3
                                        ; =>      This Loop Header: Depth=4
                                        ;           Child Loop BB43_28 Depth 5
	s_wait_alu 0xfffe
	s_cmp_eq_u32 s18, 0
	s_cbranch_scc1 .LBB43_24
; %bb.27:                               ;   in Loop: Header=BB43_26 Depth=4
	s_sub_co_i32 s42, s3, s18
	s_mov_b64 s[20:21], s[18:19]
	s_mov_b64 s[22:23], 0
	s_lshl_b32 s41, s42, 8
	s_mov_b32 s21, s40
.LBB43_28:                              ;   Parent Loop BB43_3 Depth=1
                                        ;     Parent Loop BB43_14 Depth=2
                                        ;       Parent Loop BB43_17 Depth=3
                                        ;         Parent Loop BB43_26 Depth=4
                                        ; =>        This Inner Loop Header: Depth=5
	s_wait_alu 0xfffe
	v_mov_b32_e32 v74, s21
	s_mov_b32 m0, s22
	s_add_nc_u64 s[22:23], s[22:23], 1
	v_movrels_b32_e32 v75, v34
	s_mov_b32 m0, s18
	ds_load_b32 v74, v74
	v_movrels_b32_e32 v76, v34
	s_add_co_i32 s21, s21, -4
	s_wait_alu 0xfffe
	s_cmp_eq_u32 s18, s22
	s_wait_dscnt 0x0
	v_fma_f32 v74, -v75, v74, v76
	s_delay_alu instid0(VALU_DEP_1)
	v_movreld_b32_e32 v34, v74
	s_cbranch_scc0 .LBB43_28
	s_branch .LBB43_25
.LBB43_29:                              ;   in Loop: Header=BB43_14 Depth=2
	s_cmp_gt_i32 s3, -1
	s_cselect_b32 s19, -1, 0
	s_add_co_i32 s18, s16, 1
	s_cmp_lt_u32 s16, 2
	s_cselect_b32 s16, -1, 0
	s_wait_alu 0xfffe
	s_and_b32 s16, s19, s16
	s_delay_alu instid0(SALU_CYCLE_1)
	s_and_b32 vcc_lo, exec_lo, s16
	s_wait_alu 0xfffe
	s_cbranch_vccz .LBB43_31
; %bb.30:                               ;   in Loop: Header=BB43_14 Depth=2
	s_mov_b32 s16, s18
	s_branch .LBB43_14
.LBB43_31:                              ;   in Loop: Header=BB43_3 Depth=1
	s_mov_b32 s3, 0
.LBB43_32:                              ;   in Loop: Header=BB43_3 Depth=1
	s_wait_alu 0xfffe
	s_and_b32 vcc_lo, exec_lo, s3
	s_wait_alu 0xfffe
	s_cbranch_vccz .LBB43_53
; %bb.33:                               ;   in Loop: Header=BB43_3 Depth=1
	s_mov_b32 s3, 0
	s_wait_alu 0xfffe
	s_mov_b32 s16, s3
.LBB43_34:                              ;   Parent Loop BB43_3 Depth=1
                                        ; =>  This Loop Header: Depth=2
                                        ;       Child Loop BB43_37 Depth 3
                                        ;         Child Loop BB43_38 Depth 4
                                        ;         Child Loop BB43_41 Depth 4
                                        ;           Child Loop BB43_42 Depth 5
                                        ;         Child Loop BB43_47 Depth 4
                                        ;           Child Loop BB43_49 Depth 5
	s_getpc_b64 s[18:19]
	s_wait_alu 0xfffe
	s_sext_i32_i16 s19, s19
	s_add_co_u32 s18, s18, __const._ZL38rocblas_trsm_small_left_device_sharedBILi64ELi32ELb1EffPKPKfPKPfEv13rocblas_fill_18rocblas_operation_17rocblas_diagonal_iiT3_T4_lilT5_lili.step_sizes@rel32@lo+12
	s_wait_alu 0xfffe
	s_add_co_ci_u32 s19, s19, __const._ZL38rocblas_trsm_small_left_device_sharedBILi64ELi32ELb1EffPKPKfPKPfEv13rocblas_fill_18rocblas_operation_17rocblas_diagonal_iiT3_T4_lilT5_lili.step_sizes@rel32@hi+24
	s_lshl_b64 s[20:21], s[16:17], 2
	s_wait_alu 0xfffe
	s_add_nc_u64 s[18:19], s[18:19], s[20:21]
	s_load_b32 s22, s[18:19], 0x0
	s_wait_kmcnt 0x0
	s_add_co_i32 s23, s22, -1
	s_wait_alu 0xfffe
	s_add_co_i32 s18, s23, s3
	s_wait_alu 0xfffe
	s_cmp_ge_i32 s18, s25
	s_cbranch_scc1 .LBB43_50
; %bb.35:                               ;   in Loop: Header=BB43_34 Depth=2
	v_lshl_add_u32 v34, s3, 8, v69
	s_max_i32 s31, s22, 1
	s_lshl_b32 s33, s22, 8
	s_lshl_b32 s34, s3, 2
	;; [unrolled: 1-line block ×3, first 2 shown]
	s_mul_i32 s36, s3, 0x104
	s_mul_i32 s37, s22, 0x104
	s_branch .LBB43_37
.LBB43_36:                              ;   in Loop: Header=BB43_37 Depth=3
	s_add_co_i32 s3, s3, s22
	v_add_nc_u32_e32 v34, s33, v34
	s_wait_alu 0xfffe
	s_add_co_i32 s18, s23, s3
	s_add_co_i32 s34, s34, s35
	;; [unrolled: 1-line block ×3, first 2 shown]
	s_wait_alu 0xfffe
	s_cmp_ge_i32 s18, s25
	s_cbranch_scc1 .LBB43_50
.LBB43_37:                              ;   Parent Loop BB43_3 Depth=1
                                        ;     Parent Loop BB43_34 Depth=2
                                        ; =>    This Loop Header: Depth=3
                                        ;         Child Loop BB43_38 Depth 4
                                        ;         Child Loop BB43_41 Depth 4
                                        ;           Child Loop BB43_42 Depth 5
                                        ;         Child Loop BB43_47 Depth 4
                                        ;           Child Loop BB43_49 Depth 5
	v_mov_b32_e32 v35, v34
	s_mov_b64 s[18:19], 0
.LBB43_38:                              ;   Parent Loop BB43_3 Depth=1
                                        ;     Parent Loop BB43_34 Depth=2
                                        ;       Parent Loop BB43_37 Depth=3
                                        ; =>      This Inner Loop Header: Depth=4
	ds_load_b32 v36, v35
	v_add_nc_u32_e32 v35, 0x100, v35
	s_wait_alu 0xfffe
	s_mov_b32 m0, s18
	s_add_nc_u64 s[18:19], s[18:19], 1
	s_wait_alu 0xfffe
	s_cmp_eq_u32 s31, s18
	s_wait_dscnt 0x0
	v_movreld_b32_e32 v2, v36
	s_cbranch_scc0 .LBB43_38
; %bb.39:                               ;   in Loop: Header=BB43_37 Depth=3
	s_cmp_lt_i32 s3, 1
	s_cbranch_scc1 .LBB43_44
; %bb.40:                               ;   in Loop: Header=BB43_37 Depth=3
	s_mov_b32 s20, 0
	s_mov_b32 s21, s34
.LBB43_41:                              ;   Parent Loop BB43_3 Depth=1
                                        ;     Parent Loop BB43_34 Depth=2
                                        ;       Parent Loop BB43_37 Depth=3
                                        ; =>      This Loop Header: Depth=4
                                        ;           Child Loop BB43_42 Depth 5
	s_wait_alu 0xfffe
	v_lshl_add_u32 v35, s20, 8, v69
	s_mov_b64 s[18:19], 0
	s_mov_b32 s38, s21
	ds_load_b32 v35, v35
.LBB43_42:                              ;   Parent Loop BB43_3 Depth=1
                                        ;     Parent Loop BB43_34 Depth=2
                                        ;       Parent Loop BB43_37 Depth=3
                                        ;         Parent Loop BB43_41 Depth=4
                                        ; =>        This Inner Loop Header: Depth=5
	s_wait_alu 0xfffe
	v_mov_b32_e32 v36, s38
	s_mov_b32 m0, s18
	s_add_nc_u64 s[18:19], s[18:19], 1
	v_movrels_b32_e32 v37, v2
	s_add_co_i32 s38, s38, 4
	ds_load_b32 v36, v36
	s_wait_alu 0xfffe
	s_cmp_eq_u32 s31, s18
	s_wait_dscnt 0x0
	v_fma_f32 v36, -v35, v36, v37
	s_delay_alu instid0(VALU_DEP_1)
	v_movreld_b32_e32 v2, v36
	s_cbranch_scc0 .LBB43_42
; %bb.43:                               ;   in Loop: Header=BB43_41 Depth=4
	s_add_co_i32 s20, s20, 1
	s_addk_co_i32 s21, 0x100
	s_wait_alu 0xfffe
	s_cmp_eq_u32 s20, s3
	s_cbranch_scc0 .LBB43_41
.LBB43_44:                              ;   in Loop: Header=BB43_37 Depth=3
	s_mov_b64 s[18:19], 0
	s_mov_b32 s38, s36
	s_branch .LBB43_47
.LBB43_45:                              ;   in Loop: Header=BB43_47 Depth=4
	s_mov_b64 s[20:21], s[18:19]
.LBB43_46:                              ;   in Loop: Header=BB43_47 Depth=4
	s_wait_alu 0xfffe
	s_mov_b32 m0, s20
	s_add_co_i32 s20, s18, s3
	v_movrels_b32_e32 v36, v2
	s_wait_alu 0xfffe
	s_mul_i32 s21, s20, 0x104
	s_add_nc_u64 s[18:19], s[18:19], 1
	s_wait_alu 0xfffe
	v_mov_b32_e32 v35, s21
	s_add_co_i32 s38, s38, 4
	s_cmp_eq_u32 s18, s31
	ds_load_b32 v35, v35
	s_wait_dscnt 0x0
	v_mul_f32_e32 v35, v36, v35
	v_lshl_add_u32 v36, s20, 8, v69
	s_delay_alu instid0(VALU_DEP_2)
	v_movreld_b32_e32 v2, v35
	ds_store_b32 v36, v35
	s_cbranch_scc1 .LBB43_36
.LBB43_47:                              ;   Parent Loop BB43_3 Depth=1
                                        ;     Parent Loop BB43_34 Depth=2
                                        ;       Parent Loop BB43_37 Depth=3
                                        ; =>      This Loop Header: Depth=4
                                        ;           Child Loop BB43_49 Depth 5
	s_mov_b64 s[20:21], 0
	s_wait_alu 0xfffe
	s_cmp_eq_u32 s18, 0
	s_cbranch_scc1 .LBB43_46
; %bb.48:                               ;   in Loop: Header=BB43_47 Depth=4
	s_mov_b32 s39, s38
.LBB43_49:                              ;   Parent Loop BB43_3 Depth=1
                                        ;     Parent Loop BB43_34 Depth=2
                                        ;       Parent Loop BB43_37 Depth=3
                                        ;         Parent Loop BB43_47 Depth=4
                                        ; =>        This Inner Loop Header: Depth=5
	s_wait_alu 0xfffe
	v_mov_b32_e32 v35, s39
	s_mov_b32 m0, s20
	s_add_nc_u64 s[20:21], s[20:21], 1
	v_movrels_b32_e32 v36, v2
	s_mov_b32 m0, s18
	ds_load_b32 v35, v35
	v_movrels_b32_e32 v37, v2
	s_addk_co_i32 s39, 0x100
	s_wait_alu 0xfffe
	s_cmp_eq_u32 s18, s20
	s_wait_dscnt 0x0
	v_fma_f32 v35, -v36, v35, v37
	s_delay_alu instid0(VALU_DEP_1)
	v_movreld_b32_e32 v2, v35
	s_cbranch_scc0 .LBB43_49
	s_branch .LBB43_45
.LBB43_50:                              ;   in Loop: Header=BB43_34 Depth=2
	s_cmp_lt_i32 s3, s25
	s_cselect_b32 s19, -1, 0
	s_add_co_i32 s18, s16, 1
	s_cmp_lt_u32 s16, 2
	s_cselect_b32 s16, -1, 0
	s_wait_alu 0xfffe
	s_and_b32 s16, s19, s16
	s_delay_alu instid0(SALU_CYCLE_1)
	s_and_not1_b32 vcc_lo, exec_lo, s16
	s_wait_alu 0xfffe
	s_cbranch_vccnz .LBB43_52
; %bb.51:                               ;   in Loop: Header=BB43_34 Depth=2
	s_mov_b32 s16, s18
	s_branch .LBB43_34
.LBB43_52:                              ;   in Loop: Header=BB43_3 Depth=1
	v_dual_mov_b32 v65, v33 :: v_dual_mov_b32 v64, v32
	v_dual_mov_b32 v63, v31 :: v_dual_mov_b32 v62, v30
	;; [unrolled: 1-line block ×16, first 2 shown]
.LBB43_53:                              ;   in Loop: Header=BB43_3 Depth=1
	s_wait_loadcnt_dscnt 0x0
	s_barrier_signal -1
	s_barrier_wait -1
	global_inv scope:SCOPE_SE
	s_and_saveexec_b32 s3, s29
	s_cbranch_execz .LBB43_2
; %bb.54:                               ;   in Loop: Header=BB43_3 Depth=1
	v_add_co_u32 v2, vcc_lo, v71, v66
	s_wait_alu 0xfffd
	v_add_co_ci_u32_e64 v3, null, v72, v67, vcc_lo
	v_mov_b32_e32 v4, v69
	s_mov_b32 s16, s25
.LBB43_55:                              ;   Parent Loop BB43_3 Depth=1
                                        ; =>  This Inner Loop Header: Depth=2
	ds_load_b32 v5, v4
	v_add_nc_u32_e32 v4, 0x100, v4
	s_add_co_i32 s16, s16, -1
	s_delay_alu instid0(SALU_CYCLE_1)
	s_cmp_lg_u32 s16, 0
	s_wait_dscnt 0x0
	flat_store_b32 v[2:3], v5
	v_add_co_u32 v2, vcc_lo, v2, 4
	s_wait_alu 0xfffd
	v_add_co_ci_u32_e64 v3, null, 0, v3, vcc_lo
	s_cbranch_scc1 .LBB43_55
	s_branch .LBB43_2
.LBB43_56:
	s_endpgm
	.section	.rodata,"a",@progbits
	.p2align	6, 0x0
	.amdhsa_kernel _ZL38rocblas_trsm_small_left_device_sharedBILi64ELi32ELb1EffPKPKfPKPfEv13rocblas_fill_18rocblas_operation_17rocblas_diagonal_iiT3_T4_lilT5_lili
		.amdhsa_group_segment_fixed_size 32768
		.amdhsa_private_segment_fixed_size 0
		.amdhsa_kernarg_size 352
		.amdhsa_user_sgpr_count 2
		.amdhsa_user_sgpr_dispatch_ptr 0
		.amdhsa_user_sgpr_queue_ptr 0
		.amdhsa_user_sgpr_kernarg_segment_ptr 1
		.amdhsa_user_sgpr_dispatch_id 0
		.amdhsa_user_sgpr_private_segment_size 0
		.amdhsa_wavefront_size32 1
		.amdhsa_uses_dynamic_stack 0
		.amdhsa_enable_private_segment 0
		.amdhsa_system_sgpr_workgroup_id_x 1
		.amdhsa_system_sgpr_workgroup_id_y 0
		.amdhsa_system_sgpr_workgroup_id_z 1
		.amdhsa_system_sgpr_workgroup_info 0
		.amdhsa_system_vgpr_workitem_id 0
		.amdhsa_next_free_vgpr 241
		.amdhsa_next_free_sgpr 43
		.amdhsa_reserve_vcc 1
		.amdhsa_float_round_mode_32 0
		.amdhsa_float_round_mode_16_64 0
		.amdhsa_float_denorm_mode_32 3
		.amdhsa_float_denorm_mode_16_64 3
		.amdhsa_fp16_overflow 0
		.amdhsa_workgroup_processor_mode 1
		.amdhsa_memory_ordered 1
		.amdhsa_forward_progress 1
		.amdhsa_inst_pref_size 23
		.amdhsa_round_robin_scheduling 0
		.amdhsa_exception_fp_ieee_invalid_op 0
		.amdhsa_exception_fp_denorm_src 0
		.amdhsa_exception_fp_ieee_div_zero 0
		.amdhsa_exception_fp_ieee_overflow 0
		.amdhsa_exception_fp_ieee_underflow 0
		.amdhsa_exception_fp_ieee_inexact 0
		.amdhsa_exception_int_div_zero 0
	.end_amdhsa_kernel
	.section	.text._ZL38rocblas_trsm_small_left_device_sharedBILi64ELi32ELb1EffPKPKfPKPfEv13rocblas_fill_18rocblas_operation_17rocblas_diagonal_iiT3_T4_lilT5_lili,"axG",@progbits,_ZL38rocblas_trsm_small_left_device_sharedBILi64ELi32ELb1EffPKPKfPKPfEv13rocblas_fill_18rocblas_operation_17rocblas_diagonal_iiT3_T4_lilT5_lili,comdat
.Lfunc_end43:
	.size	_ZL38rocblas_trsm_small_left_device_sharedBILi64ELi32ELb1EffPKPKfPKPfEv13rocblas_fill_18rocblas_operation_17rocblas_diagonal_iiT3_T4_lilT5_lili, .Lfunc_end43-_ZL38rocblas_trsm_small_left_device_sharedBILi64ELi32ELb1EffPKPKfPKPfEv13rocblas_fill_18rocblas_operation_17rocblas_diagonal_iiT3_T4_lilT5_lili
                                        ; -- End function
	.set _ZL38rocblas_trsm_small_left_device_sharedBILi64ELi32ELb1EffPKPKfPKPfEv13rocblas_fill_18rocblas_operation_17rocblas_diagonal_iiT3_T4_lilT5_lili.num_vgpr, 77
	.set _ZL38rocblas_trsm_small_left_device_sharedBILi64ELi32ELb1EffPKPKfPKPfEv13rocblas_fill_18rocblas_operation_17rocblas_diagonal_iiT3_T4_lilT5_lili.num_agpr, 0
	.set _ZL38rocblas_trsm_small_left_device_sharedBILi64ELi32ELb1EffPKPKfPKPfEv13rocblas_fill_18rocblas_operation_17rocblas_diagonal_iiT3_T4_lilT5_lili.numbered_sgpr, 43
	.set _ZL38rocblas_trsm_small_left_device_sharedBILi64ELi32ELb1EffPKPKfPKPfEv13rocblas_fill_18rocblas_operation_17rocblas_diagonal_iiT3_T4_lilT5_lili.num_named_barrier, 0
	.set _ZL38rocblas_trsm_small_left_device_sharedBILi64ELi32ELb1EffPKPKfPKPfEv13rocblas_fill_18rocblas_operation_17rocblas_diagonal_iiT3_T4_lilT5_lili.private_seg_size, 0
	.set _ZL38rocblas_trsm_small_left_device_sharedBILi64ELi32ELb1EffPKPKfPKPfEv13rocblas_fill_18rocblas_operation_17rocblas_diagonal_iiT3_T4_lilT5_lili.uses_vcc, 1
	.set _ZL38rocblas_trsm_small_left_device_sharedBILi64ELi32ELb1EffPKPKfPKPfEv13rocblas_fill_18rocblas_operation_17rocblas_diagonal_iiT3_T4_lilT5_lili.uses_flat_scratch, 0
	.set _ZL38rocblas_trsm_small_left_device_sharedBILi64ELi32ELb1EffPKPKfPKPfEv13rocblas_fill_18rocblas_operation_17rocblas_diagonal_iiT3_T4_lilT5_lili.has_dyn_sized_stack, 0
	.set _ZL38rocblas_trsm_small_left_device_sharedBILi64ELi32ELb1EffPKPKfPKPfEv13rocblas_fill_18rocblas_operation_17rocblas_diagonal_iiT3_T4_lilT5_lili.has_recursion, 0
	.set _ZL38rocblas_trsm_small_left_device_sharedBILi64ELi32ELb1EffPKPKfPKPfEv13rocblas_fill_18rocblas_operation_17rocblas_diagonal_iiT3_T4_lilT5_lili.has_indirect_call, 0
	.section	.AMDGPU.csdata,"",@progbits
; Kernel info:
; codeLenInByte = 2832
; TotalNumSgprs: 45
; NumVgprs: 77
; ScratchSize: 0
; MemoryBound: 0
; FloatMode: 240
; IeeeMode: 1
; LDSByteSize: 32768 bytes/workgroup (compile time only)
; SGPRBlocks: 0
; VGPRBlocks: 30
; NumSGPRsForWavesPerEU: 45
; NumVGPRsForWavesPerEU: 241
; Occupancy: 2
; WaveLimiterHint : 0
; COMPUTE_PGM_RSRC2:SCRATCH_EN: 0
; COMPUTE_PGM_RSRC2:USER_SGPR: 2
; COMPUTE_PGM_RSRC2:TRAP_HANDLER: 0
; COMPUTE_PGM_RSRC2:TGID_X_EN: 1
; COMPUTE_PGM_RSRC2:TGID_Y_EN: 0
; COMPUTE_PGM_RSRC2:TGID_Z_EN: 1
; COMPUTE_PGM_RSRC2:TIDIG_COMP_CNT: 0
	.section	.text._ZL30rocblas_trsm_small_left_deviceILi64ELi32ELb1EffPKPKfPKPfEv13rocblas_fill_18rocblas_operation_17rocblas_diagonal_iiT3_T4_lilT5_lili,"axG",@progbits,_ZL30rocblas_trsm_small_left_deviceILi64ELi32ELb1EffPKPKfPKPfEv13rocblas_fill_18rocblas_operation_17rocblas_diagonal_iiT3_T4_lilT5_lili,comdat
	.globl	_ZL30rocblas_trsm_small_left_deviceILi64ELi32ELb1EffPKPKfPKPfEv13rocblas_fill_18rocblas_operation_17rocblas_diagonal_iiT3_T4_lilT5_lili ; -- Begin function _ZL30rocblas_trsm_small_left_deviceILi64ELi32ELb1EffPKPKfPKPfEv13rocblas_fill_18rocblas_operation_17rocblas_diagonal_iiT3_T4_lilT5_lili
	.p2align	8
	.type	_ZL30rocblas_trsm_small_left_deviceILi64ELi32ELb1EffPKPKfPKPfEv13rocblas_fill_18rocblas_operation_17rocblas_diagonal_iiT3_T4_lilT5_lili,@function
_ZL30rocblas_trsm_small_left_deviceILi64ELi32ELb1EffPKPKfPKPfEv13rocblas_fill_18rocblas_operation_17rocblas_diagonal_iiT3_T4_lilT5_lili: ; @_ZL30rocblas_trsm_small_left_deviceILi64ELi32ELb1EffPKPKfPKPfEv13rocblas_fill_18rocblas_operation_17rocblas_diagonal_iiT3_T4_lilT5_lili
; %bb.0:
	s_load_b32 s28, s[0:1], 0x58
	s_lshr_b32 s2, ttmp7, 16
	s_wait_kmcnt 0x0
	s_cmp_ge_u32 s2, s28
	s_cbranch_scc1 .LBB44_53
; %bb.1:
	s_clause 0x6
	s_load_b32 s16, s[0:1], 0x28
	s_load_b128 s[12:15], s[0:1], 0x4
	s_load_b32 s3, s[0:1], 0x60
	s_load_b32 s18, s[0:1], 0x48
	s_load_b128 s[4:7], s[0:1], 0x18
	s_load_b128 s[8:11], s[0:1], 0x38
	s_load_b32 s29, s[0:1], 0x14
	s_lshl_b32 s0, ttmp9, 6
	v_dual_mov_b32 v1, 0 :: v_dual_lshlrev_b32 v72, 2, v0
	v_or_b32_e32 v2, s0, v0
	v_lshlrev_b32_e32 v33, 8, v0
	s_mov_b32 s36, 0
	s_delay_alu instid0(VALU_DEP_3)
	v_dual_mov_b32 v31, v1 :: v_dual_mov_b32 v32, v1
	v_dual_mov_b32 v5, v1 :: v_dual_mov_b32 v6, v1
	;; [unrolled: 1-line block ×3, first 2 shown]
	s_wait_kmcnt 0x0
	s_ashr_i32 s17, s16, 31
	s_min_i32 s30, s14, 64
	s_add_co_i32 s3, s3, -1
	v_mad_co_i64_i32 v[2:3], null, s18, v2, 0
	s_sub_co_i32 s0, s15, s0
	s_add_co_i32 s31, s30, -1
	s_wait_alu 0xfffe
	s_cmp_ge_u32 ttmp9, s3
	v_dual_mov_b32 v9, v1 :: v_dual_mov_b32 v10, v1
	s_cselect_b32 s1, s0, 64
	s_cmp_lg_u32 s13, 0x84
	v_lshlrev_b64_e32 v[66:67], 2, v[2:3]
	s_cselect_b32 s33, -1, 0
	s_cmp_lg_u32 s12, 0x6f
	v_mov_b32_e32 v2, v1
	s_cselect_b32 s34, -1, 0
	s_lshl_b64 s[10:11], s[10:11], 2
	v_dual_mov_b32 v3, v1 :: v_dual_mov_b32 v4, v1
	v_dual_mov_b32 v11, v1 :: v_dual_mov_b32 v12, v1
	;; [unrolled: 1-line block ×11, first 2 shown]
	v_add_co_u32 v73, vcc_lo, v66, s10
	v_cmp_gt_i32_e64 s0, s30, v0
	s_wait_alu 0xfffe
	v_cmp_gt_i32_e64 s1, s1, v0
	v_lshlrev_b32_e32 v0, 2, v0
	v_add_nc_u32_e32 v75, v72, v33
	v_mov_b32_e32 v33, v32
	v_add_co_ci_u32_e64 v74, null, s11, v67, vcc_lo
	v_mov_b32_e32 v32, v31
	v_mov_b32_e32 v31, v30
	;; [unrolled: 1-line block ×31, first 2 shown]
	s_lshl_b32 s35, s30, 2
	s_lshl_b64 s[12:13], s[16:17], 2
	s_add_co_i32 s35, s35, -4
	s_mov_b32 s15, 0
	s_lshl_b64 s[6:7], s[6:7], 2
	s_branch .LBB44_5
.LBB44_2:                               ;   in Loop: Header=BB44_5 Depth=1
	v_dual_mov_b32 v65, v33 :: v_dual_mov_b32 v64, v32
	v_dual_mov_b32 v63, v31 :: v_dual_mov_b32 v62, v30
	;; [unrolled: 1-line block ×16, first 2 shown]
.LBB44_3:                               ;   in Loop: Header=BB44_5 Depth=1
	s_add_co_i32 s2, s2, 0x10000
	s_delay_alu instid0(SALU_CYCLE_1) | instskip(SKIP_1) | instid1(SALU_CYCLE_1)
	s_cmp_ge_u32 s2, s28
	s_cselect_b32 s14, -1, 0
	s_or_not1_b32 s14, s14, exec_lo
.LBB44_4:                               ;   in Loop: Header=BB44_5 Depth=1
	s_or_b32 exec_lo, exec_lo, s3
	v_dual_mov_b32 v2, v34 :: v_dual_mov_b32 v3, v35
	v_dual_mov_b32 v4, v36 :: v_dual_mov_b32 v5, v37
	;; [unrolled: 1-line block ×16, first 2 shown]
	s_and_b32 s3, exec_lo, s14
	s_delay_alu instid0(SALU_CYCLE_1) | instskip(NEXT) | instid1(SALU_CYCLE_1)
	s_or_b32 s36, s3, s36
	s_and_not1_b32 exec_lo, exec_lo, s36
	s_cbranch_execz .LBB44_53
.LBB44_5:                               ; =>This Loop Header: Depth=1
                                        ;     Child Loop BB44_7 Depth 2
                                        ;     Child Loop BB44_14 Depth 2
                                        ;       Child Loop BB44_17 Depth 3
                                        ;         Child Loop BB44_18 Depth 4
                                        ;         Child Loop BB44_20 Depth 4
                                        ;           Child Loop BB44_21 Depth 5
                                        ;         Child Loop BB44_26 Depth 4
                                        ;           Child Loop BB44_28 Depth 5
                                        ;     Child Loop BB44_35 Depth 2
                                        ;       Child Loop BB44_38 Depth 3
                                        ;         Child Loop BB44_39 Depth 4
                                        ;         Child Loop BB44_42 Depth 4
                                        ;           Child Loop BB44_43 Depth 5
                                        ;         Child Loop BB44_48 Depth 4
                                        ;           Child Loop BB44_50 Depth 5
	s_mov_b32 s3, s15
	s_delay_alu instid0(SALU_CYCLE_1) | instskip(NEXT) | instid1(SALU_CYCLE_1)
	s_lshl_b64 s[16:17], s[2:3], 3
	s_add_nc_u64 s[18:19], s[8:9], s[16:17]
	global_load_b64 v[68:69], v1, s[18:19]
	s_and_saveexec_b32 s3, s0
	s_cbranch_execz .LBB44_11
; %bb.6:                                ;   in Loop: Header=BB44_5 Depth=1
	s_add_nc_u64 s[16:17], s[4:5], s[16:17]
	v_mov_b32_e32 v36, v72
	global_load_b64 v[34:35], v1, s[16:17]
	s_mov_b32 s14, s30
	s_wait_loadcnt 0x0
	v_add_co_u32 v34, vcc_lo, v34, s6
	s_wait_alu 0xfffd
	v_add_co_ci_u32_e64 v35, null, s7, v35, vcc_lo
	s_delay_alu instid0(VALU_DEP_2) | instskip(SKIP_1) | instid1(VALU_DEP_2)
	v_add_co_u32 v34, vcc_lo, v34, v0
	s_wait_alu 0xfffd
	v_add_co_ci_u32_e64 v35, null, 0, v35, vcc_lo
.LBB44_7:                               ;   Parent Loop BB44_5 Depth=1
                                        ; =>  This Inner Loop Header: Depth=2
	flat_load_b32 v37, v[34:35]
	v_add_co_u32 v34, vcc_lo, v34, s12
	s_wait_alu 0xfffd
	v_add_co_ci_u32_e64 v35, null, s13, v35, vcc_lo
	s_add_co_i32 s14, s14, -1
	s_delay_alu instid0(SALU_CYCLE_1)
	s_cmp_eq_u32 s14, 0
	s_wait_loadcnt_dscnt 0x0
	ds_store_b32 v36, v37
	v_add_nc_u32_e32 v36, 0x100, v36
	s_cbranch_scc0 .LBB44_7
; %bb.8:                                ;   in Loop: Header=BB44_5 Depth=1
	v_mov_b32_e32 v34, 1.0
	s_and_b32 vcc_lo, exec_lo, s33
	s_wait_alu 0xfffe
	s_cbranch_vccz .LBB44_10
; %bb.9:                                ;   in Loop: Header=BB44_5 Depth=1
	ds_load_b32 v34, v75
	s_wait_dscnt 0x0
	v_div_scale_f32 v35, null, v34, v34, 1.0
	s_delay_alu instid0(VALU_DEP_1) | instskip(NEXT) | instid1(TRANS32_DEP_1)
	v_rcp_f32_e32 v36, v35
	v_fma_f32 v37, -v35, v36, 1.0
	s_delay_alu instid0(VALU_DEP_1) | instskip(SKIP_1) | instid1(VALU_DEP_1)
	v_fmac_f32_e32 v36, v37, v36
	v_div_scale_f32 v37, vcc_lo, 1.0, v34, 1.0
	v_mul_f32_e32 v38, v37, v36
	s_delay_alu instid0(VALU_DEP_1) | instskip(NEXT) | instid1(VALU_DEP_1)
	v_fma_f32 v39, -v35, v38, v37
	v_fmac_f32_e32 v38, v39, v36
	s_delay_alu instid0(VALU_DEP_1) | instskip(SKIP_1) | instid1(VALU_DEP_1)
	v_fma_f32 v35, -v35, v38, v37
	s_wait_alu 0xfffd
	v_div_fmas_f32 v35, v35, v36, v38
	s_delay_alu instid0(VALU_DEP_1)
	v_div_fixup_f32 v34, v35, v34, 1.0
.LBB44_10:                              ;   in Loop: Header=BB44_5 Depth=1
	ds_store_b32 v75, v34
.LBB44_11:                              ;   in Loop: Header=BB44_5 Depth=1
	s_or_b32 exec_lo, exec_lo, s3
	s_mov_b32 s14, -1
	s_wait_loadcnt_dscnt 0x0
	s_barrier_signal -1
	s_barrier_wait -1
	global_inv scope:SCOPE_SE
                                        ; implicit-def: $vgpr34_vgpr35_vgpr36_vgpr37_vgpr38_vgpr39_vgpr40_vgpr41_vgpr42_vgpr43_vgpr44_vgpr45_vgpr46_vgpr47_vgpr48_vgpr49_vgpr50_vgpr51_vgpr52_vgpr53_vgpr54_vgpr55_vgpr56_vgpr57_vgpr58_vgpr59_vgpr60_vgpr61_vgpr62_vgpr63_vgpr64_vgpr65
	s_and_saveexec_b32 s3, s1
	s_cbranch_execz .LBB44_4
; %bb.12:                               ;   in Loop: Header=BB44_5 Depth=1
	v_add_co_u32 v34, vcc_lo, v68, s10
	s_wait_alu 0xfffd
	v_add_co_ci_u32_e64 v35, null, s11, v69, vcc_lo
	s_delay_alu instid0(VALU_DEP_2) | instskip(SKIP_1) | instid1(VALU_DEP_2)
	v_add_co_u32 v76, vcc_lo, v34, v66
	s_wait_alu 0xfffd
	v_add_co_ci_u32_e64 v77, null, v35, v67, vcc_lo
	s_and_not1_b32 vcc_lo, exec_lo, s34
                                        ; implicit-def: $vgpr34_vgpr35_vgpr36_vgpr37_vgpr38_vgpr39_vgpr40_vgpr41_vgpr42_vgpr43_vgpr44_vgpr45_vgpr46_vgpr47_vgpr48_vgpr49_vgpr50_vgpr51_vgpr52_vgpr53_vgpr54_vgpr55_vgpr56_vgpr57_vgpr58_vgpr59_vgpr60_vgpr61_vgpr62_vgpr63_vgpr64_vgpr65
	s_wait_alu 0xfffe
	s_cbranch_vccnz .LBB44_33
; %bb.13:                               ;   in Loop: Header=BB44_5 Depth=1
	v_add_co_u32 v78, vcc_lo, v68, v73
	v_dual_mov_b32 v65, v33 :: v_dual_mov_b32 v64, v32
	v_dual_mov_b32 v63, v31 :: v_dual_mov_b32 v62, v30
	;; [unrolled: 1-line block ×16, first 2 shown]
	s_wait_alu 0xfffd
	v_add_co_ci_u32_e64 v79, null, v69, v74, vcc_lo
	s_mov_b32 s14, 0
	s_mov_b32 s16, s31
.LBB44_14:                              ;   Parent Loop BB44_5 Depth=1
                                        ; =>  This Loop Header: Depth=2
                                        ;       Child Loop BB44_17 Depth 3
                                        ;         Child Loop BB44_18 Depth 4
                                        ;         Child Loop BB44_20 Depth 4
                                        ;           Child Loop BB44_21 Depth 5
                                        ;         Child Loop BB44_26 Depth 4
                                        ;           Child Loop BB44_28 Depth 5
	s_getpc_b64 s[18:19]
	s_wait_alu 0xfffe
	s_sext_i32_i16 s19, s19
	s_add_co_u32 s18, s18, __const._ZL30rocblas_trsm_small_left_deviceILi64ELi32ELb1EffPKPKfPKPfEv13rocblas_fill_18rocblas_operation_17rocblas_diagonal_iiT3_T4_lilT5_lili.step_sizes@rel32@lo+12
	s_wait_alu 0xfffe
	s_add_co_ci_u32 s19, s19, __const._ZL30rocblas_trsm_small_left_deviceILi64ELi32ELb1EffPKPKfPKPfEv13rocblas_fill_18rocblas_operation_17rocblas_diagonal_iiT3_T4_lilT5_lili.step_sizes@rel32@hi+24
	s_lshl_b64 s[20:21], s[14:15], 2
	s_wait_alu 0xfffe
	s_add_nc_u64 s[18:19], s[18:19], s[20:21]
	s_load_b32 s26, s[18:19], 0x0
	s_wait_kmcnt 0x0
	s_add_co_i32 s27, s26, -1
	s_wait_alu 0xfffe
	s_cmp_lt_i32 s16, s27
	s_cbranch_scc1 .LBB44_30
; %bb.15:                               ;   in Loop: Header=BB44_14 Depth=2
	s_lshl_b32 s17, s16, 8
	s_lshl_b32 s18, s26, 8
	s_max_i32 s37, s26, 1
	s_add_co_i32 s38, s35, s17
	s_wait_alu 0xfffe
	s_sub_co_i32 s39, 0, s18
	s_mul_i32 s40, s16, 0x104
	s_mul_i32 s41, s26, 0xfffffefc
	s_branch .LBB44_17
.LBB44_16:                              ;   in Loop: Header=BB44_17 Depth=3
	s_sub_co_i32 s16, s16, s26
	s_add_co_i32 s38, s38, s39
	s_add_co_i32 s40, s40, s41
	s_cmp_lt_i32 s16, s27
	s_cbranch_scc1 .LBB44_30
.LBB44_17:                              ;   Parent Loop BB44_5 Depth=1
                                        ;     Parent Loop BB44_14 Depth=2
                                        ; =>    This Loop Header: Depth=3
                                        ;         Child Loop BB44_18 Depth 4
                                        ;         Child Loop BB44_20 Depth 4
                                        ;           Child Loop BB44_21 Depth 5
                                        ;         Child Loop BB44_26 Depth 4
                                        ;           Child Loop BB44_28 Depth 5
	s_ashr_i32 s17, s16, 31
	s_delay_alu instid0(SALU_CYCLE_1)
	s_lshl_b64 s[18:19], s[16:17], 2
	s_wait_alu 0xfffe
	v_add_co_u32 v70, vcc_lo, v78, s18
	s_wait_alu 0xfffd
	v_add_co_ci_u32_e64 v71, null, s19, v79, vcc_lo
	s_mov_b64 s[18:19], 0
.LBB44_18:                              ;   Parent Loop BB44_5 Depth=1
                                        ;     Parent Loop BB44_14 Depth=2
                                        ;       Parent Loop BB44_17 Depth=3
                                        ; =>      This Inner Loop Header: Depth=4
	flat_load_b32 v80, v[70:71]
	v_add_co_u32 v70, vcc_lo, v70, -4
	s_wait_alu 0xfffd
	v_add_co_ci_u32_e64 v71, null, -1, v71, vcc_lo
	s_wait_alu 0xfffe
	s_mov_b32 m0, s18
	s_add_nc_u64 s[18:19], s[18:19], 1
	s_wait_alu 0xfffe
	s_cmp_eq_u32 s37, s18
	s_wait_loadcnt_dscnt 0x0
	v_mul_f32_e32 v80, s29, v80
	s_delay_alu instid0(VALU_DEP_1)
	v_movreld_b32_e32 v34, v80
	s_cbranch_scc0 .LBB44_18
; %bb.19:                               ;   in Loop: Header=BB44_17 Depth=3
	s_cmp_le_i32 s31, s16
	s_mov_b32 s22, s38
	s_mov_b32 s18, s31
	s_cbranch_scc1 .LBB44_23
.LBB44_20:                              ;   Parent Loop BB44_5 Depth=1
                                        ;     Parent Loop BB44_14 Depth=2
                                        ;       Parent Loop BB44_17 Depth=3
                                        ; =>      This Loop Header: Depth=4
                                        ;           Child Loop BB44_21 Depth 5
	s_wait_alu 0xfffe
	s_ashr_i32 s19, s18, 31
	s_wait_alu 0xfffe
	s_lshl_b64 s[20:21], s[18:19], 2
	s_mov_b32 s19, s22
	s_wait_alu 0xfffe
	v_add_co_u32 v70, vcc_lo, v76, s20
	s_wait_alu 0xfffd
	v_add_co_ci_u32_e64 v71, null, s21, v77, vcc_lo
	s_mov_b64 s[20:21], 0
	flat_load_b32 v70, v[70:71]
.LBB44_21:                              ;   Parent Loop BB44_5 Depth=1
                                        ;     Parent Loop BB44_14 Depth=2
                                        ;       Parent Loop BB44_17 Depth=3
                                        ;         Parent Loop BB44_20 Depth=4
                                        ; =>        This Inner Loop Header: Depth=5
	s_wait_alu 0xfffe
	v_mov_b32_e32 v71, s19
	s_mov_b32 m0, s20
	s_add_nc_u64 s[20:21], s[20:21], 1
	v_movrels_b32_e32 v80, v34
	s_addk_co_i32 s19, 0xff00
	ds_load_b32 v71, v71
	s_wait_alu 0xfffe
	s_cmp_eq_u32 s37, s20
	s_wait_loadcnt_dscnt 0x0
	v_fma_f32 v71, -v70, v71, v80
	s_delay_alu instid0(VALU_DEP_1)
	v_movreld_b32_e32 v34, v71
	s_cbranch_scc0 .LBB44_21
; %bb.22:                               ;   in Loop: Header=BB44_20 Depth=4
	s_add_co_i32 s18, s18, -1
	s_add_co_i32 s22, s22, -4
	s_wait_alu 0xfffe
	s_cmp_le_i32 s18, s16
	s_cbranch_scc0 .LBB44_20
.LBB44_23:                              ;   in Loop: Header=BB44_17 Depth=3
	s_mov_b64 s[18:19], 0
	s_mov_b32 s42, s40
	s_branch .LBB44_26
.LBB44_24:                              ;   in Loop: Header=BB44_26 Depth=4
	s_mov_b32 s22, s16
	s_mov_b64 s[20:21], 0
	s_mov_b64 s[24:25], s[16:17]
.LBB44_25:                              ;   in Loop: Header=BB44_26 Depth=4
	s_wait_alu 0xfffe
	s_mov_b32 m0, s20
	s_mul_i32 s20, s22, 0x104
	v_movrels_b32_e32 v71, v34
	s_wait_alu 0xfffe
	v_mov_b32_e32 v70, s20
	s_lshl_b64 s[20:21], s[24:25], 2
	s_add_nc_u64 s[18:19], s[18:19], 1
	s_addk_co_i32 s42, 0xff00
	s_wait_alu 0xfffe
	s_cmp_eq_u32 s18, s37
	ds_load_b32 v70, v70
	s_wait_dscnt 0x0
	v_mul_f32_e32 v80, v71, v70
	v_add_co_u32 v70, vcc_lo, v76, s20
	s_wait_alu 0xfffd
	v_add_co_ci_u32_e64 v71, null, s21, v77, vcc_lo
	s_delay_alu instid0(VALU_DEP_3)
	v_movreld_b32_e32 v34, v80
	flat_store_b32 v[70:71], v80
	s_cbranch_scc1 .LBB44_16
.LBB44_26:                              ;   Parent Loop BB44_5 Depth=1
                                        ;     Parent Loop BB44_14 Depth=2
                                        ;       Parent Loop BB44_17 Depth=3
                                        ; =>      This Loop Header: Depth=4
                                        ;           Child Loop BB44_28 Depth 5
	s_wait_alu 0xfffe
	s_cmp_eq_u32 s18, 0
	s_cbranch_scc1 .LBB44_24
; %bb.27:                               ;   in Loop: Header=BB44_26 Depth=4
	s_mov_b64 s[20:21], s[18:19]
	s_mov_b64 s[22:23], 0
	s_mov_b32 s21, s42
.LBB44_28:                              ;   Parent Loop BB44_5 Depth=1
                                        ;     Parent Loop BB44_14 Depth=2
                                        ;       Parent Loop BB44_17 Depth=3
                                        ;         Parent Loop BB44_26 Depth=4
                                        ; =>        This Inner Loop Header: Depth=5
	s_wait_alu 0xfffe
	v_mov_b32_e32 v70, s21
	s_mov_b32 m0, s22
	s_add_nc_u64 s[22:23], s[22:23], 1
	v_movrels_b32_e32 v71, v34
	s_mov_b32 m0, s18
	ds_load_b32 v70, v70
	v_movrels_b32_e32 v80, v34
	s_add_co_i32 s21, s21, -4
	s_wait_alu 0xfffe
	s_cmp_eq_u32 s18, s22
	s_wait_dscnt 0x0
	v_fma_f32 v70, -v71, v70, v80
	s_delay_alu instid0(VALU_DEP_1)
	v_movreld_b32_e32 v34, v70
	s_cbranch_scc0 .LBB44_28
; %bb.29:                               ;   in Loop: Header=BB44_26 Depth=4
	s_sub_co_i32 s22, s16, s18
	s_wait_alu 0xfffe
	s_ashr_i32 s23, s22, 31
	s_wait_alu 0xfffe
	s_mov_b64 s[24:25], s[22:23]
	s_branch .LBB44_25
.LBB44_30:                              ;   in Loop: Header=BB44_14 Depth=2
	s_cmp_gt_i32 s16, -1
	s_cselect_b32 s18, -1, 0
	s_add_co_i32 s17, s14, 1
	s_cmp_lt_u32 s14, 2
	s_cselect_b32 s14, -1, 0
	s_wait_alu 0xfffe
	s_and_b32 s14, s18, s14
	s_delay_alu instid0(SALU_CYCLE_1)
	s_and_b32 vcc_lo, exec_lo, s14
	s_wait_alu 0xfffe
	s_cbranch_vccz .LBB44_32
; %bb.31:                               ;   in Loop: Header=BB44_14 Depth=2
	s_mov_b32 s14, s17
	s_branch .LBB44_14
.LBB44_32:                              ;   in Loop: Header=BB44_5 Depth=1
	s_mov_b32 s14, 0
.LBB44_33:                              ;   in Loop: Header=BB44_5 Depth=1
	s_delay_alu instid0(SALU_CYCLE_1)
	s_and_b32 vcc_lo, exec_lo, s14
	s_wait_alu 0xfffe
	s_cbranch_vccz .LBB44_3
; %bb.34:                               ;   in Loop: Header=BB44_5 Depth=1
	v_add_co_u32 v38, vcc_lo, v68, v73
	s_wait_alu 0xfffd
	v_add_co_ci_u32_e64 v39, null, v69, v74, vcc_lo
	s_mov_b32 s16, 0
	s_mov_b32 s18, 0
.LBB44_35:                              ;   Parent Loop BB44_5 Depth=1
                                        ; =>  This Loop Header: Depth=2
                                        ;       Child Loop BB44_38 Depth 3
                                        ;         Child Loop BB44_39 Depth 4
                                        ;         Child Loop BB44_42 Depth 4
                                        ;           Child Loop BB44_43 Depth 5
                                        ;         Child Loop BB44_48 Depth 4
                                        ;           Child Loop BB44_50 Depth 5
	s_mov_b32 s19, s15
	s_getpc_b64 s[20:21]
	s_wait_alu 0xfffe
	s_sext_i32_i16 s21, s21
	s_add_co_u32 s20, s20, __const._ZL30rocblas_trsm_small_left_deviceILi64ELi32ELb1EffPKPKfPKPfEv13rocblas_fill_18rocblas_operation_17rocblas_diagonal_iiT3_T4_lilT5_lili.step_sizes@rel32@lo+12
	s_wait_alu 0xfffe
	s_add_co_ci_u32 s21, s21, __const._ZL30rocblas_trsm_small_left_deviceILi64ELi32ELb1EffPKPKfPKPfEv13rocblas_fill_18rocblas_operation_17rocblas_diagonal_iiT3_T4_lilT5_lili.step_sizes@rel32@hi+24
	s_lshl_b64 s[22:23], s[18:19], 2
	s_wait_alu 0xfffe
	s_add_nc_u64 s[20:21], s[20:21], s[22:23]
	s_load_b32 s20, s[20:21], 0x0
	s_wait_kmcnt 0x0
	s_add_co_i32 s19, s20, -1
	s_wait_alu 0xfffe
	s_add_co_i32 s14, s19, s16
	s_delay_alu instid0(SALU_CYCLE_1)
	s_cmp_ge_i32 s14, s30
	s_cbranch_scc1 .LBB44_51
; %bb.36:                               ;   in Loop: Header=BB44_35 Depth=2
	s_ashr_i32 s17, s16, 31
	s_ashr_i32 s21, s20, 31
	s_lshl_b64 s[22:23], s[16:17], 2
	s_max_i32 s37, s20, 1
	s_wait_alu 0xfffe
	v_add_co_u32 v34, vcc_lo, v38, s22
	s_wait_alu 0xfffd
	v_add_co_ci_u32_e64 v35, null, s23, v39, vcc_lo
	s_lshl_b64 s[22:23], s[20:21], 2
	s_lshl_b32 s17, s16, 2
	s_lshl_b32 s21, s20, 2
	s_mul_i32 s38, s16, 0x104
	s_mul_i32 s39, s20, 0x104
	s_branch .LBB44_38
.LBB44_37:                              ;   in Loop: Header=BB44_38 Depth=3
	v_add_co_u32 v34, vcc_lo, v34, s22
	s_add_co_i32 s16, s16, s20
	s_wait_alu 0xfffd
	v_add_co_ci_u32_e64 v35, null, s23, v35, vcc_lo
	s_add_co_i32 s14, s19, s16
	s_add_co_i32 s17, s17, s21
	;; [unrolled: 1-line block ×3, first 2 shown]
	s_cmp_ge_i32 s14, s30
	s_cbranch_scc1 .LBB44_51
.LBB44_38:                              ;   Parent Loop BB44_5 Depth=1
                                        ;     Parent Loop BB44_35 Depth=2
                                        ; =>    This Loop Header: Depth=3
                                        ;         Child Loop BB44_39 Depth 4
                                        ;         Child Loop BB44_42 Depth 4
                                        ;           Child Loop BB44_43 Depth 5
                                        ;         Child Loop BB44_48 Depth 4
                                        ;           Child Loop BB44_50 Depth 5
	v_dual_mov_b32 v37, v35 :: v_dual_mov_b32 v36, v34
	s_mov_b64 s[24:25], 0
.LBB44_39:                              ;   Parent Loop BB44_5 Depth=1
                                        ;     Parent Loop BB44_35 Depth=2
                                        ;       Parent Loop BB44_38 Depth=3
                                        ; =>      This Inner Loop Header: Depth=4
	flat_load_b32 v40, v[36:37]
	v_add_co_u32 v36, vcc_lo, v36, 4
	s_wait_alu 0xfffd
	v_add_co_ci_u32_e64 v37, null, 0, v37, vcc_lo
	s_wait_alu 0xfffe
	s_mov_b32 m0, s24
	s_add_nc_u64 s[24:25], s[24:25], 1
	s_wait_alu 0xfffe
	s_cmp_eq_u32 s37, s24
	s_wait_loadcnt_dscnt 0x0
	v_mul_f32_e32 v40, s29, v40
	s_delay_alu instid0(VALU_DEP_1)
	v_movreld_b32_e32 v2, v40
	s_cbranch_scc0 .LBB44_39
; %bb.40:                               ;   in Loop: Header=BB44_38 Depth=3
	s_cmp_lt_i32 s16, 1
	s_cbranch_scc1 .LBB44_45
; %bb.41:                               ;   in Loop: Header=BB44_38 Depth=3
	s_mov_b32 s14, 0
	s_mov_b32 s26, s17
.LBB44_42:                              ;   Parent Loop BB44_5 Depth=1
                                        ;     Parent Loop BB44_35 Depth=2
                                        ;       Parent Loop BB44_38 Depth=3
                                        ; =>      This Loop Header: Depth=4
                                        ;           Child Loop BB44_43 Depth 5
	s_lshl_b64 s[24:25], s[14:15], 2
	s_wait_alu 0xfffe
	s_mov_b32 s27, s26
	v_add_co_u32 v36, vcc_lo, v76, s24
	s_wait_alu 0xfffd
	v_add_co_ci_u32_e64 v37, null, s25, v77, vcc_lo
	s_mov_b64 s[24:25], 0
	flat_load_b32 v36, v[36:37]
.LBB44_43:                              ;   Parent Loop BB44_5 Depth=1
                                        ;     Parent Loop BB44_35 Depth=2
                                        ;       Parent Loop BB44_38 Depth=3
                                        ;         Parent Loop BB44_42 Depth=4
                                        ; =>        This Inner Loop Header: Depth=5
	s_wait_alu 0xfffe
	v_mov_b32_e32 v37, s27
	s_mov_b32 m0, s24
	s_add_nc_u64 s[24:25], s[24:25], 1
	v_movrels_b32_e32 v40, v2
	s_add_co_i32 s27, s27, 4
	ds_load_b32 v37, v37
	s_wait_alu 0xfffe
	s_cmp_eq_u32 s37, s24
	s_wait_loadcnt_dscnt 0x0
	v_fma_f32 v37, -v36, v37, v40
	s_delay_alu instid0(VALU_DEP_1)
	v_movreld_b32_e32 v2, v37
	s_cbranch_scc0 .LBB44_43
; %bb.44:                               ;   in Loop: Header=BB44_42 Depth=4
	s_add_co_i32 s14, s14, 1
	s_addk_co_i32 s26, 0x100
	s_cmp_eq_u32 s14, s16
	s_cbranch_scc0 .LBB44_42
.LBB44_45:                              ;   in Loop: Header=BB44_38 Depth=3
	s_mov_b64 s[24:25], 0
	s_mov_b32 s14, s38
	s_branch .LBB44_48
.LBB44_46:                              ;   in Loop: Header=BB44_48 Depth=4
	s_mov_b64 s[26:27], s[24:25]
.LBB44_47:                              ;   in Loop: Header=BB44_48 Depth=4
	s_wait_alu 0xfffe
	s_mov_b32 m0, s26
	s_add_co_i32 s26, s24, s16
	v_movrels_b32_e32 v37, v2
	s_wait_alu 0xfffe
	s_mul_i32 s27, s26, 0x104
	s_add_nc_u64 s[24:25], s[24:25], 1
	s_wait_alu 0xfffe
	v_mov_b32_e32 v36, s27
	s_ashr_i32 s27, s26, 31
	s_add_co_i32 s14, s14, 4
	s_wait_alu 0xfffe
	s_lshl_b64 s[26:27], s[26:27], 2
	s_cmp_eq_u32 s24, s37
	ds_load_b32 v36, v36
	s_wait_dscnt 0x0
	v_mul_f32_e32 v40, v37, v36
	s_wait_alu 0xfffe
	v_add_co_u32 v36, vcc_lo, v76, s26
	s_wait_alu 0xfffd
	v_add_co_ci_u32_e64 v37, null, s27, v77, vcc_lo
	v_movreld_b32_e32 v2, v40
	flat_store_b32 v[36:37], v40
	s_cbranch_scc1 .LBB44_37
.LBB44_48:                              ;   Parent Loop BB44_5 Depth=1
                                        ;     Parent Loop BB44_35 Depth=2
                                        ;       Parent Loop BB44_38 Depth=3
                                        ; =>      This Loop Header: Depth=4
                                        ;           Child Loop BB44_50 Depth 5
	s_mov_b64 s[26:27], 0
	s_wait_alu 0xfffe
	s_cmp_eq_u32 s24, 0
	s_cbranch_scc1 .LBB44_47
; %bb.49:                               ;   in Loop: Header=BB44_48 Depth=4
	s_mov_b32 s40, s14
.LBB44_50:                              ;   Parent Loop BB44_5 Depth=1
                                        ;     Parent Loop BB44_35 Depth=2
                                        ;       Parent Loop BB44_38 Depth=3
                                        ;         Parent Loop BB44_48 Depth=4
                                        ; =>        This Inner Loop Header: Depth=5
	s_wait_alu 0xfffe
	v_mov_b32_e32 v36, s40
	s_mov_b32 m0, s26
	s_add_nc_u64 s[26:27], s[26:27], 1
	v_movrels_b32_e32 v37, v2
	s_mov_b32 m0, s24
	ds_load_b32 v36, v36
	v_movrels_b32_e32 v40, v2
	s_addk_co_i32 s40, 0x100
	s_wait_alu 0xfffe
	s_cmp_eq_u32 s24, s26
	s_wait_dscnt 0x0
	v_fma_f32 v36, -v37, v36, v40
	s_delay_alu instid0(VALU_DEP_1)
	v_movreld_b32_e32 v2, v36
	s_cbranch_scc0 .LBB44_50
	s_branch .LBB44_46
.LBB44_51:                              ;   in Loop: Header=BB44_35 Depth=2
	s_cmp_lt_i32 s16, s30
	s_cselect_b32 s17, -1, 0
	s_add_co_i32 s14, s18, 1
	s_cmp_lt_u32 s18, 2
	s_cselect_b32 s18, -1, 0
	s_wait_alu 0xfffe
	s_and_b32 s17, s17, s18
	s_delay_alu instid0(SALU_CYCLE_1)
	s_and_not1_b32 vcc_lo, exec_lo, s17
	s_wait_alu 0xfffe
	s_cbranch_vccnz .LBB44_2
; %bb.52:                               ;   in Loop: Header=BB44_35 Depth=2
	s_mov_b32 s18, s14
	s_branch .LBB44_35
.LBB44_53:
	s_endpgm
	.section	.rodata,"a",@progbits
	.p2align	6, 0x0
	.amdhsa_kernel _ZL30rocblas_trsm_small_left_deviceILi64ELi32ELb1EffPKPKfPKPfEv13rocblas_fill_18rocblas_operation_17rocblas_diagonal_iiT3_T4_lilT5_lili
		.amdhsa_group_segment_fixed_size 16384
		.amdhsa_private_segment_fixed_size 0
		.amdhsa_kernarg_size 352
		.amdhsa_user_sgpr_count 2
		.amdhsa_user_sgpr_dispatch_ptr 0
		.amdhsa_user_sgpr_queue_ptr 0
		.amdhsa_user_sgpr_kernarg_segment_ptr 1
		.amdhsa_user_sgpr_dispatch_id 0
		.amdhsa_user_sgpr_private_segment_size 0
		.amdhsa_wavefront_size32 1
		.amdhsa_uses_dynamic_stack 0
		.amdhsa_enable_private_segment 0
		.amdhsa_system_sgpr_workgroup_id_x 1
		.amdhsa_system_sgpr_workgroup_id_y 0
		.amdhsa_system_sgpr_workgroup_id_z 1
		.amdhsa_system_sgpr_workgroup_info 0
		.amdhsa_system_vgpr_workitem_id 0
		.amdhsa_next_free_vgpr 241
		.amdhsa_next_free_sgpr 43
		.amdhsa_reserve_vcc 1
		.amdhsa_float_round_mode_32 0
		.amdhsa_float_round_mode_16_64 0
		.amdhsa_float_denorm_mode_32 3
		.amdhsa_float_denorm_mode_16_64 3
		.amdhsa_fp16_overflow 0
		.amdhsa_workgroup_processor_mode 1
		.amdhsa_memory_ordered 1
		.amdhsa_forward_progress 1
		.amdhsa_inst_pref_size 23
		.amdhsa_round_robin_scheduling 0
		.amdhsa_exception_fp_ieee_invalid_op 0
		.amdhsa_exception_fp_denorm_src 0
		.amdhsa_exception_fp_ieee_div_zero 0
		.amdhsa_exception_fp_ieee_overflow 0
		.amdhsa_exception_fp_ieee_underflow 0
		.amdhsa_exception_fp_ieee_inexact 0
		.amdhsa_exception_int_div_zero 0
	.end_amdhsa_kernel
	.section	.text._ZL30rocblas_trsm_small_left_deviceILi64ELi32ELb1EffPKPKfPKPfEv13rocblas_fill_18rocblas_operation_17rocblas_diagonal_iiT3_T4_lilT5_lili,"axG",@progbits,_ZL30rocblas_trsm_small_left_deviceILi64ELi32ELb1EffPKPKfPKPfEv13rocblas_fill_18rocblas_operation_17rocblas_diagonal_iiT3_T4_lilT5_lili,comdat
.Lfunc_end44:
	.size	_ZL30rocblas_trsm_small_left_deviceILi64ELi32ELb1EffPKPKfPKPfEv13rocblas_fill_18rocblas_operation_17rocblas_diagonal_iiT3_T4_lilT5_lili, .Lfunc_end44-_ZL30rocblas_trsm_small_left_deviceILi64ELi32ELb1EffPKPKfPKPfEv13rocblas_fill_18rocblas_operation_17rocblas_diagonal_iiT3_T4_lilT5_lili
                                        ; -- End function
	.set _ZL30rocblas_trsm_small_left_deviceILi64ELi32ELb1EffPKPKfPKPfEv13rocblas_fill_18rocblas_operation_17rocblas_diagonal_iiT3_T4_lilT5_lili.num_vgpr, 81
	.set _ZL30rocblas_trsm_small_left_deviceILi64ELi32ELb1EffPKPKfPKPfEv13rocblas_fill_18rocblas_operation_17rocblas_diagonal_iiT3_T4_lilT5_lili.num_agpr, 0
	.set _ZL30rocblas_trsm_small_left_deviceILi64ELi32ELb1EffPKPKfPKPfEv13rocblas_fill_18rocblas_operation_17rocblas_diagonal_iiT3_T4_lilT5_lili.numbered_sgpr, 43
	.set _ZL30rocblas_trsm_small_left_deviceILi64ELi32ELb1EffPKPKfPKPfEv13rocblas_fill_18rocblas_operation_17rocblas_diagonal_iiT3_T4_lilT5_lili.num_named_barrier, 0
	.set _ZL30rocblas_trsm_small_left_deviceILi64ELi32ELb1EffPKPKfPKPfEv13rocblas_fill_18rocblas_operation_17rocblas_diagonal_iiT3_T4_lilT5_lili.private_seg_size, 0
	.set _ZL30rocblas_trsm_small_left_deviceILi64ELi32ELb1EffPKPKfPKPfEv13rocblas_fill_18rocblas_operation_17rocblas_diagonal_iiT3_T4_lilT5_lili.uses_vcc, 1
	.set _ZL30rocblas_trsm_small_left_deviceILi64ELi32ELb1EffPKPKfPKPfEv13rocblas_fill_18rocblas_operation_17rocblas_diagonal_iiT3_T4_lilT5_lili.uses_flat_scratch, 0
	.set _ZL30rocblas_trsm_small_left_deviceILi64ELi32ELb1EffPKPKfPKPfEv13rocblas_fill_18rocblas_operation_17rocblas_diagonal_iiT3_T4_lilT5_lili.has_dyn_sized_stack, 0
	.set _ZL30rocblas_trsm_small_left_deviceILi64ELi32ELb1EffPKPKfPKPfEv13rocblas_fill_18rocblas_operation_17rocblas_diagonal_iiT3_T4_lilT5_lili.has_recursion, 0
	.set _ZL30rocblas_trsm_small_left_deviceILi64ELi32ELb1EffPKPKfPKPfEv13rocblas_fill_18rocblas_operation_17rocblas_diagonal_iiT3_T4_lilT5_lili.has_indirect_call, 0
	.section	.AMDGPU.csdata,"",@progbits
; Kernel info:
; codeLenInByte = 2848
; TotalNumSgprs: 45
; NumVgprs: 81
; ScratchSize: 0
; MemoryBound: 0
; FloatMode: 240
; IeeeMode: 1
; LDSByteSize: 16384 bytes/workgroup (compile time only)
; SGPRBlocks: 0
; VGPRBlocks: 30
; NumSGPRsForWavesPerEU: 45
; NumVGPRsForWavesPerEU: 241
; Occupancy: 4
; WaveLimiterHint : 1
; COMPUTE_PGM_RSRC2:SCRATCH_EN: 0
; COMPUTE_PGM_RSRC2:USER_SGPR: 2
; COMPUTE_PGM_RSRC2:TRAP_HANDLER: 0
; COMPUTE_PGM_RSRC2:TGID_X_EN: 1
; COMPUTE_PGM_RSRC2:TGID_Y_EN: 0
; COMPUTE_PGM_RSRC2:TGID_Z_EN: 1
; COMPUTE_PGM_RSRC2:TIDIG_COMP_CNT: 0
	.section	.text._ZL31rocblas_trsm_small_right_deviceIffPKPKfPKPfLi64EEv13rocblas_fill_18rocblas_operation_17rocblas_diagonal_iiT0_T1_lilT2_lili,"axG",@progbits,_ZL31rocblas_trsm_small_right_deviceIffPKPKfPKPfLi64EEv13rocblas_fill_18rocblas_operation_17rocblas_diagonal_iiT0_T1_lilT2_lili,comdat
	.globl	_ZL31rocblas_trsm_small_right_deviceIffPKPKfPKPfLi64EEv13rocblas_fill_18rocblas_operation_17rocblas_diagonal_iiT0_T1_lilT2_lili ; -- Begin function _ZL31rocblas_trsm_small_right_deviceIffPKPKfPKPfLi64EEv13rocblas_fill_18rocblas_operation_17rocblas_diagonal_iiT0_T1_lilT2_lili
	.p2align	8
	.type	_ZL31rocblas_trsm_small_right_deviceIffPKPKfPKPfLi64EEv13rocblas_fill_18rocblas_operation_17rocblas_diagonal_iiT0_T1_lilT2_lili,@function
_ZL31rocblas_trsm_small_right_deviceIffPKPKfPKPfLi64EEv13rocblas_fill_18rocblas_operation_17rocblas_diagonal_iiT0_T1_lilT2_lili: ; @_ZL31rocblas_trsm_small_right_deviceIffPKPKfPKPfLi64EEv13rocblas_fill_18rocblas_operation_17rocblas_diagonal_iiT0_T1_lilT2_lili
; %bb.0:
	s_load_b32 s22, s[0:1], 0x58
	s_lshr_b32 s2, ttmp7, 16
	s_wait_kmcnt 0x0
	s_cmp_ge_u32 s2, s22
	s_cbranch_scc1 .LBB45_82
; %bb.1:
	s_clause 0x6
	s_load_b32 s20, s[0:1], 0x28
	s_load_b32 s30, s[0:1], 0x48
	s_load_b128 s[12:15], s[0:1], 0x0
	s_load_b64 s[16:17], s[0:1], 0x10
	s_load_b32 s3, s[0:1], 0x60
	s_load_b128 s[4:7], s[0:1], 0x18
	s_load_b128 s[8:11], s[0:1], 0x38
	s_mov_b32 s18, ttmp9
	v_dual_mov_b32 v5, 0 :: v_dual_lshlrev_b32 v4, 2, v0
	v_dual_mov_b32 v10, 1.0 :: v_dual_lshlrev_b32 v1, 8, v0
	v_lshlrev_b32_e32 v11, 2, v0
	s_delay_alu instid0(VALU_DEP_3) | instskip(NEXT) | instid1(VALU_DEP_3)
	v_or_b32_e32 v6, 0x4000, v4
	v_add_nc_u32_e32 v9, v4, v1
	s_wait_kmcnt 0x0
	s_ashr_i32 s21, s20, 31
	s_ashr_i32 s31, s30, 31
	s_cmp_lg_u32 s12, 0x7a
	s_cselect_b32 s25, -1, 0
	s_min_i32 s1, s16, 64
	s_lshl_b32 s0, ttmp9, 6
	s_add_co_i32 s3, s3, -1
	s_add_co_i32 s23, s1, -1
	s_sub_co_i32 s0, s15, s0
	s_cmp_ge_u32 ttmp9, s3
	s_mul_i32 s33, s1, 0x104
	s_cselect_b32 s15, s0, 64
	s_ashr_i32 s19, ttmp9, 31
	v_cmp_gt_i32_e32 vcc_lo, s15, v0
	s_lshl_b64 s[18:19], s[18:19], 8
	s_cmp_eq_u32 s14, 0x84
	v_cmp_gt_i32_e64 s0, s1, v0
	s_cselect_b32 s24, -1, 0
	s_cmp_gt_i32 s16, 0
	s_mov_b32 s3, 0
	s_cselect_b32 s14, -1, 0
	s_cmp_lg_u32 s13, 0x6f
	s_cselect_b32 s13, -1, 0
	s_cmp_lg_u32 s12, 0x79
	s_cselect_b32 s12, -1, 0
	s_or_b32 s25, s25, s13
	s_or_b32 s26, s12, s13
	s_cmp_gt_i32 s16, 3
	v_cndmask_b32_e64 v7, 0, 1, s12
	s_cselect_b32 s27, -1, 0
	s_lshl_b64 s[12:13], s[20:21], 2
	s_lshl_b32 s20, s1, 8
	s_lshl_b32 s35, s1, 2
	v_or_b32_e32 v2, s20, v4
	s_wait_alu 0xfffe
	s_and_b32 s28, vcc_lo, s14
	s_lshl_b64 s[14:15], s[30:31], 2
	s_add_co_i32 s29, s33, 0xfffffef0
	s_add_co_i32 s30, s20, 0xffffff00
	v_add_nc_u32_e32 v8, 0x3f00, v2
	s_add_co_i32 s31, s20, 0xfffffefc
	s_addk_co_i32 s33, 0xfbfc
	s_add_co_i32 s34, s35, -4
	s_addk_co_i32 s35, 0xfefc
	s_lshl_b64 s[6:7], s[6:7], 2
	s_lshl_b64 s[10:11], s[10:11], 2
	s_branch .LBB45_3
.LBB45_2:                               ;   in Loop: Header=BB45_3 Depth=1
	s_wait_alu 0xfffe
	s_or_b32 exec_lo, exec_lo, s20
	s_add_co_i32 s2, s2, 0x10000
	s_delay_alu instid0(SALU_CYCLE_1)
	s_cmp_lt_u32 s2, s22
	s_cbranch_scc0 .LBB45_82
.LBB45_3:                               ; =>This Loop Header: Depth=1
                                        ;     Child Loop BB45_5 Depth 2
                                        ;     Child Loop BB45_10 Depth 2
	;; [unrolled: 1-line block ×3, first 2 shown]
                                        ;       Child Loop BB45_17 Depth 3
                                        ;     Child Loop BB45_23 Depth 2
                                        ;       Child Loop BB45_24 Depth 3
                                        ;     Child Loop BB45_28 Depth 2
	;; [unrolled: 2-line block ×3, first 2 shown]
                                        ;     Child Loop BB45_41 Depth 2
                                        ;       Child Loop BB45_42 Depth 3
                                        ;       Child Loop BB45_44 Depth 3
                                        ;     Child Loop BB45_48 Depth 2
                                        ;       Child Loop BB45_49 Depth 3
                                        ;     Child Loop BB45_57 Depth 2
                                        ;     Child Loop BB45_62 Depth 2
                                        ;       Child Loop BB45_63 Depth 3
                                        ;       Child Loop BB45_65 Depth 3
                                        ;     Child Loop BB45_70 Depth 2
                                        ;       Child Loop BB45_71 Depth 3
                                        ;     Child Loop BB45_77 Depth 2
	;; [unrolled: 2-line block ×3, first 2 shown]
	s_lshl_b64 s[20:21], s[2:3], 3
	s_wait_alu 0xfffe
	s_add_nc_u64 s[36:37], s[8:9], s[20:21]
	global_load_b64 v[0:1], v5, s[36:37]
	s_and_saveexec_b32 s36, s0
	s_cbranch_execz .LBB45_8
; %bb.4:                                ;   in Loop: Header=BB45_3 Depth=1
	s_add_nc_u64 s[20:21], s[4:5], s[20:21]
	v_mov_b32_e32 v12, v4
	global_load_b64 v[2:3], v5, s[20:21]
	s_mov_b32 s20, s1
	s_wait_loadcnt 0x0
	v_add_co_u32 v2, vcc_lo, v2, s6
	s_wait_alu 0xfffd
	v_add_co_ci_u32_e64 v3, null, s7, v3, vcc_lo
	s_delay_alu instid0(VALU_DEP_2) | instskip(SKIP_1) | instid1(VALU_DEP_2)
	v_add_co_u32 v2, vcc_lo, v2, v11
	s_wait_alu 0xfffd
	v_add_co_ci_u32_e64 v3, null, 0, v3, vcc_lo
.LBB45_5:                               ;   Parent Loop BB45_3 Depth=1
                                        ; =>  This Inner Loop Header: Depth=2
	flat_load_b32 v13, v[2:3]
	v_add_co_u32 v2, vcc_lo, v2, s12
	s_wait_alu 0xfffd
	v_add_co_ci_u32_e64 v3, null, s13, v3, vcc_lo
	s_wait_alu 0xfffe
	s_add_co_i32 s20, s20, -1
	s_wait_alu 0xfffe
	s_cmp_eq_u32 s20, 0
	s_wait_loadcnt_dscnt 0x0
	ds_store_b32 v12, v13
	v_add_nc_u32_e32 v12, 0x100, v12
	s_cbranch_scc0 .LBB45_5
; %bb.6:                                ;   in Loop: Header=BB45_3 Depth=1
	s_and_b32 vcc_lo, exec_lo, s24
	s_wait_alu 0xfffe
	s_cbranch_vccz .LBB45_8
; %bb.7:                                ;   in Loop: Header=BB45_3 Depth=1
	ds_store_b32 v9, v10
.LBB45_8:                               ;   in Loop: Header=BB45_3 Depth=1
	s_wait_alu 0xfffe
	s_or_b32 exec_lo, exec_lo, s36
	s_wait_loadcnt 0x0
	v_add_co_u32 v0, vcc_lo, v0, s10
	s_wait_alu 0xfffd
	v_add_co_ci_u32_e64 v1, null, s11, v1, vcc_lo
	s_delay_alu instid0(VALU_DEP_2) | instskip(SKIP_1) | instid1(VALU_DEP_2)
	v_add_co_u32 v2, vcc_lo, v0, s18
	s_wait_alu 0xfffd
	v_add_co_ci_u32_e64 v3, null, s19, v1, vcc_lo
	s_and_saveexec_b32 s20, s28
	s_cbranch_execz .LBB45_11
; %bb.9:                                ;   in Loop: Header=BB45_3 Depth=1
	v_add_co_u32 v0, vcc_lo, v2, v11
	s_wait_alu 0xfffd
	v_add_co_ci_u32_e64 v1, null, 0, v3, vcc_lo
	v_mov_b32_e32 v12, v6
	s_mov_b32 s21, s16
.LBB45_10:                              ;   Parent Loop BB45_3 Depth=1
                                        ; =>  This Inner Loop Header: Depth=2
	flat_load_b32 v13, v[0:1]
	v_add_co_u32 v0, vcc_lo, v0, s14
	s_wait_alu 0xfffd
	v_add_co_ci_u32_e64 v1, null, s15, v1, vcc_lo
	s_wait_alu 0xfffe
	s_add_co_i32 s21, s21, -1
	s_wait_alu 0xfffe
	s_cmp_lg_u32 s21, 0
	s_wait_loadcnt_dscnt 0x0
	v_mul_f32_e32 v13, s17, v13
	ds_store_b32 v12, v13
	v_add_nc_u32_e32 v12, 0x100, v12
	s_cbranch_scc1 .LBB45_10
.LBB45_11:                              ;   in Loop: Header=BB45_3 Depth=1
	s_wait_alu 0xfffe
	s_or_b32 exec_lo, exec_lo, s20
	s_delay_alu instid0(SALU_CYCLE_1)
	s_and_b32 vcc_lo, exec_lo, s26
	s_mov_b32 s20, -1
	s_wait_dscnt 0x0
	s_barrier_signal -1
	s_barrier_wait -1
	global_inv scope:SCOPE_SE
	s_wait_alu 0xfffe
	s_cbranch_vccz .LBB45_67
; %bb.12:                               ;   in Loop: Header=BB45_3 Depth=1
	s_and_b32 vcc_lo, exec_lo, s25
	s_wait_alu 0xfffe
	s_cbranch_vccz .LBB45_46
; %bb.13:                               ;   in Loop: Header=BB45_3 Depth=1
	v_cmp_ne_u32_e32 vcc_lo, 1, v7
	s_cbranch_vccnz .LBB45_26
; %bb.14:                               ;   in Loop: Header=BB45_3 Depth=1
	s_and_not1_b32 vcc_lo, exec_lo, s27
	s_mov_b32 s36, 0
	s_wait_alu 0xfffe
	s_cbranch_vccnz .LBB45_20
; %bb.15:                               ;   in Loop: Header=BB45_3 Depth=1
	s_mov_b32 s20, 0
	s_mov_b32 s21, 0
.LBB45_16:                              ;   Parent Loop BB45_3 Depth=1
                                        ; =>  This Loop Header: Depth=2
                                        ;       Child Loop BB45_17 Depth 3
	s_wait_alu 0xfffe
	s_lshl_b32 s37, s21, 8
	s_or_b32 s36, s21, 1
	s_wait_alu 0xfffe
	v_add_nc_u32_e32 v12, s37, v6
	s_or_b32 s38, s37, 0x300
	v_lshl_add_u32 v14, s36, 8, v6
	s_wait_alu 0xfffe
	v_dual_mov_b32 v16, v6 :: v_dual_add_nc_u32 v13, s38, v6
	ds_load_2addr_stride64_b32 v[0:1], v12 offset1:2
	ds_load_b32 v17, v14
	ds_load_b32 v15, v13
	s_cmp_eq_u32 s21, 0
	s_mov_b32 s38, s20
	s_mov_b32 s39, s21
	s_cbranch_scc1 .LBB45_18
.LBB45_17:                              ;   Parent Loop BB45_3 Depth=1
                                        ;     Parent Loop BB45_16 Depth=2
                                        ; =>    This Inner Loop Header: Depth=3
	s_wait_alu 0xfffe
	v_mov_b32_e32 v18, s38
	s_add_co_i32 s39, s39, -1
	s_addk_co_i32 s38, 0x100
	s_wait_alu 0xfffe
	s_cmp_eq_u32 s39, 0
	ds_load_b32 v22, v16
	ds_load_b128 v[18:21], v18
	v_add_nc_u32_e32 v16, 0x100, v16
	s_wait_dscnt 0x0
	v_fma_f32 v0, -v22, v18, v0
	v_fma_f32 v17, -v22, v19, v17
	;; [unrolled: 1-line block ×4, first 2 shown]
	s_cbranch_scc0 .LBB45_17
.LBB45_18:                              ;   in Loop: Header=BB45_16 Depth=2
	s_lshl_b32 s38, s21, 2
	s_lshl_b32 s36, s36, 2
	s_wait_alu 0xfffe
	s_add_co_i32 s37, s38, s37
	s_add_co_i32 s20, s20, 16
	s_wait_alu 0xfffe
	v_mov_b32_e32 v24, s37
	s_addk_co_i32 s37, 0x104
	ds_load_b128 v[18:21], v24
	ds_load_2addr_b32 v[22:23], v24 offset0:65 offset1:66
	s_wait_alu 0xfffe
	s_sub_co_i32 s36, s37, s36
	s_wait_alu 0xfffe
	s_add_co_i32 s36, s36, s38
	s_wait_dscnt 0x1
	v_div_scale_f32 v25, null, v18, v18, v0
	v_div_scale_f32 v28, vcc_lo, v0, v18, v0
	s_delay_alu instid0(VALU_DEP_2) | instskip(NEXT) | instid1(TRANS32_DEP_1)
	v_rcp_f32_e32 v26, v25
	v_fma_f32 v27, -v25, v26, 1.0
	s_delay_alu instid0(VALU_DEP_1) | instskip(NEXT) | instid1(VALU_DEP_1)
	v_fmac_f32_e32 v26, v27, v26
	v_dual_mul_f32 v27, v28, v26 :: v_dual_add_nc_u32 v16, 0x200, v12
	s_delay_alu instid0(VALU_DEP_1) | instskip(NEXT) | instid1(VALU_DEP_1)
	v_fma_f32 v29, -v25, v27, v28
	v_fmac_f32_e32 v27, v29, v26
	s_delay_alu instid0(VALU_DEP_1) | instskip(SKIP_1) | instid1(VALU_DEP_1)
	v_fma_f32 v25, -v25, v27, v28
	s_wait_alu 0xfffd
	v_div_fmas_f32 v25, v25, v26, v27
	s_delay_alu instid0(VALU_DEP_1) | instskip(NEXT) | instid1(VALU_DEP_1)
	v_div_fixup_f32 v0, v25, v18, v0
	v_fma_f32 v19, -v0, v19, v17
	v_fma_f32 v1, -v0, v20, v1
	;; [unrolled: 1-line block ×3, first 2 shown]
	ds_load_b32 v20, v24 offset:780
	s_wait_dscnt 0x1
	v_div_scale_f32 v25, null, v22, v22, v19
	v_div_scale_f32 v27, vcc_lo, v19, v22, v19
	s_delay_alu instid0(VALU_DEP_2) | instskip(NEXT) | instid1(TRANS32_DEP_1)
	v_rcp_f32_e32 v26, v25
	v_fma_f32 v17, -v25, v26, 1.0
	s_delay_alu instid0(VALU_DEP_1) | instskip(NEXT) | instid1(VALU_DEP_1)
	v_fmac_f32_e32 v26, v17, v26
	v_mul_f32_e32 v28, v27, v26
	s_delay_alu instid0(VALU_DEP_1) | instskip(NEXT) | instid1(VALU_DEP_1)
	v_fma_f32 v17, -v25, v28, v27
	v_fmac_f32_e32 v28, v17, v26
	ds_load_b64 v[17:18], v24 offset:520
	v_fma_f32 v25, -v25, v28, v27
	s_wait_alu 0xfffd
	s_delay_alu instid0(VALU_DEP_1) | instskip(NEXT) | instid1(VALU_DEP_1)
	v_div_fmas_f32 v25, v25, v26, v28
	v_div_fixup_f32 v19, v25, v22, v19
	s_delay_alu instid0(VALU_DEP_1) | instskip(SKIP_1) | instid1(VALU_DEP_1)
	v_fma_f32 v1, -v19, v23, v1
	s_wait_dscnt 0x0
	v_div_scale_f32 v22, null, v17, v17, v1
	v_div_scale_f32 v25, vcc_lo, v1, v17, v1
	s_delay_alu instid0(VALU_DEP_2) | instskip(NEXT) | instid1(TRANS32_DEP_1)
	v_rcp_f32_e32 v23, v22
	v_fma_f32 v24, -v22, v23, 1.0
	s_wait_alu 0xfffe
	s_delay_alu instid0(VALU_DEP_1)
	v_dual_fmac_f32 v23, v24, v23 :: v_dual_mov_b32 v24, s36
	s_add_co_i32 s36, s21, 4
	s_add_co_i32 s21, s21, 7
	s_wait_alu 0xfffe
	s_cmp_ge_i32 s21, s1
	v_mul_f32_e32 v26, v25, v23
	ds_load_b32 v24, v24 offset:12
	v_fma_f32 v27, -v22, v26, v25
	s_delay_alu instid0(VALU_DEP_1) | instskip(NEXT) | instid1(VALU_DEP_1)
	v_fmac_f32_e32 v26, v27, v23
	v_fma_f32 v22, -v22, v26, v25
	s_wait_alu 0xfffd
	s_delay_alu instid0(VALU_DEP_1) | instskip(SKIP_2) | instid1(VALU_DEP_2)
	v_div_fmas_f32 v21, v22, v23, v26
	s_wait_dscnt 0x0
	v_fma_f32 v15, -v19, v24, v15
	v_div_fixup_f32 v1, v21, v17, v1
	s_delay_alu instid0(VALU_DEP_1) | instskip(NEXT) | instid1(VALU_DEP_1)
	v_fma_f32 v15, -v1, v18, v15
	v_div_scale_f32 v17, null, v20, v20, v15
	v_div_scale_f32 v22, vcc_lo, v15, v20, v15
	s_delay_alu instid0(VALU_DEP_2) | instskip(NEXT) | instid1(TRANS32_DEP_1)
	v_rcp_f32_e32 v18, v17
	v_fma_f32 v21, -v17, v18, 1.0
	s_delay_alu instid0(VALU_DEP_1) | instskip(NEXT) | instid1(VALU_DEP_1)
	v_fmac_f32_e32 v18, v21, v18
	v_mul_f32_e32 v21, v22, v18
	s_delay_alu instid0(VALU_DEP_1) | instskip(NEXT) | instid1(VALU_DEP_1)
	v_fma_f32 v23, -v17, v21, v22
	v_fmac_f32_e32 v21, v23, v18
	s_delay_alu instid0(VALU_DEP_1) | instskip(SKIP_1) | instid1(VALU_DEP_1)
	v_fma_f32 v17, -v17, v21, v22
	s_wait_alu 0xfffd
	v_div_fmas_f32 v17, v17, v18, v21
	s_delay_alu instid0(VALU_DEP_1)
	v_div_fixup_f32 v15, v17, v20, v15
	ds_store_b32 v12, v0
	ds_store_b32 v14, v19
	;; [unrolled: 1-line block ×4, first 2 shown]
	s_cbranch_scc1 .LBB45_20
; %bb.19:                               ;   in Loop: Header=BB45_16 Depth=2
	s_mov_b32 s21, s36
	s_branch .LBB45_16
.LBB45_20:                              ;   in Loop: Header=BB45_3 Depth=1
	s_cmp_ge_i32 s36, s1
	s_cbranch_scc1 .LBB45_25
; %bb.21:                               ;   in Loop: Header=BB45_3 Depth=1
	s_lshl_b32 s20, s36, 2
	s_branch .LBB45_23
.LBB45_22:                              ;   in Loop: Header=BB45_23 Depth=2
	s_lshl_b32 s37, s36, 2
	s_add_co_i32 s36, s36, 1
	s_wait_alu 0xfffe
	s_add_co_i32 s21, s37, s21
	s_add_co_i32 s20, s20, 4
	s_wait_alu 0xfffe
	v_mov_b32_e32 v12, s21
	s_cmp_ge_i32 s36, s1
	ds_load_b32 v12, v12
	s_wait_dscnt 0x0
	v_div_scale_f32 v13, null, v12, v12, v1
	s_delay_alu instid0(VALU_DEP_1) | instskip(NEXT) | instid1(TRANS32_DEP_1)
	v_rcp_f32_e32 v14, v13
	v_fma_f32 v15, -v13, v14, 1.0
	s_delay_alu instid0(VALU_DEP_1) | instskip(SKIP_1) | instid1(VALU_DEP_1)
	v_fmac_f32_e32 v14, v15, v14
	v_div_scale_f32 v15, vcc_lo, v1, v12, v1
	v_mul_f32_e32 v16, v15, v14
	s_delay_alu instid0(VALU_DEP_1) | instskip(NEXT) | instid1(VALU_DEP_1)
	v_fma_f32 v17, -v13, v16, v15
	v_fmac_f32_e32 v16, v17, v14
	s_delay_alu instid0(VALU_DEP_1) | instskip(SKIP_1) | instid1(VALU_DEP_1)
	v_fma_f32 v13, -v13, v16, v15
	s_wait_alu 0xfffd
	v_div_fmas_f32 v13, v13, v14, v16
	s_delay_alu instid0(VALU_DEP_1)
	v_div_fixup_f32 v1, v13, v12, v1
	ds_store_b32 v0, v1
	s_cbranch_scc1 .LBB45_25
.LBB45_23:                              ;   Parent Loop BB45_3 Depth=1
                                        ; =>  This Loop Header: Depth=2
                                        ;       Child Loop BB45_24 Depth 3
	s_lshl_b32 s21, s36, 8
	v_mov_b32_e32 v12, v6
	s_wait_alu 0xfffe
	v_add_nc_u32_e32 v0, s21, v6
	s_cmp_eq_u32 s36, 0
	s_mov_b32 s37, s20
	s_mov_b32 s38, s36
	ds_load_b32 v1, v0
	s_cbranch_scc1 .LBB45_22
.LBB45_24:                              ;   Parent Loop BB45_3 Depth=1
                                        ;     Parent Loop BB45_23 Depth=2
                                        ; =>    This Inner Loop Header: Depth=3
	s_wait_alu 0xfffe
	v_mov_b32_e32 v13, s37
	s_add_co_i32 s38, s38, -1
	s_addk_co_i32 s37, 0x100
	s_wait_alu 0xfffe
	s_cmp_eq_u32 s38, 0
	ds_load_b32 v14, v12
	ds_load_b32 v13, v13
	v_add_nc_u32_e32 v12, 0x100, v12
	s_wait_dscnt 0x0
	v_fma_f32 v1, -v14, v13, v1
	s_cbranch_scc0 .LBB45_24
	s_branch .LBB45_22
.LBB45_25:                              ;   in Loop: Header=BB45_3 Depth=1
	s_mov_b32 s20, 0
.LBB45_26:                              ;   in Loop: Header=BB45_3 Depth=1
	s_wait_alu 0xfffe
	s_and_b32 vcc_lo, exec_lo, s20
	s_wait_alu 0xfffe
	s_cbranch_vccz .LBB45_45
; %bb.27:                               ;   in Loop: Header=BB45_3 Depth=1
	s_mov_b32 s36, s23
	s_and_not1_b32 vcc_lo, exec_lo, s27
	s_mov_b32 s20, s29
	s_mov_b32 s21, s23
	s_wait_alu 0xfffe
	s_cbranch_vccnz .LBB45_32
.LBB45_28:                              ;   Parent Loop BB45_3 Depth=1
                                        ; =>  This Loop Header: Depth=2
                                        ;       Child Loop BB45_29 Depth 3
	s_wait_alu 0xfffe
	s_add_co_i32 s38, s21, -1
	s_add_co_i32 s39, s21, -3
	v_lshl_add_u32 v0, s21, 8, v6
	s_add_co_i32 s37, s21, -2
	s_wait_alu 0xfffe
	v_lshl_add_u32 v1, s38, 8, v6
	s_lshl_b32 s36, s39, 8
	v_lshl_add_u32 v12, s37, 8, v6
	s_wait_alu 0xfffe
	v_dual_mov_b32 v18, v8 :: v_dual_add_nc_u32 v13, s36, v6
	ds_load_b32 v17, v0
	ds_load_b32 v16, v1
	;; [unrolled: 1-line block ×4, first 2 shown]
	s_cmp_le_i32 s23, s21
	s_mov_b32 s40, s20
	s_mov_b32 s41, s23
	s_cbranch_scc1 .LBB45_30
.LBB45_29:                              ;   Parent Loop BB45_3 Depth=1
                                        ;     Parent Loop BB45_28 Depth=2
                                        ; =>    This Inner Loop Header: Depth=3
	s_wait_alu 0xfffe
	v_mov_b32_e32 v21, s40
	s_add_co_i32 s41, s41, -1
	s_addk_co_i32 s40, 0xff00
	s_wait_alu 0xfffe
	s_cmp_le_i32 s41, s21
	ds_load_b32 v23, v18
	ds_load_2addr_b32 v[19:20], v21 offset0:2 offset1:3
	ds_load_2addr_b32 v[21:22], v21 offset1:1
	v_add_nc_u32_e32 v18, 0xffffff00, v18
	s_wait_dscnt 0x1
	v_fma_f32 v17, -v23, v20, v17
	v_fma_f32 v16, -v23, v19, v16
	s_wait_dscnt 0x0
	v_fma_f32 v15, -v23, v22, v15
	v_fma_f32 v14, -v23, v21, v14
	s_cbranch_scc0 .LBB45_29
.LBB45_30:                              ;   in Loop: Header=BB45_28 Depth=2
	s_lshl_b32 s40, s21, 2
	s_lshl_b32 s41, s21, 8
	;; [unrolled: 1-line block ×3, first 2 shown]
	s_wait_alu 0xfffe
	s_add_co_i32 s41, s40, s41
	s_add_co_i32 s36, s40, s36
	s_wait_alu 0xfffe
	s_add_co_i32 s42, s41, -4
	s_add_co_i32 s41, s41, -12
	s_wait_alu 0xfffe
	v_dual_mov_b32 v18, s42 :: v_dual_mov_b32 v21, s41
	s_lshl_b32 s42, s38, 8
	s_lshl_b32 s38, s38, 2
	s_wait_alu 0xfffe
	s_add_co_i32 s42, s40, s42
	ds_load_2addr_b32 v[18:19], v18 offset1:1
	s_wait_alu 0xfffe
	s_add_co_i32 s42, s42, -4
	s_add_co_i32 s36, s36, -12
	s_wait_alu 0xfffe
	s_sub_co_i32 s38, s42, s38
	s_add_co_i32 s20, s20, -16
	s_wait_alu 0xfffe
	s_add_co_i32 s38, s38, s39
	s_wait_dscnt 0x0
	v_div_scale_f32 v25, null, v19, v19, v17
	v_div_scale_f32 v28, vcc_lo, v17, v19, v17
	s_delay_alu instid0(VALU_DEP_2) | instskip(NEXT) | instid1(TRANS32_DEP_1)
	v_rcp_f32_e32 v26, v25
	v_fma_f32 v27, -v25, v26, 1.0
	s_delay_alu instid0(VALU_DEP_1) | instskip(NEXT) | instid1(VALU_DEP_1)
	v_fmac_f32_e32 v26, v27, v26
	v_dual_mov_b32 v20, s42 :: v_dual_mul_f32 v27, v28, v26
	s_delay_alu instid0(VALU_DEP_1)
	v_fma_f32 v29, -v25, v27, v28
	s_wait_alu 0xfffe
	v_mov_b32_e32 v22, s38
	s_lshl_b32 s38, s37, 8
	s_lshl_b32 s37, s37, 2
	s_wait_alu 0xfffe
	s_add_co_i32 s38, s40, s38
	v_fmac_f32_e32 v27, v29, v26
	ds_load_b32 v24, v20
	ds_load_2addr_b32 v[20:21], v21 offset1:1
	ds_load_2addr_b32 v[22:23], v22 offset1:1
	s_wait_alu 0xfffe
	s_sub_co_i32 s37, s38, s37
	s_wait_alu 0xfffe
	s_add_co_i32 s37, s37, s39
	v_fma_f32 v25, -v25, v27, v28
	s_wait_alu 0xfffe
	s_add_co_i32 s37, s37, -8
	s_wait_alu 0xfffd
	s_delay_alu instid0(VALU_DEP_1) | instskip(NEXT) | instid1(VALU_DEP_1)
	v_div_fmas_f32 v25, v25, v26, v27
	v_div_fixup_f32 v19, v25, v19, v17
	s_wait_alu 0xfffe
	v_mov_b32_e32 v17, s37
	s_delay_alu instid0(VALU_DEP_2)
	v_fma_f32 v18, -v19, v18, v16
	s_wait_dscnt 0x1
	v_fma_f32 v15, -v19, v21, v15
	v_fma_f32 v14, -v19, v20, v14
	v_mov_b32_e32 v21, s36
	s_add_co_i32 s36, s21, -4
	v_div_scale_f32 v25, null, v24, v24, v18
	v_div_scale_f32 v27, vcc_lo, v18, v24, v18
	s_cmp_lt_i32 s21, 7
	v_rcp_f32_e32 v26, v25
	ds_load_b32 v21, v21
	v_fma_f32 v16, -v25, v26, 1.0
	s_delay_alu instid0(VALU_DEP_1) | instskip(NEXT) | instid1(VALU_DEP_1)
	v_fmac_f32_e32 v26, v16, v26
	v_mul_f32_e32 v28, v27, v26
	s_delay_alu instid0(VALU_DEP_1) | instskip(NEXT) | instid1(VALU_DEP_1)
	v_fma_f32 v16, -v25, v28, v27
	v_fmac_f32_e32 v28, v16, v26
	ds_load_2addr_b32 v[16:17], v17 offset1:1
	v_fma_f32 v25, -v25, v28, v27
	s_wait_alu 0xfffd
	s_delay_alu instid0(VALU_DEP_1) | instskip(NEXT) | instid1(VALU_DEP_1)
	v_div_fmas_f32 v25, v25, v26, v28
	v_div_fixup_f32 v18, v25, v24, v18
	s_wait_dscnt 0x2
	s_delay_alu instid0(VALU_DEP_1) | instskip(SKIP_2) | instid1(VALU_DEP_2)
	v_fma_f32 v15, -v18, v23, v15
	v_fma_f32 v14, -v18, v22, v14
	s_wait_dscnt 0x0
	v_div_scale_f32 v23, null, v17, v17, v15
	v_div_scale_f32 v26, vcc_lo, v15, v17, v15
	s_delay_alu instid0(VALU_DEP_2) | instskip(NEXT) | instid1(TRANS32_DEP_1)
	v_rcp_f32_e32 v24, v23
	v_fma_f32 v25, -v23, v24, 1.0
	s_delay_alu instid0(VALU_DEP_1) | instskip(NEXT) | instid1(VALU_DEP_1)
	v_fmac_f32_e32 v24, v25, v24
	v_mul_f32_e32 v25, v26, v24
	s_delay_alu instid0(VALU_DEP_1) | instskip(NEXT) | instid1(VALU_DEP_1)
	v_fma_f32 v27, -v23, v25, v26
	v_fmac_f32_e32 v25, v27, v24
	s_delay_alu instid0(VALU_DEP_1) | instskip(SKIP_1) | instid1(VALU_DEP_1)
	v_fma_f32 v23, -v23, v25, v26
	s_wait_alu 0xfffd
	v_div_fmas_f32 v20, v23, v24, v25
	s_delay_alu instid0(VALU_DEP_1) | instskip(NEXT) | instid1(VALU_DEP_1)
	v_div_fixup_f32 v15, v20, v17, v15
	v_fma_f32 v14, -v15, v16, v14
	s_delay_alu instid0(VALU_DEP_1) | instskip(SKIP_1) | instid1(VALU_DEP_2)
	v_div_scale_f32 v16, null, v21, v21, v14
	v_div_scale_f32 v22, vcc_lo, v14, v21, v14
	v_rcp_f32_e32 v17, v16
	s_delay_alu instid0(TRANS32_DEP_1) | instskip(NEXT) | instid1(VALU_DEP_1)
	v_fma_f32 v20, -v16, v17, 1.0
	v_fmac_f32_e32 v17, v20, v17
	s_delay_alu instid0(VALU_DEP_1) | instskip(NEXT) | instid1(VALU_DEP_1)
	v_mul_f32_e32 v20, v22, v17
	v_fma_f32 v23, -v16, v20, v22
	s_delay_alu instid0(VALU_DEP_1) | instskip(NEXT) | instid1(VALU_DEP_1)
	v_fmac_f32_e32 v20, v23, v17
	v_fma_f32 v16, -v16, v20, v22
	s_wait_alu 0xfffd
	s_delay_alu instid0(VALU_DEP_1) | instskip(NEXT) | instid1(VALU_DEP_1)
	v_div_fmas_f32 v16, v16, v17, v20
	v_div_fixup_f32 v14, v16, v21, v14
	ds_store_b32 v0, v19
	ds_store_b32 v1, v18
	ds_store_b32 v12, v15
	ds_store_b32 v13, v14
	s_cbranch_scc1 .LBB45_32
; %bb.31:                               ;   in Loop: Header=BB45_28 Depth=2
	s_wait_alu 0xfffe
	s_mov_b32 s21, s36
	s_branch .LBB45_28
.LBB45_32:                              ;   in Loop: Header=BB45_3 Depth=1
	s_wait_alu 0xfffe
	s_cmp_lt_i32 s36, 0
	s_cbranch_scc1 .LBB45_45
; %bb.33:                               ;   in Loop: Header=BB45_3 Depth=1
	s_bitcmp1_b32 s36, 0
	s_cselect_b32 s20, -1, 0
	s_wait_alu 0xfffe
	s_and_b32 vcc_lo, exec_lo, s20
	s_mov_b32 s20, s36
	s_wait_alu 0xfffe
	s_cbranch_vccnz .LBB45_38
; %bb.34:                               ;   in Loop: Header=BB45_3 Depth=1
	s_lshl_b32 s20, s36, 8
	s_cmp_le_i32 s23, s36
	s_wait_alu 0xfffe
	v_add_nc_u32_e32 v0, s20, v6
	ds_load_b32 v1, v0
	s_cbranch_scc1 .LBB45_37
; %bb.35:                               ;   in Loop: Header=BB45_3 Depth=1
	v_mov_b32_e32 v12, v8
	s_lshl_b32 s21, s36, 2
	s_mov_b32 s37, s23
	s_wait_alu 0xfffe
	s_add_co_i32 s21, s30, s21
.LBB45_36:                              ;   Parent Loop BB45_3 Depth=1
                                        ; =>  This Inner Loop Header: Depth=2
	s_wait_alu 0xfffe
	v_mov_b32_e32 v13, s21
	s_add_co_i32 s37, s37, -1
	s_addk_co_i32 s21, 0xff00
	s_wait_alu 0xfffe
	s_cmp_gt_i32 s37, s36
	ds_load_b32 v14, v12
	ds_load_b32 v13, v13
	v_add_nc_u32_e32 v12, 0xffffff00, v12
	s_wait_dscnt 0x0
	v_fma_f32 v1, -v14, v13, v1
	s_cbranch_scc1 .LBB45_36
.LBB45_37:                              ;   in Loop: Header=BB45_3 Depth=1
	s_lshl_b32 s21, s36, 2
	s_wait_alu 0xfffe
	s_add_co_i32 s20, s21, s20
	s_wait_alu 0xfffe
	v_mov_b32_e32 v12, s20
	s_add_co_i32 s20, s36, -1
	ds_load_b32 v12, v12
	s_wait_dscnt 0x0
	v_div_scale_f32 v13, null, v12, v12, v1
	s_delay_alu instid0(VALU_DEP_1) | instskip(NEXT) | instid1(TRANS32_DEP_1)
	v_rcp_f32_e32 v14, v13
	v_fma_f32 v15, -v13, v14, 1.0
	s_delay_alu instid0(VALU_DEP_1) | instskip(SKIP_1) | instid1(VALU_DEP_1)
	v_fmac_f32_e32 v14, v15, v14
	v_div_scale_f32 v15, vcc_lo, v1, v12, v1
	v_mul_f32_e32 v16, v15, v14
	s_delay_alu instid0(VALU_DEP_1) | instskip(NEXT) | instid1(VALU_DEP_1)
	v_fma_f32 v17, -v13, v16, v15
	v_fmac_f32_e32 v16, v17, v14
	s_delay_alu instid0(VALU_DEP_1) | instskip(SKIP_1) | instid1(VALU_DEP_1)
	v_fma_f32 v13, -v13, v16, v15
	s_wait_alu 0xfffd
	v_div_fmas_f32 v13, v13, v14, v16
	s_delay_alu instid0(VALU_DEP_1)
	v_div_fixup_f32 v1, v13, v12, v1
	ds_store_b32 v0, v1
.LBB45_38:                              ;   in Loop: Header=BB45_3 Depth=1
	s_cmp_eq_u32 s36, 0
	s_cbranch_scc1 .LBB45_45
; %bb.39:                               ;   in Loop: Header=BB45_3 Depth=1
	s_wait_alu 0xfffe
	s_lshl_b32 s36, s20, 2
	s_wait_alu 0xfffe
	s_add_co_i32 s21, s30, s36
	s_add_co_i32 s36, s31, s36
	s_branch .LBB45_41
.LBB45_40:                              ;   in Loop: Header=BB45_41 Depth=2
	s_add_co_i32 s37, s37, s38
	s_add_co_i32 s21, s21, -8
	s_wait_alu 0xfffe
	s_add_co_i32 s37, s37, -4
	s_add_co_i32 s36, s36, -8
	s_wait_alu 0xfffe
	v_mov_b32_e32 v0, s37
	s_add_co_i32 s37, s20, -2
	s_cmp_lt_i32 s20, 2
	s_wait_alu 0xfffe
	s_mov_b32 s20, s37
	ds_load_b32 v0, v0
	s_wait_dscnt 0x0
	v_div_scale_f32 v12, null, v0, v0, v13
	v_div_scale_f32 v16, vcc_lo, v13, v0, v13
	s_delay_alu instid0(VALU_DEP_2) | instskip(NEXT) | instid1(TRANS32_DEP_1)
	v_rcp_f32_e32 v14, v12
	v_fma_f32 v15, -v12, v14, 1.0
	s_delay_alu instid0(VALU_DEP_1) | instskip(NEXT) | instid1(VALU_DEP_1)
	v_fmac_f32_e32 v14, v15, v14
	v_mul_f32_e32 v15, v16, v14
	s_delay_alu instid0(VALU_DEP_1) | instskip(NEXT) | instid1(VALU_DEP_1)
	v_fma_f32 v17, -v12, v15, v16
	v_fmac_f32_e32 v15, v17, v14
	s_delay_alu instid0(VALU_DEP_1) | instskip(SKIP_1) | instid1(VALU_DEP_1)
	v_fma_f32 v12, -v12, v15, v16
	s_wait_alu 0xfffd
	v_div_fmas_f32 v12, v12, v14, v15
	s_delay_alu instid0(VALU_DEP_1)
	v_div_fixup_f32 v0, v12, v0, v13
	ds_store_b32 v1, v0
	s_cbranch_scc1 .LBB45_45
.LBB45_41:                              ;   Parent Loop BB45_3 Depth=1
                                        ; =>  This Loop Header: Depth=2
                                        ;       Child Loop BB45_42 Depth 3
                                        ;       Child Loop BB45_44 Depth 3
	s_wait_alu 0xfffe
	s_lshl_b32 s38, s20, 8
	s_cmp_le_i32 s23, s20
	s_wait_alu 0xfffe
	v_dual_mov_b32 v1, v8 :: v_dual_add_nc_u32 v0, s38, v6
	s_mov_b32 s37, s21
	s_mov_b32 s39, s23
	ds_load_b32 v12, v0
	s_cbranch_scc1 .LBB45_43
.LBB45_42:                              ;   Parent Loop BB45_3 Depth=1
                                        ;     Parent Loop BB45_41 Depth=2
                                        ; =>    This Inner Loop Header: Depth=3
	s_wait_alu 0xfffe
	v_mov_b32_e32 v13, s37
	s_add_co_i32 s39, s39, -1
	s_addk_co_i32 s37, 0xff00
	s_wait_alu 0xfffe
	s_cmp_le_i32 s39, s20
	ds_load_b32 v14, v1
	ds_load_b32 v13, v13
	v_add_nc_u32_e32 v1, 0xffffff00, v1
	s_wait_dscnt 0x0
	v_fma_f32 v12, -v14, v13, v12
	s_cbranch_scc0 .LBB45_42
.LBB45_43:                              ;   in Loop: Header=BB45_41 Depth=2
	s_lshl_b32 s37, s20, 2
	s_mov_b32 s40, s1
	s_wait_alu 0xfffe
	s_add_co_i32 s39, s37, s38
	s_addk_co_i32 s38, 0xff00
	s_wait_alu 0xfffe
	v_mov_b32_e32 v1, s39
	s_cmp_le_i32 s1, s20
	s_mov_b32 s39, s36
	ds_load_b32 v14, v1
	s_wait_dscnt 0x0
	v_div_scale_f32 v15, null, v14, v14, v12
	s_delay_alu instid0(VALU_DEP_1) | instskip(NEXT) | instid1(TRANS32_DEP_1)
	v_rcp_f32_e32 v16, v15
	v_fma_f32 v17, -v15, v16, 1.0
	s_delay_alu instid0(VALU_DEP_1) | instskip(SKIP_1) | instid1(VALU_DEP_1)
	v_fmac_f32_e32 v16, v17, v16
	v_div_scale_f32 v17, vcc_lo, v12, v14, v12
	v_dual_mul_f32 v18, v17, v16 :: v_dual_add_nc_u32 v1, s38, v6
	ds_load_b32 v13, v1
	v_fma_f32 v19, -v15, v18, v17
	s_delay_alu instid0(VALU_DEP_1) | instskip(NEXT) | instid1(VALU_DEP_1)
	v_fmac_f32_e32 v18, v19, v16
	v_fma_f32 v15, -v15, v18, v17
	s_wait_alu 0xfffd
	s_delay_alu instid0(VALU_DEP_1) | instskip(NEXT) | instid1(VALU_DEP_1)
	v_div_fmas_f32 v15, v15, v16, v18
	v_div_fixup_f32 v14, v15, v14, v12
	v_mov_b32_e32 v12, v8
	ds_store_b32 v0, v14
	s_cbranch_scc1 .LBB45_40
.LBB45_44:                              ;   Parent Loop BB45_3 Depth=1
                                        ;     Parent Loop BB45_41 Depth=2
                                        ; =>    This Inner Loop Header: Depth=3
	s_wait_alu 0xfffe
	v_mov_b32_e32 v0, s39
	s_add_co_i32 s40, s40, -1
	s_addk_co_i32 s39, 0xff00
	s_wait_alu 0xfffe
	s_cmp_gt_i32 s40, s20
	ds_load_b32 v14, v12
	ds_load_b32 v0, v0
	v_add_nc_u32_e32 v12, 0xffffff00, v12
	s_wait_dscnt 0x0
	v_fma_f32 v13, -v14, v0, v13
	s_cbranch_scc1 .LBB45_44
	s_branch .LBB45_40
.LBB45_45:                              ;   in Loop: Header=BB45_3 Depth=1
	s_mov_b32 s20, 0
.LBB45_46:                              ;   in Loop: Header=BB45_3 Depth=1
	s_wait_alu 0xfffe
	s_and_not1_b32 vcc_lo, exec_lo, s20
	s_wait_alu 0xfffe
	s_cbranch_vccnz .LBB45_66
; %bb.47:                               ;   in Loop: Header=BB45_3 Depth=1
	s_mov_b32 s36, s23
	s_and_not1_b32 vcc_lo, exec_lo, s27
	s_mov_b32 s20, s33
	s_mov_b32 s21, s23
	s_wait_alu 0xfffe
	s_cbranch_vccnz .LBB45_53
.LBB45_48:                              ;   Parent Loop BB45_3 Depth=1
                                        ; =>  This Loop Header: Depth=2
                                        ;       Child Loop BB45_49 Depth 3
	s_wait_alu 0xfffe
	s_add_co_i32 s39, s21, -1
	v_lshl_add_u32 v0, s21, 8, v6
	s_add_co_i32 s37, s21, -2
	s_wait_alu 0xfffe
	v_lshl_add_u32 v1, s39, 8, v6
	s_add_co_i32 s36, s21, -3
	v_lshl_add_u32 v12, s37, 8, v6
	s_wait_alu 0xfffe
	v_lshl_add_u32 v13, s36, 8, v6
	ds_load_b32 v17, v0
	ds_load_b32 v16, v1
	;; [unrolled: 1-line block ×4, first 2 shown]
	v_mov_b32_e32 v18, v8
	s_cmp_le_i32 s23, s21
	s_mov_b32 s38, s20
	s_mov_b32 s40, s23
	s_cbranch_scc1 .LBB45_50
.LBB45_49:                              ;   Parent Loop BB45_3 Depth=1
                                        ;     Parent Loop BB45_48 Depth=2
                                        ; =>    This Inner Loop Header: Depth=3
	s_wait_alu 0xfffe
	v_mov_b32_e32 v21, s38
	s_add_co_i32 s40, s40, -1
	s_add_co_i32 s38, s38, -4
	s_wait_alu 0xfffe
	s_cmp_le_i32 s40, s21
	ds_load_b32 v23, v18
	ds_load_2addr_stride64_b32 v[19:20], v21 offset0:2 offset1:3
	ds_load_2addr_stride64_b32 v[21:22], v21 offset1:1
	v_add_nc_u32_e32 v18, 0xffffff00, v18
	s_wait_dscnt 0x1
	v_fma_f32 v17, -v23, v20, v17
	v_fma_f32 v16, -v23, v19, v16
	s_wait_dscnt 0x0
	v_fma_f32 v15, -v23, v22, v15
	v_fma_f32 v14, -v23, v21, v14
	s_cbranch_scc0 .LBB45_49
.LBB45_50:                              ;   in Loop: Header=BB45_48 Depth=2
	s_lshl_b32 s41, s39, 6
	s_lshl_b32 s40, s37, 6
	;; [unrolled: 1-line block ×3, first 2 shown]
; %bb.51:                               ;   in Loop: Header=BB45_48 Depth=2
	s_mul_i32 s42, s21, 0x104
	s_wait_alu 0xfffe
	s_lshl_b32 s40, s40, 2
	s_lshl_b32 s37, s37, 2
	;; [unrolled: 1-line block ×3, first 2 shown]
	s_wait_alu 0xfffe
	s_add_co_i32 s37, s40, s37
	s_wait_alu 0xfffe
	v_dual_mov_b32 v18, s42 :: v_dual_mov_b32 v21, s37
	s_lshl_b32 s39, s39, 2
	s_lshl_b32 s37, s38, 2
	s_wait_alu 0xfffe
	s_add_co_i32 s39, s41, s39
	ds_load_b32 v22, v18
	s_lshl_b32 s36, s36, 2
	s_lshl_b32 s42, s21, 2
	s_wait_alu 0xfffe
	s_add_co_i32 s36, s37, s36
	s_add_co_i32 s41, s40, s42
	;; [unrolled: 1-line block ×3, first 2 shown]
	s_wait_alu 0xfffe
	v_mov_b32_e32 v20, s41
	s_add_co_i32 s38, s38, -4
	s_addk_co_i32 s20, 0xfc00
	s_wait_dscnt 0x0
	v_div_scale_f32 v24, null, v22, v22, v17
	v_div_scale_f32 v27, vcc_lo, v17, v22, v17
	s_delay_alu instid0(VALU_DEP_2) | instskip(NEXT) | instid1(TRANS32_DEP_1)
	v_rcp_f32_e32 v25, v24
	v_fma_f32 v26, -v24, v25, 1.0
	s_delay_alu instid0(VALU_DEP_1) | instskip(SKIP_4) | instid1(VALU_DEP_1)
	v_dual_mov_b32 v18, s39 :: v_dual_fmac_f32 v25, v26, v25
	ds_load_2addr_b32 v[18:19], v18 offset1:1
	ds_load_b32 v23, v20
	ds_load_2addr_b32 v[20:21], v21 offset1:1
	v_mul_f32_e32 v26, v27, v25
	v_fma_f32 v28, -v24, v26, v27
	s_delay_alu instid0(VALU_DEP_1) | instskip(NEXT) | instid1(VALU_DEP_1)
	v_fmac_f32_e32 v26, v28, v25
	v_fma_f32 v24, -v24, v26, v27
	s_wait_alu 0xfffd
	s_delay_alu instid0(VALU_DEP_1) | instskip(NEXT) | instid1(VALU_DEP_1)
	v_div_fmas_f32 v24, v24, v25, v26
	v_div_fixup_f32 v22, v24, v22, v17
	s_wait_dscnt 0x2
	s_delay_alu instid0(VALU_DEP_1) | instskip(SKIP_2) | instid1(VALU_DEP_2)
	v_fma_f32 v16, -v22, v19, v16
	s_wait_dscnt 0x1
	v_fma_f32 v15, -v22, v23, v15
	v_div_scale_f32 v17, null, v18, v18, v16
	v_div_scale_f32 v25, vcc_lo, v16, v18, v16
	s_delay_alu instid0(VALU_DEP_2) | instskip(NEXT) | instid1(TRANS32_DEP_1)
	v_rcp_f32_e32 v19, v17
	v_fma_f32 v24, -v17, v19, 1.0
	s_delay_alu instid0(VALU_DEP_1) | instskip(NEXT) | instid1(VALU_DEP_1)
	v_fmac_f32_e32 v19, v24, v19
	v_mul_f32_e32 v24, v25, v19
	s_delay_alu instid0(VALU_DEP_1) | instskip(NEXT) | instid1(VALU_DEP_1)
	v_fma_f32 v26, -v17, v24, v25
	v_fmac_f32_e32 v24, v26, v19
	s_delay_alu instid0(VALU_DEP_1) | instskip(SKIP_1) | instid1(VALU_DEP_1)
	v_fma_f32 v17, -v17, v24, v25
	s_wait_alu 0xfffd
	v_div_fmas_f32 v17, v17, v19, v24
	s_delay_alu instid0(VALU_DEP_1)
	v_div_fixup_f32 v19, v17, v18, v16
	s_wait_alu 0xfffe
	v_dual_mov_b32 v16, s38 :: v_dual_mov_b32 v17, s36
	s_add_co_i32 s36, s21, -4
	s_cmp_lt_i32 s21, 7
	s_wait_dscnt 0x0
	v_fma_f32 v21, -v19, v21, v15
	ds_load_2addr_b32 v[17:18], v17 offset1:1
	v_div_scale_f32 v23, null, v20, v20, v21
	v_div_scale_f32 v25, vcc_lo, v21, v20, v21
	s_delay_alu instid0(VALU_DEP_2) | instskip(NEXT) | instid1(TRANS32_DEP_1)
	v_rcp_f32_e32 v24, v23
	v_fma_f32 v15, -v23, v24, 1.0
	s_delay_alu instid0(VALU_DEP_1) | instskip(SKIP_2) | instid1(VALU_DEP_1)
	v_fmac_f32_e32 v24, v15, v24
	ds_load_2addr_b32 v[15:16], v16 offset1:1
	v_mul_f32_e32 v26, v25, v24
	v_fma_f32 v27, -v23, v26, v25
	s_delay_alu instid0(VALU_DEP_1) | instskip(NEXT) | instid1(VALU_DEP_1)
	v_fmac_f32_e32 v26, v27, v24
	v_fma_f32 v23, -v23, v26, v25
	s_wait_dscnt 0x0
	v_fma_f32 v14, -v22, v16, v14
	s_wait_alu 0xfffd
	s_delay_alu instid0(VALU_DEP_2) | instskip(NEXT) | instid1(VALU_DEP_2)
	v_div_fmas_f32 v16, v23, v24, v26
	v_fma_f32 v14, -v19, v15, v14
	s_delay_alu instid0(VALU_DEP_2) | instskip(NEXT) | instid1(VALU_DEP_1)
	v_div_fixup_f32 v15, v16, v20, v21
	v_fma_f32 v14, -v15, v18, v14
	s_delay_alu instid0(VALU_DEP_1) | instskip(SKIP_1) | instid1(VALU_DEP_2)
	v_div_scale_f32 v16, null, v17, v17, v14
	v_div_scale_f32 v21, vcc_lo, v14, v17, v14
	v_rcp_f32_e32 v18, v16
	s_delay_alu instid0(TRANS32_DEP_1) | instskip(NEXT) | instid1(VALU_DEP_1)
	v_fma_f32 v20, -v16, v18, 1.0
	v_fmac_f32_e32 v18, v20, v18
	s_delay_alu instid0(VALU_DEP_1) | instskip(NEXT) | instid1(VALU_DEP_1)
	v_mul_f32_e32 v20, v21, v18
	v_fma_f32 v23, -v16, v20, v21
	s_delay_alu instid0(VALU_DEP_1) | instskip(NEXT) | instid1(VALU_DEP_1)
	v_fmac_f32_e32 v20, v23, v18
	v_fma_f32 v16, -v16, v20, v21
	s_wait_alu 0xfffd
	s_delay_alu instid0(VALU_DEP_1) | instskip(NEXT) | instid1(VALU_DEP_1)
	v_div_fmas_f32 v16, v16, v18, v20
	v_div_fixup_f32 v14, v16, v17, v14
	ds_store_b32 v0, v22
	ds_store_b32 v1, v19
	;; [unrolled: 1-line block ×4, first 2 shown]
	s_cbranch_scc1 .LBB45_53
; %bb.52:                               ;   in Loop: Header=BB45_48 Depth=2
	s_wait_alu 0xfffe
	s_mov_b32 s21, s36
	s_branch .LBB45_48
.LBB45_53:                              ;   in Loop: Header=BB45_3 Depth=1
	s_wait_alu 0xfffe
	s_cmp_lt_i32 s36, 0
	s_cbranch_scc1 .LBB45_66
; %bb.54:                               ;   in Loop: Header=BB45_3 Depth=1
	s_bitcmp1_b32 s36, 0
	s_cselect_b32 s20, -1, 0
	s_wait_alu 0xfffe
	s_and_b32 vcc_lo, exec_lo, s20
	s_mov_b32 s20, s36
	s_wait_alu 0xfffe
	s_cbranch_vccnz .LBB45_59
; %bb.55:                               ;   in Loop: Header=BB45_3 Depth=1
	v_lshl_add_u32 v0, s36, 8, v6
	s_cmp_le_i32 s23, s36
	ds_load_b32 v1, v0
	s_cbranch_scc1 .LBB45_58
; %bb.56:                               ;   in Loop: Header=BB45_3 Depth=1
	v_mov_b32_e32 v12, v8
	s_lshl_b32 s20, s36, 8
	s_mov_b32 s21, s23
	s_wait_alu 0xfffe
	s_add_co_i32 s20, s34, s20
.LBB45_57:                              ;   Parent Loop BB45_3 Depth=1
                                        ; =>  This Inner Loop Header: Depth=2
	s_wait_alu 0xfffe
	v_mov_b32_e32 v13, s20
	s_add_co_i32 s21, s21, -1
	s_add_co_i32 s20, s20, -4
	s_wait_alu 0xfffe
	s_cmp_gt_u32 s21, s36
	ds_load_b32 v14, v12
	ds_load_b32 v13, v13
	v_add_nc_u32_e32 v12, 0xffffff00, v12
	s_wait_dscnt 0x0
	v_fma_f32 v1, -v14, v13, v1
	s_cbranch_scc1 .LBB45_57
.LBB45_58:                              ;   in Loop: Header=BB45_3 Depth=1
	s_mul_i32 s20, s36, 0x104
	s_wait_alu 0xfffe
	v_mov_b32_e32 v12, s20
	s_add_co_i32 s20, s36, -1
	ds_load_b32 v12, v12
	s_wait_dscnt 0x0
	v_div_scale_f32 v13, null, v12, v12, v1
	s_delay_alu instid0(VALU_DEP_1) | instskip(NEXT) | instid1(TRANS32_DEP_1)
	v_rcp_f32_e32 v14, v13
	v_fma_f32 v15, -v13, v14, 1.0
	s_delay_alu instid0(VALU_DEP_1) | instskip(SKIP_1) | instid1(VALU_DEP_1)
	v_fmac_f32_e32 v14, v15, v14
	v_div_scale_f32 v15, vcc_lo, v1, v12, v1
	v_mul_f32_e32 v16, v15, v14
	s_delay_alu instid0(VALU_DEP_1) | instskip(NEXT) | instid1(VALU_DEP_1)
	v_fma_f32 v17, -v13, v16, v15
	v_fmac_f32_e32 v16, v17, v14
	s_delay_alu instid0(VALU_DEP_1) | instskip(SKIP_1) | instid1(VALU_DEP_1)
	v_fma_f32 v13, -v13, v16, v15
	s_wait_alu 0xfffd
	v_div_fmas_f32 v13, v13, v14, v16
	s_delay_alu instid0(VALU_DEP_1)
	v_div_fixup_f32 v1, v13, v12, v1
	ds_store_b32 v0, v1
.LBB45_59:                              ;   in Loop: Header=BB45_3 Depth=1
	s_cmp_eq_u32 s36, 0
	s_cbranch_scc1 .LBB45_66
; %bb.60:                               ;   in Loop: Header=BB45_3 Depth=1
	s_wait_alu 0xfffe
	s_lshl_b32 s36, s20, 8
	s_wait_alu 0xfffe
	s_add_co_i32 s21, s34, s36
	s_add_co_i32 s36, s35, s36
	s_branch .LBB45_62
.LBB45_61:                              ;   in Loop: Header=BB45_62 Depth=2
	s_addk_co_i32 s38, 0xfefc
	s_add_co_i32 s20, s20, -2
	s_wait_alu 0xfffe
	v_mov_b32_e32 v0, s38
	s_addk_co_i32 s21, 0xfe00
	s_addk_co_i32 s36, 0xfe00
	s_cmp_eq_u32 s37, 0
	ds_load_b32 v0, v0
	s_wait_dscnt 0x0
	v_div_scale_f32 v12, null, v0, v0, v13
	v_div_scale_f32 v16, vcc_lo, v13, v0, v13
	s_delay_alu instid0(VALU_DEP_2) | instskip(NEXT) | instid1(TRANS32_DEP_1)
	v_rcp_f32_e32 v14, v12
	v_fma_f32 v15, -v12, v14, 1.0
	s_delay_alu instid0(VALU_DEP_1) | instskip(NEXT) | instid1(VALU_DEP_1)
	v_fmac_f32_e32 v14, v15, v14
	v_mul_f32_e32 v15, v16, v14
	s_delay_alu instid0(VALU_DEP_1) | instskip(NEXT) | instid1(VALU_DEP_1)
	v_fma_f32 v17, -v12, v15, v16
	v_fmac_f32_e32 v15, v17, v14
	s_delay_alu instid0(VALU_DEP_1) | instskip(SKIP_1) | instid1(VALU_DEP_1)
	v_fma_f32 v12, -v12, v15, v16
	s_wait_alu 0xfffd
	v_div_fmas_f32 v12, v12, v14, v15
	s_delay_alu instid0(VALU_DEP_1)
	v_div_fixup_f32 v0, v12, v0, v13
	ds_store_b32 v1, v0
	s_cbranch_scc1 .LBB45_66
.LBB45_62:                              ;   Parent Loop BB45_3 Depth=1
                                        ; =>  This Loop Header: Depth=2
                                        ;       Child Loop BB45_63 Depth 3
                                        ;       Child Loop BB45_65 Depth 3
	v_lshl_add_u32 v0, s20, 8, v6
	v_mov_b32_e32 v1, v8
	s_cmp_le_i32 s23, s20
	s_wait_alu 0xfffe
	s_mov_b32 s37, s21
	s_mov_b32 s38, s23
	ds_load_b32 v12, v0
	s_cbranch_scc1 .LBB45_64
.LBB45_63:                              ;   Parent Loop BB45_3 Depth=1
                                        ;     Parent Loop BB45_62 Depth=2
                                        ; =>    This Inner Loop Header: Depth=3
	s_wait_alu 0xfffe
	v_mov_b32_e32 v13, s37
	s_add_co_i32 s38, s38, -1
	s_add_co_i32 s37, s37, -4
	s_wait_alu 0xfffe
	s_cmp_le_u32 s38, s20
	ds_load_b32 v14, v1
	ds_load_b32 v13, v13
	v_add_nc_u32_e32 v1, 0xffffff00, v1
	s_wait_dscnt 0x0
	v_fma_f32 v12, -v14, v13, v12
	s_cbranch_scc0 .LBB45_63
.LBB45_64:                              ;   in Loop: Header=BB45_62 Depth=2
	s_mul_i32 s38, s20, 0x104
	s_add_co_i32 s37, s20, -1
	s_wait_alu 0xfffe
	v_mov_b32_e32 v1, s38
	s_cmp_le_i32 s1, s20
	s_mov_b32 s39, s36
	s_mov_b32 s40, s23
	ds_load_b32 v14, v1
	v_lshl_add_u32 v1, s37, 8, v6
	ds_load_b32 v13, v1
	s_wait_dscnt 0x1
	v_div_scale_f32 v15, null, v14, v14, v12
	s_delay_alu instid0(VALU_DEP_1) | instskip(NEXT) | instid1(TRANS32_DEP_1)
	v_rcp_f32_e32 v16, v15
	v_fma_f32 v17, -v15, v16, 1.0
	s_delay_alu instid0(VALU_DEP_1) | instskip(SKIP_1) | instid1(VALU_DEP_1)
	v_fmac_f32_e32 v16, v17, v16
	v_div_scale_f32 v17, vcc_lo, v12, v14, v12
	v_mul_f32_e32 v18, v17, v16
	s_delay_alu instid0(VALU_DEP_1) | instskip(NEXT) | instid1(VALU_DEP_1)
	v_fma_f32 v19, -v15, v18, v17
	v_fmac_f32_e32 v18, v19, v16
	s_delay_alu instid0(VALU_DEP_1) | instskip(SKIP_1) | instid1(VALU_DEP_1)
	v_fma_f32 v15, -v15, v18, v17
	s_wait_alu 0xfffd
	v_div_fmas_f32 v15, v15, v16, v18
	s_delay_alu instid0(VALU_DEP_1)
	v_div_fixup_f32 v14, v15, v14, v12
	v_mov_b32_e32 v12, v8
	ds_store_b32 v0, v14
	s_cbranch_scc1 .LBB45_61
.LBB45_65:                              ;   Parent Loop BB45_3 Depth=1
                                        ;     Parent Loop BB45_62 Depth=2
                                        ; =>    This Inner Loop Header: Depth=3
	s_wait_alu 0xfffe
	v_mov_b32_e32 v0, s39
	s_add_co_i32 s40, s40, -1
	s_add_co_i32 s39, s39, -4
	s_wait_alu 0xfffe
	s_cmp_gt_u32 s40, s37
	ds_load_b32 v14, v12
	ds_load_b32 v0, v0
	v_add_nc_u32_e32 v12, 0xffffff00, v12
	s_wait_dscnt 0x0
	v_fma_f32 v13, -v14, v0, v13
	s_cbranch_scc1 .LBB45_65
	s_branch .LBB45_61
.LBB45_66:                              ;   in Loop: Header=BB45_3 Depth=1
	s_mov_b32 s20, 0
.LBB45_67:                              ;   in Loop: Header=BB45_3 Depth=1
	s_wait_alu 0xfffe
	s_and_not1_b32 vcc_lo, exec_lo, s20
	s_wait_alu 0xfffe
	s_cbranch_vccnz .LBB45_79
; %bb.68:                               ;   in Loop: Header=BB45_3 Depth=1
	s_and_not1_b32 vcc_lo, exec_lo, s27
	s_mov_b32 s36, 0
	s_wait_alu 0xfffe
	s_cbranch_vccnz .LBB45_74
; %bb.69:                               ;   in Loop: Header=BB45_3 Depth=1
	s_mov_b32 s20, 0
	s_mov_b32 s21, 0
.LBB45_70:                              ;   Parent Loop BB45_3 Depth=1
                                        ; =>  This Loop Header: Depth=2
                                        ;       Child Loop BB45_71 Depth 3
	s_wait_alu 0xfffe
	s_or_b32 s37, s21, 1
	v_lshl_add_u32 v0, s21, 8, v6
	s_or_b32 s38, s21, 2
	s_or_b32 s36, s21, 3
	s_wait_alu 0xfffe
	v_lshl_add_u32 v1, s37, 8, v6
	v_lshl_add_u32 v12, s38, 8, v6
	;; [unrolled: 1-line block ×3, first 2 shown]
	ds_load_b32 v17, v0
	ds_load_b32 v16, v1
	;; [unrolled: 1-line block ×4, first 2 shown]
	v_mov_b32_e32 v18, v6
	s_cmp_eq_u32 s21, 0
	s_mov_b32 s39, s20
	s_mov_b32 s40, s21
	s_cbranch_scc1 .LBB45_72
.LBB45_71:                              ;   Parent Loop BB45_3 Depth=1
                                        ;     Parent Loop BB45_70 Depth=2
                                        ; =>    This Inner Loop Header: Depth=3
	s_wait_alu 0xfffe
	v_mov_b32_e32 v21, s39
	s_add_co_i32 s40, s40, -1
	s_add_co_i32 s39, s39, 4
	s_wait_alu 0xfffe
	s_cmp_eq_u32 s40, 0
	ds_load_b32 v23, v18
	ds_load_2addr_stride64_b32 v[19:20], v21 offset1:1
	ds_load_2addr_stride64_b32 v[21:22], v21 offset0:2 offset1:3
	v_add_nc_u32_e32 v18, 0x100, v18
	s_wait_dscnt 0x1
	v_fma_f32 v17, -v23, v19, v17
	v_fma_f32 v16, -v23, v20, v16
	s_wait_dscnt 0x0
	v_fma_f32 v15, -v23, v21, v15
	v_fma_f32 v14, -v23, v22, v14
	s_cbranch_scc0 .LBB45_71
.LBB45_72:                              ;   in Loop: Header=BB45_70 Depth=2
	s_lshl_b32 s39, s37, 6
	s_lshl_b32 s37, s38, 6
	s_mul_i32 s38, s21, 0x104
	s_wait_alu 0xfffe
	s_lshl_b32 s37, s37, 2
	v_mov_b32_e32 v18, s38
	s_lshl_b32 s38, s39, 2
	s_lshl_b32 s39, s21, 2
	s_lshl_b32 s36, s36, 6
	s_wait_alu 0xfffe
	s_add_co_i32 s37, s37, s39
	s_add_co_i32 s38, s38, s39
	s_wait_alu 0xfffe
	v_mov_b32_e32 v19, s37
	ds_load_b32 v23, v18
	s_lshl_b32 s36, s36, 2
	s_addk_co_i32 s20, 0x400
	s_wait_alu 0xfffe
	s_add_co_i32 s36, s36, s39
	s_wait_dscnt 0x0
	v_div_scale_f32 v24, null, v23, v23, v17
	v_div_scale_f32 v27, vcc_lo, v17, v23, v17
	s_delay_alu instid0(VALU_DEP_2) | instskip(NEXT) | instid1(TRANS32_DEP_1)
	v_rcp_f32_e32 v25, v24
	v_fma_f32 v26, -v24, v25, 1.0
	s_delay_alu instid0(VALU_DEP_1) | instskip(SKIP_3) | instid1(VALU_DEP_1)
	v_dual_mov_b32 v18, s38 :: v_dual_fmac_f32 v25, v26, v25
	ds_load_b64 v[21:22], v18
	ds_load_b96 v[18:20], v19
	v_mul_f32_e32 v26, v27, v25
	v_fma_f32 v28, -v24, v26, v27
	s_delay_alu instid0(VALU_DEP_1) | instskip(NEXT) | instid1(VALU_DEP_1)
	v_fmac_f32_e32 v26, v28, v25
	v_fma_f32 v24, -v24, v26, v27
	s_wait_alu 0xfffd
	s_delay_alu instid0(VALU_DEP_1) | instskip(NEXT) | instid1(VALU_DEP_1)
	v_div_fmas_f32 v24, v24, v25, v26
	v_div_fixup_f32 v23, v24, v23, v17
	s_wait_dscnt 0x1
	s_delay_alu instid0(VALU_DEP_1) | instskip(SKIP_2) | instid1(VALU_DEP_2)
	v_fma_f32 v16, -v23, v21, v16
	s_wait_dscnt 0x0
	v_fma_f32 v15, -v23, v18, v15
	v_div_scale_f32 v17, null, v22, v22, v16
	v_div_scale_f32 v25, vcc_lo, v16, v22, v16
	s_delay_alu instid0(VALU_DEP_2) | instskip(NEXT) | instid1(TRANS32_DEP_1)
	v_rcp_f32_e32 v21, v17
	v_fma_f32 v24, -v17, v21, 1.0
	s_delay_alu instid0(VALU_DEP_1) | instskip(NEXT) | instid1(VALU_DEP_1)
	v_fmac_f32_e32 v21, v24, v21
	v_mul_f32_e32 v24, v25, v21
	s_delay_alu instid0(VALU_DEP_1) | instskip(NEXT) | instid1(VALU_DEP_1)
	v_fma_f32 v26, -v17, v24, v25
	v_fmac_f32_e32 v24, v26, v21
	s_delay_alu instid0(VALU_DEP_1) | instskip(SKIP_1) | instid1(VALU_DEP_1)
	v_fma_f32 v17, -v17, v24, v25
	s_wait_alu 0xfffd
	v_div_fmas_f32 v17, v17, v21, v24
	s_delay_alu instid0(VALU_DEP_1)
	v_div_fixup_f32 v21, v17, v22, v16
	s_wait_alu 0xfffe
	v_mov_b32_e32 v16, s36
	s_add_co_i32 s36, s21, 4
	s_add_co_i32 s21, s21, 7
	v_fma_f32 v19, -v21, v19, v15
	s_wait_alu 0xfffe
	s_cmp_ge_i32 s21, s1
	s_delay_alu instid0(VALU_DEP_1) | instskip(SKIP_1) | instid1(VALU_DEP_2)
	v_div_scale_f32 v22, null, v20, v20, v19
	v_div_scale_f32 v25, vcc_lo, v19, v20, v19
	v_rcp_f32_e32 v24, v22
	s_delay_alu instid0(TRANS32_DEP_1) | instskip(NEXT) | instid1(VALU_DEP_1)
	v_fma_f32 v15, -v22, v24, 1.0
	v_fmac_f32_e32 v24, v15, v24
	ds_load_b128 v[15:18], v16
	v_mul_f32_e32 v26, v25, v24
	s_delay_alu instid0(VALU_DEP_1) | instskip(NEXT) | instid1(VALU_DEP_1)
	v_fma_f32 v27, -v22, v26, v25
	v_fmac_f32_e32 v26, v27, v24
	s_delay_alu instid0(VALU_DEP_1) | instskip(SKIP_3) | instid1(VALU_DEP_2)
	v_fma_f32 v22, -v22, v26, v25
	s_wait_dscnt 0x0
	v_fma_f32 v14, -v23, v15, v14
	s_wait_alu 0xfffd
	v_div_fmas_f32 v15, v22, v24, v26
	s_delay_alu instid0(VALU_DEP_2) | instskip(NEXT) | instid1(VALU_DEP_2)
	v_fma_f32 v14, -v21, v16, v14
	v_div_fixup_f32 v15, v15, v20, v19
	s_delay_alu instid0(VALU_DEP_1) | instskip(NEXT) | instid1(VALU_DEP_1)
	v_fma_f32 v14, -v15, v17, v14
	v_div_scale_f32 v16, null, v18, v18, v14
	v_div_scale_f32 v20, vcc_lo, v14, v18, v14
	s_delay_alu instid0(VALU_DEP_2) | instskip(NEXT) | instid1(TRANS32_DEP_1)
	v_rcp_f32_e32 v17, v16
	v_fma_f32 v19, -v16, v17, 1.0
	s_delay_alu instid0(VALU_DEP_1) | instskip(NEXT) | instid1(VALU_DEP_1)
	v_fmac_f32_e32 v17, v19, v17
	v_mul_f32_e32 v19, v20, v17
	s_delay_alu instid0(VALU_DEP_1) | instskip(NEXT) | instid1(VALU_DEP_1)
	v_fma_f32 v22, -v16, v19, v20
	v_fmac_f32_e32 v19, v22, v17
	s_delay_alu instid0(VALU_DEP_1) | instskip(SKIP_1) | instid1(VALU_DEP_1)
	v_fma_f32 v16, -v16, v19, v20
	s_wait_alu 0xfffd
	v_div_fmas_f32 v16, v16, v17, v19
	s_delay_alu instid0(VALU_DEP_1)
	v_div_fixup_f32 v14, v16, v18, v14
	ds_store_b32 v0, v23
	ds_store_b32 v1, v21
	;; [unrolled: 1-line block ×4, first 2 shown]
	s_cbranch_scc1 .LBB45_74
; %bb.73:                               ;   in Loop: Header=BB45_70 Depth=2
	s_mov_b32 s21, s36
	s_branch .LBB45_70
.LBB45_74:                              ;   in Loop: Header=BB45_3 Depth=1
	s_cmp_ge_i32 s36, s1
	s_cbranch_scc1 .LBB45_79
; %bb.75:                               ;   in Loop: Header=BB45_3 Depth=1
	s_lshl_b32 s20, s36, 8
	s_branch .LBB45_77
.LBB45_76:                              ;   in Loop: Header=BB45_77 Depth=2
	s_mul_i32 s21, s36, 0x104
	s_add_co_i32 s36, s36, 1
	s_wait_alu 0xfffe
	v_mov_b32_e32 v12, s21
	s_addk_co_i32 s20, 0x100
	s_cmp_ge_i32 s36, s1
	ds_load_b32 v12, v12
	s_wait_dscnt 0x0
	v_div_scale_f32 v13, null, v12, v12, v1
	s_delay_alu instid0(VALU_DEP_1) | instskip(NEXT) | instid1(TRANS32_DEP_1)
	v_rcp_f32_e32 v14, v13
	v_fma_f32 v15, -v13, v14, 1.0
	s_delay_alu instid0(VALU_DEP_1) | instskip(SKIP_1) | instid1(VALU_DEP_1)
	v_fmac_f32_e32 v14, v15, v14
	v_div_scale_f32 v15, vcc_lo, v1, v12, v1
	v_mul_f32_e32 v16, v15, v14
	s_delay_alu instid0(VALU_DEP_1) | instskip(NEXT) | instid1(VALU_DEP_1)
	v_fma_f32 v17, -v13, v16, v15
	v_fmac_f32_e32 v16, v17, v14
	s_delay_alu instid0(VALU_DEP_1) | instskip(SKIP_1) | instid1(VALU_DEP_1)
	v_fma_f32 v13, -v13, v16, v15
	s_wait_alu 0xfffd
	v_div_fmas_f32 v13, v13, v14, v16
	s_delay_alu instid0(VALU_DEP_1)
	v_div_fixup_f32 v1, v13, v12, v1
	ds_store_b32 v0, v1
	s_cbranch_scc1 .LBB45_79
.LBB45_77:                              ;   Parent Loop BB45_3 Depth=1
                                        ; =>  This Loop Header: Depth=2
                                        ;       Child Loop BB45_78 Depth 3
	v_lshl_add_u32 v0, s36, 8, v6
	v_mov_b32_e32 v12, v6
	s_cmp_eq_u32 s36, 0
	s_wait_alu 0xfffe
	s_mov_b32 s21, s20
	s_mov_b32 s37, s36
	ds_load_b32 v1, v0
	s_cbranch_scc1 .LBB45_76
.LBB45_78:                              ;   Parent Loop BB45_3 Depth=1
                                        ;     Parent Loop BB45_77 Depth=2
                                        ; =>    This Inner Loop Header: Depth=3
	s_wait_alu 0xfffe
	v_mov_b32_e32 v13, s21
	s_add_co_i32 s37, s37, -1
	s_add_co_i32 s21, s21, 4
	s_wait_alu 0xfffe
	s_cmp_eq_u32 s37, 0
	ds_load_b32 v14, v12
	ds_load_b32 v13, v13
	v_add_nc_u32_e32 v12, 0x100, v12
	s_wait_dscnt 0x0
	v_fma_f32 v1, -v14, v13, v1
	s_cbranch_scc0 .LBB45_78
	s_branch .LBB45_76
.LBB45_79:                              ;   in Loop: Header=BB45_3 Depth=1
	s_and_saveexec_b32 s20, s28
	s_cbranch_execz .LBB45_2
; %bb.80:                               ;   in Loop: Header=BB45_3 Depth=1
	v_add_co_u32 v0, vcc_lo, v2, v11
	s_wait_alu 0xfffd
	v_add_co_ci_u32_e64 v1, null, 0, v3, vcc_lo
	v_mov_b32_e32 v2, v6
	s_mov_b32 s21, s16
.LBB45_81:                              ;   Parent Loop BB45_3 Depth=1
                                        ; =>  This Inner Loop Header: Depth=2
	ds_load_b32 v3, v2
	v_add_nc_u32_e32 v2, 0x100, v2
	s_wait_alu 0xfffe
	s_add_co_i32 s21, s21, -1
	s_wait_alu 0xfffe
	s_cmp_lg_u32 s21, 0
	s_wait_dscnt 0x0
	flat_store_b32 v[0:1], v3
	v_add_co_u32 v0, vcc_lo, v0, s14
	s_wait_alu 0xfffd
	v_add_co_ci_u32_e64 v1, null, s15, v1, vcc_lo
	s_cbranch_scc1 .LBB45_81
	s_branch .LBB45_2
.LBB45_82:
	s_endpgm
	.section	.rodata,"a",@progbits
	.p2align	6, 0x0
	.amdhsa_kernel _ZL31rocblas_trsm_small_right_deviceIffPKPKfPKPfLi64EEv13rocblas_fill_18rocblas_operation_17rocblas_diagonal_iiT0_T1_lilT2_lili
		.amdhsa_group_segment_fixed_size 32768
		.amdhsa_private_segment_fixed_size 0
		.amdhsa_kernarg_size 352
		.amdhsa_user_sgpr_count 2
		.amdhsa_user_sgpr_dispatch_ptr 0
		.amdhsa_user_sgpr_queue_ptr 0
		.amdhsa_user_sgpr_kernarg_segment_ptr 1
		.amdhsa_user_sgpr_dispatch_id 0
		.amdhsa_user_sgpr_private_segment_size 0
		.amdhsa_wavefront_size32 1
		.amdhsa_uses_dynamic_stack 0
		.amdhsa_enable_private_segment 0
		.amdhsa_system_sgpr_workgroup_id_x 1
		.amdhsa_system_sgpr_workgroup_id_y 0
		.amdhsa_system_sgpr_workgroup_id_z 1
		.amdhsa_system_sgpr_workgroup_info 0
		.amdhsa_system_vgpr_workitem_id 0
		.amdhsa_next_free_vgpr 241
		.amdhsa_next_free_sgpr 43
		.amdhsa_reserve_vcc 1
		.amdhsa_float_round_mode_32 0
		.amdhsa_float_round_mode_16_64 0
		.amdhsa_float_denorm_mode_32 3
		.amdhsa_float_denorm_mode_16_64 3
		.amdhsa_fp16_overflow 0
		.amdhsa_workgroup_processor_mode 1
		.amdhsa_memory_ordered 1
		.amdhsa_forward_progress 1
		.amdhsa_inst_pref_size 53
		.amdhsa_round_robin_scheduling 0
		.amdhsa_exception_fp_ieee_invalid_op 0
		.amdhsa_exception_fp_denorm_src 0
		.amdhsa_exception_fp_ieee_div_zero 0
		.amdhsa_exception_fp_ieee_overflow 0
		.amdhsa_exception_fp_ieee_underflow 0
		.amdhsa_exception_fp_ieee_inexact 0
		.amdhsa_exception_int_div_zero 0
	.end_amdhsa_kernel
	.section	.text._ZL31rocblas_trsm_small_right_deviceIffPKPKfPKPfLi64EEv13rocblas_fill_18rocblas_operation_17rocblas_diagonal_iiT0_T1_lilT2_lili,"axG",@progbits,_ZL31rocblas_trsm_small_right_deviceIffPKPKfPKPfLi64EEv13rocblas_fill_18rocblas_operation_17rocblas_diagonal_iiT0_T1_lilT2_lili,comdat
.Lfunc_end45:
	.size	_ZL31rocblas_trsm_small_right_deviceIffPKPKfPKPfLi64EEv13rocblas_fill_18rocblas_operation_17rocblas_diagonal_iiT0_T1_lilT2_lili, .Lfunc_end45-_ZL31rocblas_trsm_small_right_deviceIffPKPKfPKPfLi64EEv13rocblas_fill_18rocblas_operation_17rocblas_diagonal_iiT0_T1_lilT2_lili
                                        ; -- End function
	.set _ZL31rocblas_trsm_small_right_deviceIffPKPKfPKPfLi64EEv13rocblas_fill_18rocblas_operation_17rocblas_diagonal_iiT0_T1_lilT2_lili.num_vgpr, 30
	.set _ZL31rocblas_trsm_small_right_deviceIffPKPKfPKPfLi64EEv13rocblas_fill_18rocblas_operation_17rocblas_diagonal_iiT0_T1_lilT2_lili.num_agpr, 0
	.set _ZL31rocblas_trsm_small_right_deviceIffPKPKfPKPfLi64EEv13rocblas_fill_18rocblas_operation_17rocblas_diagonal_iiT0_T1_lilT2_lili.numbered_sgpr, 43
	.set _ZL31rocblas_trsm_small_right_deviceIffPKPKfPKPfLi64EEv13rocblas_fill_18rocblas_operation_17rocblas_diagonal_iiT0_T1_lilT2_lili.num_named_barrier, 0
	.set _ZL31rocblas_trsm_small_right_deviceIffPKPKfPKPfLi64EEv13rocblas_fill_18rocblas_operation_17rocblas_diagonal_iiT0_T1_lilT2_lili.private_seg_size, 0
	.set _ZL31rocblas_trsm_small_right_deviceIffPKPKfPKPfLi64EEv13rocblas_fill_18rocblas_operation_17rocblas_diagonal_iiT0_T1_lilT2_lili.uses_vcc, 1
	.set _ZL31rocblas_trsm_small_right_deviceIffPKPKfPKPfLi64EEv13rocblas_fill_18rocblas_operation_17rocblas_diagonal_iiT0_T1_lilT2_lili.uses_flat_scratch, 0
	.set _ZL31rocblas_trsm_small_right_deviceIffPKPKfPKPfLi64EEv13rocblas_fill_18rocblas_operation_17rocblas_diagonal_iiT0_T1_lilT2_lili.has_dyn_sized_stack, 0
	.set _ZL31rocblas_trsm_small_right_deviceIffPKPKfPKPfLi64EEv13rocblas_fill_18rocblas_operation_17rocblas_diagonal_iiT0_T1_lilT2_lili.has_recursion, 0
	.set _ZL31rocblas_trsm_small_right_deviceIffPKPKfPKPfLi64EEv13rocblas_fill_18rocblas_operation_17rocblas_diagonal_iiT0_T1_lilT2_lili.has_indirect_call, 0
	.section	.AMDGPU.csdata,"",@progbits
; Kernel info:
; codeLenInByte = 6716
; TotalNumSgprs: 45
; NumVgprs: 30
; ScratchSize: 0
; MemoryBound: 0
; FloatMode: 240
; IeeeMode: 1
; LDSByteSize: 32768 bytes/workgroup (compile time only)
; SGPRBlocks: 0
; VGPRBlocks: 30
; NumSGPRsForWavesPerEU: 45
; NumVGPRsForWavesPerEU: 241
; Occupancy: 2
; WaveLimiterHint : 0
; COMPUTE_PGM_RSRC2:SCRATCH_EN: 0
; COMPUTE_PGM_RSRC2:USER_SGPR: 2
; COMPUTE_PGM_RSRC2:TRAP_HANDLER: 0
; COMPUTE_PGM_RSRC2:TGID_X_EN: 1
; COMPUTE_PGM_RSRC2:TGID_Y_EN: 0
; COMPUTE_PGM_RSRC2:TGID_Z_EN: 1
; COMPUTE_PGM_RSRC2:TIDIG_COMP_CNT: 0
	.section	.text._ZL39rocblas_trsm_block_forward_substitutionIffPKPKfPKPfLb0ELb0ELb0EEv18rocblas_operation_llT0_T1_lllT2_lllib,"axG",@progbits,_ZL39rocblas_trsm_block_forward_substitutionIffPKPKfPKPfLb0ELb0ELb0EEv18rocblas_operation_llT0_T1_lllT2_lllib,comdat
	.globl	_ZL39rocblas_trsm_block_forward_substitutionIffPKPKfPKPfLb0ELb0ELb0EEv18rocblas_operation_llT0_T1_lllT2_lllib ; -- Begin function _ZL39rocblas_trsm_block_forward_substitutionIffPKPKfPKPfLb0ELb0ELb0EEv18rocblas_operation_llT0_T1_lllT2_lllib
	.p2align	8
	.type	_ZL39rocblas_trsm_block_forward_substitutionIffPKPKfPKPfLb0ELb0ELb0EEv18rocblas_operation_llT0_T1_lllT2_lllib,@function
_ZL39rocblas_trsm_block_forward_substitutionIffPKPKfPKPfLb0ELb0ELb0EEv18rocblas_operation_llT0_T1_lllT2_lllib: ; @_ZL39rocblas_trsm_block_forward_substitutionIffPKPKfPKPfLb0ELb0ELb0EEv18rocblas_operation_llT0_T1_lllT2_lllib
; %bb.0:
	s_load_b64 s[16:17], s[0:1], 0x60
	s_lshr_b32 s18, ttmp7, 16
	s_wait_kmcnt 0x0
	s_cmp_ge_u32 s18, s16
	s_cbranch_scc1 .LBB46_27
; %bb.1:
	s_clause 0x1
	s_load_u16 s30, s[0:1], 0x76
	s_load_b64 s[26:27], s[0:1], 0x50
	v_bfe_u32 v1, v0, 10, 10
	s_bitcmp1_b32 s17, 0
	s_clause 0x2
	s_load_b128 s[4:7], s[0:1], 0x8
	s_load_b128 s[8:11], s[0:1], 0x40
	s_load_b32 s17, s[0:1], 0x18
	s_cselect_b32 s2, -1, 0
	s_and_b32 s3, ttmp7, 0xffff
	s_clause 0x1
	s_load_b128 s[12:15], s[0:1], 0x20
	s_load_b64 s[24:25], s[0:1], 0x30
	s_add_nc_u64 s[20:21], s[0:1], 0x68
	s_mov_b64 s[22:23], src_shared_base
	s_mov_b32 s19, 0
	v_mov_b32_e32 v3, 0
	s_wait_kmcnt 0x0
	v_mad_co_u64_u32 v[4:5], null, s3, s30, v[1:2]
	v_and_b32_e32 v2, 0x3ff, v0
	s_lshl_b32 s0, s30, 2
	v_cmp_gt_i64_e64 s31, s[4:5], 0
	v_mov_b32_e32 v5, v3
	s_add_co_i32 s22, s0, 0
	v_cmp_gt_i64_e64 s1, s[4:5], v[2:3]
	v_mad_co_u64_u32 v[6:7], null, s26, v4, 0
	s_delay_alu instid0(VALU_DEP_3)
	v_cmp_gt_i64_e64 s3, s[6:7], v[4:5]
	v_cmp_le_i64_e32 vcc_lo, s[4:5], v[2:3]
	v_lshl_add_u32 v0, v1, 2, 0
	v_lshl_add_u32 v14, v2, 2, s22
	v_lshlrev_b32_e32 v15, 2, v2
	s_lshl_b64 s[6:7], s[14:15], 2
	v_mad_co_u64_u32 v[7:8], null, s27, v4, v[7:8]
	s_add_nc_u64 s[26:27], s[4:5], -1
	s_and_b32 s1, s3, s1
	s_wait_alu 0xfffe
	v_cmp_eq_u64_e64 s0, s[26:27], v[2:3]
	v_cmp_gt_i64_e64 s3, s[4:5], 1
	s_lshl_b64 s[10:11], s[10:11], 2
	s_xor_b32 s33, vcc_lo, -1
	v_lshlrev_b64_e32 v[4:5], 2, v[6:7]
	s_branch .LBB46_4
.LBB46_2:                               ;   in Loop: Header=BB46_4 Depth=1
	s_wait_alu 0xfffe
	s_or_b32 exec_lo, exec_lo, s14
	flat_store_b32 v[8:9], v16
.LBB46_3:                               ;   in Loop: Header=BB46_4 Depth=1
	s_or_b32 exec_lo, exec_lo, s34
	s_add_co_i32 s18, s18, 0x10000
	s_delay_alu instid0(SALU_CYCLE_1)
	s_cmp_lt_u32 s18, s16
	s_cbranch_scc0 .LBB46_27
.LBB46_4:                               ; =>This Loop Header: Depth=1
                                        ;     Child Loop BB46_9 Depth 2
                                        ;     Child Loop BB46_21 Depth 2
	s_lshl_b64 s[14:15], s[18:19], 3
	s_wait_alu 0xfffe
	s_add_nc_u64 s[28:29], s[12:13], s[14:15]
	s_add_nc_u64 s[14:15], s[8:9], s[14:15]
	global_load_b64 v[6:7], v3, s[28:29]
	s_wait_loadcnt 0x1
	global_load_b64 v[8:9], v3, s[14:15]
	s_wait_loadcnt 0x1
	v_add_co_u32 v6, vcc_lo, v6, s6
	s_wait_alu 0xfffd
	v_add_co_ci_u32_e64 v7, null, s7, v7, vcc_lo
	s_and_not1_b32 vcc_lo, exec_lo, s2
	s_wait_alu 0xfffe
	s_cbranch_vccz .LBB46_6
; %bb.5:                                ;   in Loop: Header=BB46_4 Depth=1
	s_and_saveexec_b32 s34, s1
	s_cbranch_execz .LBB46_3
	s_branch .LBB46_18
.LBB46_6:                               ;   in Loop: Header=BB46_4 Depth=1
	s_and_not1_b32 vcc_lo, exec_lo, s31
	s_wait_alu 0xfffe
	s_cbranch_vccnz .LBB46_17
; %bb.7:                                ;   in Loop: Header=BB46_4 Depth=1
	v_mad_co_u64_u32 v[10:11], null, s24, v2, 0
	s_mov_b32 s14, s30
	v_mad_co_u64_u32 v[11:12], null, s25, v2, v[11:12]
	s_wait_dscnt 0x0
	s_delay_alu instid0(VALU_DEP_1) | instskip(SKIP_3) | instid1(VALU_DEP_2)
	v_lshlrev_b64_e32 v[12:13], 2, v[10:11]
	v_add_co_u32 v10, vcc_lo, v6, v15
	s_wait_alu 0xfffd
	v_add_co_ci_u32_e64 v11, null, 0, v7, vcc_lo
	v_add_co_u32 v6, vcc_lo, v10, v12
	s_wait_alu 0xfffd
	s_delay_alu instid0(VALU_DEP_2)
	v_add_co_ci_u32_e64 v7, null, v11, v13, vcc_lo
	v_mov_b32_e32 v12, v1
	s_branch .LBB46_9
.LBB46_8:                               ;   in Loop: Header=BB46_9 Depth=2
	s_wait_alu 0xfffe
	s_or_b32 exec_lo, exec_lo, s28
	s_ashr_i32 s15, s14, 31
	v_add_nc_u32_e32 v12, s30, v12
	s_wait_alu 0xfffe
	v_cmp_le_i64_e64 s15, s[4:5], s[14:15]
	s_add_co_i32 s14, s14, s30
	s_and_b32 vcc_lo, exec_lo, s15
	s_wait_alu 0xfffe
	s_cbranch_vccnz .LBB46_17
.LBB46_9:                               ;   Parent Loop BB46_4 Depth=1
                                        ; =>  This Inner Loop Header: Depth=2
	s_delay_alu instid0(VALU_DEP_1)
	v_cmp_gt_i32_e32 vcc_lo, v2, v12
	s_mov_b32 s15, 0
                                        ; implicit-def: $vgpr13
	s_and_b32 s28, s33, vcc_lo
	s_wait_alu 0xfffe
	s_and_saveexec_b32 s29, s28
	s_wait_alu 0xfffe
	s_xor_b32 s28, exec_lo, s29
	s_cbranch_execnz .LBB46_12
; %bb.10:                               ;   in Loop: Header=BB46_9 Depth=2
	s_wait_alu 0xfffe
	s_or_saveexec_b32 s28, s28
	v_mov_b32_e32 v16, v12
	s_wait_alu 0xfffe
	s_xor_b32 exec_lo, exec_lo, s28
	s_cbranch_execnz .LBB46_13
.LBB46_11:                              ;   in Loop: Header=BB46_9 Depth=2
	s_or_b32 exec_lo, exec_lo, s28
	s_wait_alu 0xfffe
	s_and_saveexec_b32 s28, s15
	s_cbranch_execz .LBB46_8
	s_branch .LBB46_16
.LBB46_12:                              ;   in Loop: Header=BB46_9 Depth=2
	s_wait_loadcnt_dscnt 0x0
	v_ashrrev_i32_e32 v13, 31, v12
	v_mul_lo_u32 v18, s25, v12
	v_mad_co_u64_u32 v[16:17], null, s24, v12, 0
	s_mov_b32 s15, exec_lo
	v_mul_lo_u32 v13, s24, v13
	s_delay_alu instid0(VALU_DEP_1) | instskip(NEXT) | instid1(VALU_DEP_1)
	v_add3_u32 v17, v17, v13, v18
	v_lshlrev_b64_e32 v[16:17], 2, v[16:17]
	s_delay_alu instid0(VALU_DEP_1) | instskip(SKIP_1) | instid1(VALU_DEP_2)
	v_add_co_u32 v16, vcc_lo, v10, v16
	s_wait_alu 0xfffd
	v_add_co_ci_u32_e64 v17, null, v11, v17, vcc_lo
	flat_load_b32 v13, v[16:17]
	s_wait_alu 0xfffe
	s_or_saveexec_b32 s28, s28
	v_mov_b32_e32 v16, v12
	s_wait_alu 0xfffe
	s_xor_b32 exec_lo, exec_lo, s28
	s_cbranch_execz .LBB46_11
.LBB46_13:                              ;   in Loop: Header=BB46_9 Depth=2
	v_cmp_eq_u32_e32 vcc_lo, v2, v12
	s_wait_alu 0xfffe
	s_mov_b32 s34, s15
                                        ; implicit-def: $vgpr13
	s_and_b32 s35, s33, vcc_lo
	s_delay_alu instid0(SALU_CYCLE_1)
	s_and_saveexec_b32 s29, s35
	s_cbranch_execz .LBB46_15
; %bb.14:                               ;   in Loop: Header=BB46_9 Depth=2
	s_wait_loadcnt_dscnt 0x0
	flat_load_b32 v13, v[6:7]
	s_or_b32 s34, s15, exec_lo
	s_wait_loadcnt_dscnt 0x0
	v_div_scale_f32 v16, null, v13, v13, 1.0
	s_delay_alu instid0(VALU_DEP_1) | instskip(NEXT) | instid1(TRANS32_DEP_1)
	v_rcp_f32_e32 v17, v16
	v_fma_f32 v18, -v16, v17, 1.0
	s_delay_alu instid0(VALU_DEP_1) | instskip(SKIP_1) | instid1(VALU_DEP_1)
	v_fmac_f32_e32 v17, v18, v17
	v_div_scale_f32 v18, vcc_lo, 1.0, v13, 1.0
	v_mul_f32_e32 v19, v18, v17
	s_delay_alu instid0(VALU_DEP_1) | instskip(NEXT) | instid1(VALU_DEP_1)
	v_fma_f32 v20, -v16, v19, v18
	v_fmac_f32_e32 v19, v20, v17
	s_delay_alu instid0(VALU_DEP_1) | instskip(SKIP_1) | instid1(VALU_DEP_1)
	v_fma_f32 v16, -v16, v19, v18
	s_wait_alu 0xfffd
	v_div_fmas_f32 v16, v16, v17, v19
	s_delay_alu instid0(VALU_DEP_1)
	v_div_fixup_f32 v13, v16, v13, 1.0
.LBB46_15:                              ;   in Loop: Header=BB46_9 Depth=2
	s_wait_alu 0xfffe
	s_or_b32 exec_lo, exec_lo, s29
	v_mov_b32_e32 v16, v2
	s_and_not1_b32 s15, s15, exec_lo
	s_and_b32 s29, s34, exec_lo
	s_wait_alu 0xfffe
	s_or_b32 s15, s15, s29
	s_or_b32 exec_lo, exec_lo, s28
	s_wait_alu 0xfffe
	s_and_saveexec_b32 s28, s15
	s_cbranch_execz .LBB46_8
.LBB46_16:                              ;   in Loop: Header=BB46_9 Depth=2
	s_load_b32 s15, s[20:21], 0xc
	s_wait_kmcnt 0x0
	s_and_b32 s15, s15, 0xffff
	s_wait_alu 0xfffe
	v_mul_lo_u32 v16, v16, s15
	s_delay_alu instid0(VALU_DEP_1)
	v_lshl_add_u32 v16, v16, 2, v14
	s_wait_loadcnt_dscnt 0x0
	ds_store_b32 v16, v13
	s_branch .LBB46_8
.LBB46_17:                              ;   in Loop: Header=BB46_4 Depth=1
	s_load_b32 s14, s[20:21], 0xc
	v_dual_mov_b32 v6, s22 :: v_dual_mov_b32 v7, s23
	s_mov_b32 s25, s19
	s_wait_kmcnt 0x0
	s_and_b32 s24, s14, 0xffff
	s_and_saveexec_b32 s34, s1
	s_cbranch_execz .LBB46_3
.LBB46_18:                              ;   in Loop: Header=BB46_4 Depth=1
	s_wait_loadcnt 0x0
	v_add_co_u32 v8, vcc_lo, v8, s10
	s_wait_alu 0xfffd
	v_add_co_ci_u32_e64 v9, null, s11, v9, vcc_lo
	s_delay_alu instid0(VALU_DEP_2) | instskip(SKIP_1) | instid1(VALU_DEP_2)
	v_add_co_u32 v8, vcc_lo, v8, v4
	s_wait_alu 0xfffd
	v_add_co_ci_u32_e64 v9, null, v9, v5, vcc_lo
	s_delay_alu instid0(VALU_DEP_2) | instskip(SKIP_1) | instid1(VALU_DEP_2)
	v_add_co_u32 v8, vcc_lo, v8, v15
	s_wait_alu 0xfffd
	v_add_co_ci_u32_e64 v9, null, 0, v9, vcc_lo
	s_and_not1_b32 vcc_lo, exec_lo, s3
	flat_load_b32 v10, v[8:9]
	s_wait_loadcnt_dscnt 0x0
	v_mul_f32_e32 v16, s17, v10
	s_wait_alu 0xfffe
	s_cbranch_vccnz .LBB46_25
; %bb.19:                               ;   in Loop: Header=BB46_4 Depth=1
	v_mad_co_u64_u32 v[10:11], null, v2, s24, v[2:3]
	s_lshl_b64 s[14:15], s[24:25], 2
	s_mov_b64 s[28:29], 0
	v_mad_co_u64_u32 v[11:12], null, v2, s25, v[11:12]
	s_delay_alu instid0(VALU_DEP_1) | instskip(SKIP_3) | instid1(VALU_DEP_3)
	v_lshlrev_b64_e32 v[12:13], 2, v[10:11]
	v_add_co_u32 v10, vcc_lo, v6, v15
	s_wait_alu 0xfffd
	v_add_co_ci_u32_e64 v11, null, 0, v7, vcc_lo
	v_add_co_u32 v12, vcc_lo, v6, v12
	s_wait_alu 0xfffd
	v_add_co_ci_u32_e64 v13, null, v7, v13, vcc_lo
	s_branch .LBB46_21
.LBB46_20:                              ;   in Loop: Header=BB46_21 Depth=2
	s_or_b32 exec_lo, exec_lo, s35
	s_wait_alu 0xfffe
	v_add_co_u32 v10, vcc_lo, v10, s14
	s_wait_alu 0xfffd
	v_add_co_ci_u32_e64 v11, null, s15, v11, vcc_lo
	s_add_nc_u64 s[28:29], s[28:29], 1
	s_wait_alu 0xfffe
	s_cmp_eq_u64 s[26:27], s[28:29]
	s_cbranch_scc1 .LBB46_25
.LBB46_21:                              ;   Parent Loop BB46_4 Depth=1
                                        ; =>  This Inner Loop Header: Depth=2
	s_mov_b32 s35, exec_lo
	s_barrier_signal -1
	s_barrier_wait -1
	global_inv scope:SCOPE_SE
	s_wait_alu 0xfffe
	v_cmpx_eq_u64_e64 s[28:29], v[2:3]
	s_cbranch_execz .LBB46_23
; %bb.22:                               ;   in Loop: Header=BB46_21 Depth=2
	flat_load_b32 v17, v[12:13]
	s_wait_loadcnt_dscnt 0x0
	v_div_scale_f32 v18, null, v17, v17, 1.0
	s_delay_alu instid0(VALU_DEP_1) | instskip(NEXT) | instid1(TRANS32_DEP_1)
	v_rcp_f32_e32 v19, v18
	v_fma_f32 v20, -v18, v19, 1.0
	s_delay_alu instid0(VALU_DEP_1) | instskip(SKIP_1) | instid1(VALU_DEP_1)
	v_fmac_f32_e32 v19, v20, v19
	v_div_scale_f32 v20, vcc_lo, 1.0, v17, 1.0
	v_mul_f32_e32 v21, v20, v19
	s_delay_alu instid0(VALU_DEP_1) | instskip(NEXT) | instid1(VALU_DEP_1)
	v_fma_f32 v22, -v18, v21, v20
	v_fmac_f32_e32 v21, v22, v19
	s_delay_alu instid0(VALU_DEP_1) | instskip(SKIP_1) | instid1(VALU_DEP_1)
	v_fma_f32 v18, -v18, v21, v20
	s_wait_alu 0xfffd
	v_div_fmas_f32 v18, v18, v19, v21
	s_delay_alu instid0(VALU_DEP_1) | instskip(NEXT) | instid1(VALU_DEP_1)
	v_div_fixup_f32 v18, v18, v17, 1.0
	v_cndmask_b32_e64 v17, v18, v17, s2
	s_delay_alu instid0(VALU_DEP_1)
	v_mul_f32_e32 v16, v16, v17
	ds_store_b32 v0, v16
.LBB46_23:                              ;   in Loop: Header=BB46_21 Depth=2
	s_or_b32 exec_lo, exec_lo, s35
	s_delay_alu instid0(SALU_CYCLE_1)
	s_mov_b32 s35, exec_lo
	s_wait_loadcnt_dscnt 0x0
	s_barrier_signal -1
	s_barrier_wait -1
	global_inv scope:SCOPE_SE
	v_cmpx_lt_u64_e64 s[28:29], v[2:3]
	s_cbranch_execz .LBB46_20
; %bb.24:                               ;   in Loop: Header=BB46_21 Depth=2
	flat_load_b32 v17, v[10:11]
	ds_load_b32 v18, v0
	s_wait_loadcnt_dscnt 0x0
	v_fma_f32 v16, -v17, v18, v16
	s_branch .LBB46_20
.LBB46_25:                              ;   in Loop: Header=BB46_4 Depth=1
	s_and_saveexec_b32 s14, s0
	s_cbranch_execz .LBB46_2
; %bb.26:                               ;   in Loop: Header=BB46_4 Depth=1
	v_mad_co_u64_u32 v[10:11], null, v2, s24, v[2:3]
	s_delay_alu instid0(VALU_DEP_1) | instskip(NEXT) | instid1(VALU_DEP_1)
	v_mad_co_u64_u32 v[11:12], null, v2, s25, v[11:12]
	v_lshlrev_b64_e32 v[10:11], 2, v[10:11]
	s_delay_alu instid0(VALU_DEP_1) | instskip(SKIP_1) | instid1(VALU_DEP_2)
	v_add_co_u32 v6, vcc_lo, v6, v10
	s_wait_alu 0xfffd
	v_add_co_ci_u32_e64 v7, null, v7, v11, vcc_lo
	flat_load_b32 v6, v[6:7]
	s_wait_loadcnt_dscnt 0x0
	v_div_scale_f32 v7, null, v6, v6, 1.0
	s_delay_alu instid0(VALU_DEP_1) | instskip(NEXT) | instid1(TRANS32_DEP_1)
	v_rcp_f32_e32 v10, v7
	v_fma_f32 v11, -v7, v10, 1.0
	s_delay_alu instid0(VALU_DEP_1) | instskip(SKIP_1) | instid1(VALU_DEP_1)
	v_fmac_f32_e32 v10, v11, v10
	v_div_scale_f32 v11, vcc_lo, 1.0, v6, 1.0
	v_mul_f32_e32 v12, v11, v10
	s_delay_alu instid0(VALU_DEP_1) | instskip(NEXT) | instid1(VALU_DEP_1)
	v_fma_f32 v13, -v7, v12, v11
	v_fmac_f32_e32 v12, v13, v10
	s_delay_alu instid0(VALU_DEP_1) | instskip(SKIP_1) | instid1(VALU_DEP_1)
	v_fma_f32 v7, -v7, v12, v11
	s_wait_alu 0xfffd
	v_div_fmas_f32 v7, v7, v10, v12
	s_delay_alu instid0(VALU_DEP_1) | instskip(NEXT) | instid1(VALU_DEP_1)
	v_div_fixup_f32 v7, v7, v6, 1.0
	v_cndmask_b32_e64 v6, v7, v6, s2
	s_delay_alu instid0(VALU_DEP_1)
	v_mul_f32_e32 v16, v16, v6
	s_branch .LBB46_2
.LBB46_27:
	s_endpgm
	.section	.rodata,"a",@progbits
	.p2align	6, 0x0
	.amdhsa_kernel _ZL39rocblas_trsm_block_forward_substitutionIffPKPKfPKPfLb0ELb0ELb0EEv18rocblas_operation_llT0_T1_lllT2_lllib
		.amdhsa_group_segment_fixed_size 0
		.amdhsa_private_segment_fixed_size 0
		.amdhsa_kernarg_size 360
		.amdhsa_user_sgpr_count 2
		.amdhsa_user_sgpr_dispatch_ptr 0
		.amdhsa_user_sgpr_queue_ptr 0
		.amdhsa_user_sgpr_kernarg_segment_ptr 1
		.amdhsa_user_sgpr_dispatch_id 0
		.amdhsa_user_sgpr_private_segment_size 0
		.amdhsa_wavefront_size32 1
		.amdhsa_uses_dynamic_stack 0
		.amdhsa_enable_private_segment 0
		.amdhsa_system_sgpr_workgroup_id_x 1
		.amdhsa_system_sgpr_workgroup_id_y 1
		.amdhsa_system_sgpr_workgroup_id_z 1
		.amdhsa_system_sgpr_workgroup_info 0
		.amdhsa_system_vgpr_workitem_id 1
		.amdhsa_next_free_vgpr 23
		.amdhsa_next_free_sgpr 36
		.amdhsa_reserve_vcc 1
		.amdhsa_float_round_mode_32 0
		.amdhsa_float_round_mode_16_64 0
		.amdhsa_float_denorm_mode_32 3
		.amdhsa_float_denorm_mode_16_64 3
		.amdhsa_fp16_overflow 0
		.amdhsa_workgroup_processor_mode 1
		.amdhsa_memory_ordered 1
		.amdhsa_forward_progress 1
		.amdhsa_inst_pref_size 14
		.amdhsa_round_robin_scheduling 0
		.amdhsa_exception_fp_ieee_invalid_op 0
		.amdhsa_exception_fp_denorm_src 0
		.amdhsa_exception_fp_ieee_div_zero 0
		.amdhsa_exception_fp_ieee_overflow 0
		.amdhsa_exception_fp_ieee_underflow 0
		.amdhsa_exception_fp_ieee_inexact 0
		.amdhsa_exception_int_div_zero 0
	.end_amdhsa_kernel
	.section	.text._ZL39rocblas_trsm_block_forward_substitutionIffPKPKfPKPfLb0ELb0ELb0EEv18rocblas_operation_llT0_T1_lllT2_lllib,"axG",@progbits,_ZL39rocblas_trsm_block_forward_substitutionIffPKPKfPKPfLb0ELb0ELb0EEv18rocblas_operation_llT0_T1_lllT2_lllib,comdat
.Lfunc_end46:
	.size	_ZL39rocblas_trsm_block_forward_substitutionIffPKPKfPKPfLb0ELb0ELb0EEv18rocblas_operation_llT0_T1_lllT2_lllib, .Lfunc_end46-_ZL39rocblas_trsm_block_forward_substitutionIffPKPKfPKPfLb0ELb0ELb0EEv18rocblas_operation_llT0_T1_lllT2_lllib
                                        ; -- End function
	.set _ZL39rocblas_trsm_block_forward_substitutionIffPKPKfPKPfLb0ELb0ELb0EEv18rocblas_operation_llT0_T1_lllT2_lllib.num_vgpr, 23
	.set _ZL39rocblas_trsm_block_forward_substitutionIffPKPKfPKPfLb0ELb0ELb0EEv18rocblas_operation_llT0_T1_lllT2_lllib.num_agpr, 0
	.set _ZL39rocblas_trsm_block_forward_substitutionIffPKPKfPKPfLb0ELb0ELb0EEv18rocblas_operation_llT0_T1_lllT2_lllib.numbered_sgpr, 36
	.set _ZL39rocblas_trsm_block_forward_substitutionIffPKPKfPKPfLb0ELb0ELb0EEv18rocblas_operation_llT0_T1_lllT2_lllib.num_named_barrier, 0
	.set _ZL39rocblas_trsm_block_forward_substitutionIffPKPKfPKPfLb0ELb0ELb0EEv18rocblas_operation_llT0_T1_lllT2_lllib.private_seg_size, 0
	.set _ZL39rocblas_trsm_block_forward_substitutionIffPKPKfPKPfLb0ELb0ELb0EEv18rocblas_operation_llT0_T1_lllT2_lllib.uses_vcc, 1
	.set _ZL39rocblas_trsm_block_forward_substitutionIffPKPKfPKPfLb0ELb0ELb0EEv18rocblas_operation_llT0_T1_lllT2_lllib.uses_flat_scratch, 0
	.set _ZL39rocblas_trsm_block_forward_substitutionIffPKPKfPKPfLb0ELb0ELb0EEv18rocblas_operation_llT0_T1_lllT2_lllib.has_dyn_sized_stack, 0
	.set _ZL39rocblas_trsm_block_forward_substitutionIffPKPKfPKPfLb0ELb0ELb0EEv18rocblas_operation_llT0_T1_lllT2_lllib.has_recursion, 0
	.set _ZL39rocblas_trsm_block_forward_substitutionIffPKPKfPKPfLb0ELb0ELb0EEv18rocblas_operation_llT0_T1_lllT2_lllib.has_indirect_call, 0
	.section	.AMDGPU.csdata,"",@progbits
; Kernel info:
; codeLenInByte = 1720
; TotalNumSgprs: 38
; NumVgprs: 23
; ScratchSize: 0
; MemoryBound: 0
; FloatMode: 240
; IeeeMode: 1
; LDSByteSize: 0 bytes/workgroup (compile time only)
; SGPRBlocks: 0
; VGPRBlocks: 2
; NumSGPRsForWavesPerEU: 38
; NumVGPRsForWavesPerEU: 23
; Occupancy: 16
; WaveLimiterHint : 1
; COMPUTE_PGM_RSRC2:SCRATCH_EN: 0
; COMPUTE_PGM_RSRC2:USER_SGPR: 2
; COMPUTE_PGM_RSRC2:TRAP_HANDLER: 0
; COMPUTE_PGM_RSRC2:TGID_X_EN: 1
; COMPUTE_PGM_RSRC2:TGID_Y_EN: 1
; COMPUTE_PGM_RSRC2:TGID_Z_EN: 1
; COMPUTE_PGM_RSRC2:TIDIG_COMP_CNT: 1
	.section	.text._ZL40rocblas_trsm_block_backward_substitutionIffPKPKfPKPfLb0ELb0ELb0EEv18rocblas_operation_llT0_T1_lllT2_lllib,"axG",@progbits,_ZL40rocblas_trsm_block_backward_substitutionIffPKPKfPKPfLb0ELb0ELb0EEv18rocblas_operation_llT0_T1_lllT2_lllib,comdat
	.globl	_ZL40rocblas_trsm_block_backward_substitutionIffPKPKfPKPfLb0ELb0ELb0EEv18rocblas_operation_llT0_T1_lllT2_lllib ; -- Begin function _ZL40rocblas_trsm_block_backward_substitutionIffPKPKfPKPfLb0ELb0ELb0EEv18rocblas_operation_llT0_T1_lllT2_lllib
	.p2align	8
	.type	_ZL40rocblas_trsm_block_backward_substitutionIffPKPKfPKPfLb0ELb0ELb0EEv18rocblas_operation_llT0_T1_lllT2_lllib,@function
_ZL40rocblas_trsm_block_backward_substitutionIffPKPKfPKPfLb0ELb0ELb0EEv18rocblas_operation_llT0_T1_lllT2_lllib: ; @_ZL40rocblas_trsm_block_backward_substitutionIffPKPKfPKPfLb0ELb0ELb0EEv18rocblas_operation_llT0_T1_lllT2_lllib
; %bb.0:
	s_load_b64 s[16:17], s[0:1], 0x60
	s_lshr_b32 s18, ttmp7, 16
	s_wait_kmcnt 0x0
	s_cmp_ge_u32 s18, s16
	s_cbranch_scc1 .LBB47_29
; %bb.1:
	s_clause 0x6
	s_load_b64 s[20:21], s[0:1], 0x30
	s_load_b64 s[2:3], s[0:1], 0x50
	s_load_b128 s[4:7], s[0:1], 0x20
	s_load_b128 s[8:11], s[0:1], 0x40
	s_load_u16 s33, s[0:1], 0x76
	s_load_b128 s[12:15], s[0:1], 0x8
	s_load_b32 s38, s[0:1], 0x18
	v_dual_mov_b32 v2, 0 :: v_dual_and_b32 v1, 0x3ff, v0
	v_bfe_u32 v0, v0, 10, 10
	s_bitcmp1_b32 s17, 0
	s_add_nc_u64 s[22:23], s[0:1], 0x68
	s_cselect_b32 s0, -1, 0
	s_and_b32 s17, ttmp7, 0xffff
	s_mov_b64 s[24:25], src_shared_base
	v_lshlrev_b32_e32 v17, 2, v1
	v_lshl_add_u32 v18, v0, 2, 0
	v_cmp_eq_u32_e64 s1, 0, v1
	v_lshlrev_b32_e32 v20, 2, v1
	s_mov_b32 s19, 0
	s_wait_kmcnt 0x0
	v_mad_co_u64_u32 v[3:4], null, s20, v1, 0
	v_mad_co_u64_u32 v[5:6], null, s2, v1, 0
	v_mad_co_u64_u32 v[7:8], null, s17, s33, v[0:1]
	s_lshl_b32 s24, s33, 2
	v_mov_b32_e32 v8, v2
	s_add_co_i32 s24, s24, 0
	v_cmp_le_i64_e64 s17, s[12:13], v[1:2]
	v_mad_co_u64_u32 v[9:10], null, s21, v1, v[4:5]
	v_mad_co_u64_u32 v[10:11], null, s3, v1, v[6:7]
	v_add_nc_u32_e32 v19, s24, v17
	v_cmp_gt_i64_e64 s2, s[12:13], v[1:2]
	v_cmp_gt_i64_e32 vcc_lo, s[14:15], v[7:8]
	v_cmp_gt_i64_e64 s40, s[12:13], 0
	v_mov_b32_e32 v4, v9
	v_lshlrev_b64_e32 v[7:8], 2, v[7:8]
	v_mov_b32_e32 v6, v10
	v_cmp_gt_i64_e64 s41, s[12:13], 1
	s_add_nc_u64 s[14:15], s[12:13], -1
	v_lshlrev_b64_e32 v[3:4], 2, v[3:4]
	s_and_b32 s39, vcc_lo, s2
	v_lshlrev_b64_e32 v[5:6], 2, v[5:6]
	s_wait_alu 0xfffe
	s_lshl_b64 s[26:27], s[14:15], 2
	s_lshl_b64 s[6:7], s[6:7], 2
	s_xor_b32 s42, s17, -1
	s_lshl_b64 s[10:11], s[10:11], 2
	s_branch .LBB47_4
.LBB47_2:                               ;   in Loop: Header=BB47_4 Depth=1
	s_wait_alu 0xfffe
	s_or_b32 exec_lo, exec_lo, s34
	flat_store_b32 v[9:10], v21
.LBB47_3:                               ;   in Loop: Header=BB47_4 Depth=1
	s_wait_alu 0xfffe
	s_or_b32 exec_lo, exec_lo, s3
	s_add_co_i32 s18, s18, 0x10000
	s_delay_alu instid0(SALU_CYCLE_1)
	s_cmp_lt_u32 s18, s16
	s_cbranch_scc0 .LBB47_29
.LBB47_4:                               ; =>This Loop Header: Depth=1
                                        ;     Child Loop BB47_9 Depth 2
                                        ;     Child Loop BB47_23 Depth 2
	s_lshl_b64 s[28:29], s[18:19], 3
	s_wait_alu 0xfffe
	s_add_nc_u64 s[30:31], s[4:5], s[28:29]
	s_add_nc_u64 s[28:29], s[8:9], s[28:29]
	global_load_b64 v[11:12], v2, s[30:31]
	s_wait_loadcnt 0x1
	global_load_b64 v[9:10], v2, s[28:29]
	s_mov_b64 s[28:29], 1
	s_mov_b64 s[30:31], s[20:21]
	s_wait_loadcnt 0x1
	v_add_co_u32 v11, vcc_lo, v11, s6
	s_wait_alu 0xfffd
	v_add_co_ci_u32_e64 v12, null, s7, v12, vcc_lo
	s_and_not1_b32 vcc_lo, exec_lo, s0
	s_wait_alu 0xfffe
	s_cbranch_vccz .LBB47_6
; %bb.5:                                ;   in Loop: Header=BB47_4 Depth=1
	s_and_saveexec_b32 s3, s39
	s_cbranch_execz .LBB47_3
	s_branch .LBB47_20
.LBB47_6:                               ;   in Loop: Header=BB47_4 Depth=1
	s_and_not1_b32 vcc_lo, exec_lo, s40
	s_wait_alu 0xfffe
	s_cbranch_vccnz .LBB47_19
; %bb.7:                                ;   in Loop: Header=BB47_4 Depth=1
	v_add_co_u32 v15, vcc_lo, v11, v3
	s_wait_alu 0xfffd
	v_add_co_ci_u32_e64 v16, null, v12, v4, vcc_lo
	v_mov_b32_e32 v13, v0
	s_delay_alu instid0(VALU_DEP_3) | instskip(SKIP_1) | instid1(VALU_DEP_3)
	v_add_co_u32 v11, vcc_lo, v15, v20
	s_wait_alu 0xfffd
	v_add_co_ci_u32_e64 v12, null, 0, v16, vcc_lo
	s_mov_b32 s28, s33
	s_branch .LBB47_9
.LBB47_8:                               ;   in Loop: Header=BB47_9 Depth=2
	s_wait_alu 0xfffe
	s_or_b32 exec_lo, exec_lo, s29
	s_ashr_i32 s29, s28, 31
	v_add_nc_u32_e32 v13, s33, v13
	s_wait_alu 0xfffe
	v_cmp_le_i64_e64 s3, s[12:13], s[28:29]
	s_add_co_i32 s28, s28, s33
	s_and_b32 vcc_lo, exec_lo, s3
	s_wait_alu 0xfffe
	s_cbranch_vccnz .LBB47_19
.LBB47_9:                               ;   Parent Loop BB47_4 Depth=1
                                        ; =>  This Inner Loop Header: Depth=2
	s_mov_b32 s3, 0
	s_mov_b32 s30, s17
                                        ; implicit-def: $vgpr21
	s_and_saveexec_b32 s29, s2
	s_cbranch_execnz .LBB47_12
; %bb.10:                               ;   in Loop: Header=BB47_9 Depth=2
	s_wait_alu 0xfffe
	s_or_b32 exec_lo, exec_lo, s29
	v_mov_b32_e32 v14, v13
	s_and_saveexec_b32 s29, s30
	s_cbranch_execnz .LBB47_15
.LBB47_11:                              ;   in Loop: Header=BB47_9 Depth=2
	s_wait_alu 0xfffe
	s_or_b32 exec_lo, exec_lo, s29
	s_and_saveexec_b32 s29, s3
	s_cbranch_execz .LBB47_8
	s_branch .LBB47_18
.LBB47_12:                              ;   in Loop: Header=BB47_9 Depth=2
	v_ashrrev_i32_e32 v14, 31, v13
	v_cmp_lt_i32_e64 s3, v1, v13
	s_mov_b32 s30, -1
                                        ; implicit-def: $vgpr21
	v_cmp_gt_i64_e32 vcc_lo, s[12:13], v[13:14]
	s_wait_alu 0xfffe
	s_and_b32 s34, s3, vcc_lo
	s_mov_b32 s3, 0
	s_wait_alu 0xfffe
	s_and_saveexec_b32 s31, s34
	s_cbranch_execz .LBB47_14
; %bb.13:                               ;   in Loop: Header=BB47_9 Depth=2
	s_wait_loadcnt_dscnt 0x0
	v_lshlrev_b64_e32 v[21:22], 2, v[13:14]
	s_mov_b32 s3, exec_lo
	s_xor_b32 s30, exec_lo, -1
	s_delay_alu instid0(VALU_DEP_1) | instskip(SKIP_1) | instid1(VALU_DEP_2)
	v_add_co_u32 v21, vcc_lo, v15, v21
	s_wait_alu 0xfffd
	v_add_co_ci_u32_e64 v22, null, v16, v22, vcc_lo
	flat_load_b32 v21, v[21:22]
.LBB47_14:                              ;   in Loop: Header=BB47_9 Depth=2
	s_wait_alu 0xfffe
	s_or_b32 exec_lo, exec_lo, s31
	s_delay_alu instid0(SALU_CYCLE_1)
	s_and_not1_b32 s31, s17, exec_lo
	s_and_b32 s30, s30, exec_lo
	s_and_b32 s3, s3, exec_lo
	s_wait_alu 0xfffe
	s_or_b32 s30, s31, s30
	s_or_b32 exec_lo, exec_lo, s29
	v_mov_b32_e32 v14, v13
	s_wait_alu 0xfffe
	s_and_saveexec_b32 s29, s30
	s_cbranch_execz .LBB47_11
.LBB47_15:                              ;   in Loop: Header=BB47_9 Depth=2
	v_cmp_eq_u32_e32 vcc_lo, v1, v13
	s_wait_alu 0xfffe
	s_mov_b32 s31, s3
                                        ; implicit-def: $vgpr21
	s_and_b32 s34, s42, vcc_lo
	s_wait_alu 0xfffe
	s_and_saveexec_b32 s30, s34
	s_cbranch_execz .LBB47_17
; %bb.16:                               ;   in Loop: Header=BB47_9 Depth=2
	flat_load_b32 v14, v[11:12]
	s_or_b32 s31, s3, exec_lo
	s_wait_loadcnt_dscnt 0x0
	v_div_scale_f32 v21, null, v14, v14, 1.0
	s_delay_alu instid0(VALU_DEP_1) | instskip(NEXT) | instid1(TRANS32_DEP_1)
	v_rcp_f32_e32 v22, v21
	v_fma_f32 v23, -v21, v22, 1.0
	s_delay_alu instid0(VALU_DEP_1) | instskip(SKIP_1) | instid1(VALU_DEP_1)
	v_fmac_f32_e32 v22, v23, v22
	v_div_scale_f32 v23, vcc_lo, 1.0, v14, 1.0
	v_mul_f32_e32 v24, v23, v22
	s_delay_alu instid0(VALU_DEP_1) | instskip(NEXT) | instid1(VALU_DEP_1)
	v_fma_f32 v25, -v21, v24, v23
	v_fmac_f32_e32 v24, v25, v22
	s_delay_alu instid0(VALU_DEP_1) | instskip(SKIP_1) | instid1(VALU_DEP_1)
	v_fma_f32 v21, -v21, v24, v23
	s_wait_alu 0xfffd
	v_div_fmas_f32 v21, v21, v22, v24
	s_delay_alu instid0(VALU_DEP_1)
	v_div_fixup_f32 v21, v21, v14, 1.0
.LBB47_17:                              ;   in Loop: Header=BB47_9 Depth=2
	s_wait_alu 0xfffe
	s_or_b32 exec_lo, exec_lo, s30
	v_mov_b32_e32 v14, v1
	s_and_not1_b32 s3, s3, exec_lo
	s_and_b32 s30, s31, exec_lo
	s_wait_alu 0xfffe
	s_or_b32 s3, s3, s30
	s_or_b32 exec_lo, exec_lo, s29
	s_wait_alu 0xfffe
	s_and_saveexec_b32 s29, s3
	s_cbranch_execz .LBB47_8
.LBB47_18:                              ;   in Loop: Header=BB47_9 Depth=2
	s_load_b32 s3, s[22:23], 0xc
	s_wait_kmcnt 0x0
	s_and_b32 s3, s3, 0xffff
	s_wait_alu 0xfffe
	v_mul_lo_u32 v14, v14, s3
	s_delay_alu instid0(VALU_DEP_1)
	v_lshl_add_u32 v14, v14, 2, v19
	s_wait_loadcnt_dscnt 0x0
	ds_store_b32 v14, v21
	s_branch .LBB47_8
.LBB47_19:                              ;   in Loop: Header=BB47_4 Depth=1
	s_load_b32 s3, s[22:23], 0xc
	v_dual_mov_b32 v11, s24 :: v_dual_mov_b32 v12, s25
	s_mov_b32 s29, s19
	s_mov_b64 s[30:31], 1
	s_wait_kmcnt 0x0
	s_and_b32 s28, s3, 0xffff
	s_and_saveexec_b32 s3, s39
	s_cbranch_execz .LBB47_3
.LBB47_20:                              ;   in Loop: Header=BB47_4 Depth=1
	s_wait_loadcnt 0x0
	v_add_co_u32 v9, vcc_lo, v9, s10
	s_wait_alu 0xfffd
	v_add_co_ci_u32_e64 v10, null, s11, v10, vcc_lo
	s_delay_alu instid0(VALU_DEP_2) | instskip(SKIP_1) | instid1(VALU_DEP_2)
	v_add_co_u32 v9, vcc_lo, v9, v5
	s_wait_alu 0xfffd
	v_add_co_ci_u32_e64 v10, null, v10, v6, vcc_lo
	s_delay_alu instid0(VALU_DEP_2) | instskip(SKIP_1) | instid1(VALU_DEP_2)
	v_add_co_u32 v9, vcc_lo, v9, v7
	s_wait_alu 0xfffd
	v_add_co_ci_u32_e64 v10, null, v10, v8, vcc_lo
	s_and_not1_b32 vcc_lo, exec_lo, s41
	flat_load_b32 v13, v[9:10]
	s_wait_loadcnt_dscnt 0x0
	v_mul_f32_e32 v21, s38, v13
	s_wait_alu 0xfffe
	s_cbranch_vccnz .LBB47_27
; %bb.21:                               ;   in Loop: Header=BB47_4 Depth=1
	s_add_nc_u64 s[34:35], s[28:29], s[30:31]
	s_mul_u64 s[36:37], s[26:27], s[28:29]
	s_wait_alu 0xfffe
	v_mad_co_u64_u32 v[15:16], null, s34, v1, 0
	v_add_co_u32 v13, vcc_lo, v11, s36
	s_wait_alu 0xfffd
	v_add_co_ci_u32_e64 v14, null, s37, v12, vcc_lo
	s_lshl_b32 s34, s28, 2
	s_mov_b64 s[36:37], s[14:15]
	v_mad_co_u64_u32 v[22:23], null, s35, v1, v[16:17]
	v_mad_co_u64_u32 v[13:14], null, v17, s30, v[13:14]
	s_mov_b32 s35, s19
	s_wait_alu 0xfffe
	s_sub_nc_u64 s[34:35], 0, s[34:35]
	v_mov_b32_e32 v16, v22
	v_mad_co_u64_u32 v[22:23], null, v17, s31, v[14:15]
	s_delay_alu instid0(VALU_DEP_2) | instskip(NEXT) | instid1(VALU_DEP_2)
	v_lshlrev_b64_e32 v[15:16], 2, v[15:16]
	v_mov_b32_e32 v14, v22
	s_delay_alu instid0(VALU_DEP_2) | instskip(SKIP_1) | instid1(VALU_DEP_3)
	v_add_co_u32 v15, vcc_lo, v11, v15
	s_wait_alu 0xfffd
	v_add_co_ci_u32_e64 v16, null, v12, v16, vcc_lo
	s_branch .LBB47_23
.LBB47_22:                              ;   in Loop: Header=BB47_23 Depth=2
	s_or_b32 exec_lo, exec_lo, s43
	s_add_nc_u64 s[44:45], s[36:37], 1
	s_wait_alu 0xfffe
	v_add_co_u32 v13, vcc_lo, v13, s34
	v_cmp_lt_u64_e64 s43, s[44:45], 3
	s_wait_alu 0xfffd
	v_add_co_ci_u32_e64 v14, null, s35, v14, vcc_lo
	s_add_nc_u64 s[36:37], s[36:37], -1
	s_and_b32 vcc_lo, exec_lo, s43
	s_wait_alu 0xfffe
	s_cbranch_vccnz .LBB47_27
.LBB47_23:                              ;   Parent Loop BB47_4 Depth=1
                                        ; =>  This Inner Loop Header: Depth=2
	s_mov_b32 s43, exec_lo
	s_barrier_signal -1
	s_barrier_wait -1
	global_inv scope:SCOPE_SE
	v_cmpx_eq_u64_e64 s[36:37], v[1:2]
	s_cbranch_execz .LBB47_25
; %bb.24:                               ;   in Loop: Header=BB47_23 Depth=2
	flat_load_b32 v22, v[15:16]
	s_wait_loadcnt_dscnt 0x0
	v_div_scale_f32 v23, null, v22, v22, 1.0
	s_delay_alu instid0(VALU_DEP_1) | instskip(NEXT) | instid1(TRANS32_DEP_1)
	v_rcp_f32_e32 v24, v23
	v_fma_f32 v25, -v23, v24, 1.0
	s_delay_alu instid0(VALU_DEP_1) | instskip(SKIP_1) | instid1(VALU_DEP_1)
	v_fmac_f32_e32 v24, v25, v24
	v_div_scale_f32 v25, vcc_lo, 1.0, v22, 1.0
	v_mul_f32_e32 v26, v25, v24
	s_delay_alu instid0(VALU_DEP_1) | instskip(NEXT) | instid1(VALU_DEP_1)
	v_fma_f32 v27, -v23, v26, v25
	v_fmac_f32_e32 v26, v27, v24
	s_delay_alu instid0(VALU_DEP_1) | instskip(SKIP_1) | instid1(VALU_DEP_1)
	v_fma_f32 v23, -v23, v26, v25
	s_wait_alu 0xfffd
	v_div_fmas_f32 v23, v23, v24, v26
	s_delay_alu instid0(VALU_DEP_1) | instskip(NEXT) | instid1(VALU_DEP_1)
	v_div_fixup_f32 v23, v23, v22, 1.0
	v_cndmask_b32_e64 v22, v23, v22, s0
	s_delay_alu instid0(VALU_DEP_1)
	v_mul_f32_e32 v21, v21, v22
	ds_store_b32 v18, v21
.LBB47_25:                              ;   in Loop: Header=BB47_23 Depth=2
	s_or_b32 exec_lo, exec_lo, s43
	s_delay_alu instid0(SALU_CYCLE_1)
	s_mov_b32 s43, exec_lo
	s_wait_loadcnt_dscnt 0x0
	s_barrier_signal -1
	s_barrier_wait -1
	global_inv scope:SCOPE_SE
	v_cmpx_gt_i64_e64 s[36:37], v[1:2]
	s_cbranch_execz .LBB47_22
; %bb.26:                               ;   in Loop: Header=BB47_23 Depth=2
	flat_load_b32 v22, v[13:14]
	ds_load_b32 v23, v18
	s_wait_loadcnt_dscnt 0x0
	v_fma_f32 v21, -v22, v23, v21
	s_branch .LBB47_22
.LBB47_27:                              ;   in Loop: Header=BB47_4 Depth=1
	s_and_saveexec_b32 s34, s1
	s_cbranch_execz .LBB47_2
; %bb.28:                               ;   in Loop: Header=BB47_4 Depth=1
	s_add_nc_u64 s[28:29], s[28:29], s[30:31]
	s_wait_alu 0xfffe
	v_mad_co_u64_u32 v[13:14], null, s28, v1, 0
	s_delay_alu instid0(VALU_DEP_1) | instskip(NEXT) | instid1(VALU_DEP_1)
	v_mad_co_u64_u32 v[14:15], null, s29, v1, v[14:15]
	v_lshlrev_b64_e32 v[13:14], 2, v[13:14]
	s_delay_alu instid0(VALU_DEP_1) | instskip(SKIP_1) | instid1(VALU_DEP_2)
	v_add_co_u32 v11, vcc_lo, v11, v13
	s_wait_alu 0xfffd
	v_add_co_ci_u32_e64 v12, null, v12, v14, vcc_lo
	flat_load_b32 v11, v[11:12]
	s_wait_loadcnt_dscnt 0x0
	v_div_scale_f32 v12, null, v11, v11, 1.0
	s_delay_alu instid0(VALU_DEP_1) | instskip(NEXT) | instid1(TRANS32_DEP_1)
	v_rcp_f32_e32 v13, v12
	v_fma_f32 v14, -v12, v13, 1.0
	s_delay_alu instid0(VALU_DEP_1) | instskip(SKIP_1) | instid1(VALU_DEP_1)
	v_fmac_f32_e32 v13, v14, v13
	v_div_scale_f32 v14, vcc_lo, 1.0, v11, 1.0
	v_mul_f32_e32 v15, v14, v13
	s_delay_alu instid0(VALU_DEP_1) | instskip(NEXT) | instid1(VALU_DEP_1)
	v_fma_f32 v16, -v12, v15, v14
	v_fmac_f32_e32 v15, v16, v13
	s_delay_alu instid0(VALU_DEP_1) | instskip(SKIP_1) | instid1(VALU_DEP_1)
	v_fma_f32 v12, -v12, v15, v14
	s_wait_alu 0xfffd
	v_div_fmas_f32 v12, v12, v13, v15
	s_delay_alu instid0(VALU_DEP_1) | instskip(NEXT) | instid1(VALU_DEP_1)
	v_div_fixup_f32 v12, v12, v11, 1.0
	v_cndmask_b32_e64 v11, v12, v11, s0
	s_delay_alu instid0(VALU_DEP_1)
	v_mul_f32_e32 v21, v21, v11
	s_branch .LBB47_2
.LBB47_29:
	s_endpgm
	.section	.rodata,"a",@progbits
	.p2align	6, 0x0
	.amdhsa_kernel _ZL40rocblas_trsm_block_backward_substitutionIffPKPKfPKPfLb0ELb0ELb0EEv18rocblas_operation_llT0_T1_lllT2_lllib
		.amdhsa_group_segment_fixed_size 0
		.amdhsa_private_segment_fixed_size 0
		.amdhsa_kernarg_size 360
		.amdhsa_user_sgpr_count 2
		.amdhsa_user_sgpr_dispatch_ptr 0
		.amdhsa_user_sgpr_queue_ptr 0
		.amdhsa_user_sgpr_kernarg_segment_ptr 1
		.amdhsa_user_sgpr_dispatch_id 0
		.amdhsa_user_sgpr_private_segment_size 0
		.amdhsa_wavefront_size32 1
		.amdhsa_uses_dynamic_stack 0
		.amdhsa_enable_private_segment 0
		.amdhsa_system_sgpr_workgroup_id_x 1
		.amdhsa_system_sgpr_workgroup_id_y 1
		.amdhsa_system_sgpr_workgroup_id_z 1
		.amdhsa_system_sgpr_workgroup_info 0
		.amdhsa_system_vgpr_workitem_id 1
		.amdhsa_next_free_vgpr 28
		.amdhsa_next_free_sgpr 46
		.amdhsa_reserve_vcc 1
		.amdhsa_float_round_mode_32 0
		.amdhsa_float_round_mode_16_64 0
		.amdhsa_float_denorm_mode_32 3
		.amdhsa_float_denorm_mode_16_64 3
		.amdhsa_fp16_overflow 0
		.amdhsa_workgroup_processor_mode 1
		.amdhsa_memory_ordered 1
		.amdhsa_forward_progress 1
		.amdhsa_inst_pref_size 15
		.amdhsa_round_robin_scheduling 0
		.amdhsa_exception_fp_ieee_invalid_op 0
		.amdhsa_exception_fp_denorm_src 0
		.amdhsa_exception_fp_ieee_div_zero 0
		.amdhsa_exception_fp_ieee_overflow 0
		.amdhsa_exception_fp_ieee_underflow 0
		.amdhsa_exception_fp_ieee_inexact 0
		.amdhsa_exception_int_div_zero 0
	.end_amdhsa_kernel
	.section	.text._ZL40rocblas_trsm_block_backward_substitutionIffPKPKfPKPfLb0ELb0ELb0EEv18rocblas_operation_llT0_T1_lllT2_lllib,"axG",@progbits,_ZL40rocblas_trsm_block_backward_substitutionIffPKPKfPKPfLb0ELb0ELb0EEv18rocblas_operation_llT0_T1_lllT2_lllib,comdat
.Lfunc_end47:
	.size	_ZL40rocblas_trsm_block_backward_substitutionIffPKPKfPKPfLb0ELb0ELb0EEv18rocblas_operation_llT0_T1_lllT2_lllib, .Lfunc_end47-_ZL40rocblas_trsm_block_backward_substitutionIffPKPKfPKPfLb0ELb0ELb0EEv18rocblas_operation_llT0_T1_lllT2_lllib
                                        ; -- End function
	.set _ZL40rocblas_trsm_block_backward_substitutionIffPKPKfPKPfLb0ELb0ELb0EEv18rocblas_operation_llT0_T1_lllT2_lllib.num_vgpr, 28
	.set _ZL40rocblas_trsm_block_backward_substitutionIffPKPKfPKPfLb0ELb0ELb0EEv18rocblas_operation_llT0_T1_lllT2_lllib.num_agpr, 0
	.set _ZL40rocblas_trsm_block_backward_substitutionIffPKPKfPKPfLb0ELb0ELb0EEv18rocblas_operation_llT0_T1_lllT2_lllib.numbered_sgpr, 46
	.set _ZL40rocblas_trsm_block_backward_substitutionIffPKPKfPKPfLb0ELb0ELb0EEv18rocblas_operation_llT0_T1_lllT2_lllib.num_named_barrier, 0
	.set _ZL40rocblas_trsm_block_backward_substitutionIffPKPKfPKPfLb0ELb0ELb0EEv18rocblas_operation_llT0_T1_lllT2_lllib.private_seg_size, 0
	.set _ZL40rocblas_trsm_block_backward_substitutionIffPKPKfPKPfLb0ELb0ELb0EEv18rocblas_operation_llT0_T1_lllT2_lllib.uses_vcc, 1
	.set _ZL40rocblas_trsm_block_backward_substitutionIffPKPKfPKPfLb0ELb0ELb0EEv18rocblas_operation_llT0_T1_lllT2_lllib.uses_flat_scratch, 0
	.set _ZL40rocblas_trsm_block_backward_substitutionIffPKPKfPKPfLb0ELb0ELb0EEv18rocblas_operation_llT0_T1_lllT2_lllib.has_dyn_sized_stack, 0
	.set _ZL40rocblas_trsm_block_backward_substitutionIffPKPKfPKPfLb0ELb0ELb0EEv18rocblas_operation_llT0_T1_lllT2_lllib.has_recursion, 0
	.set _ZL40rocblas_trsm_block_backward_substitutionIffPKPKfPKPfLb0ELb0ELb0EEv18rocblas_operation_llT0_T1_lllT2_lllib.has_indirect_call, 0
	.section	.AMDGPU.csdata,"",@progbits
; Kernel info:
; codeLenInByte = 1808
; TotalNumSgprs: 48
; NumVgprs: 28
; ScratchSize: 0
; MemoryBound: 0
; FloatMode: 240
; IeeeMode: 1
; LDSByteSize: 0 bytes/workgroup (compile time only)
; SGPRBlocks: 0
; VGPRBlocks: 3
; NumSGPRsForWavesPerEU: 48
; NumVGPRsForWavesPerEU: 28
; Occupancy: 16
; WaveLimiterHint : 1
; COMPUTE_PGM_RSRC2:SCRATCH_EN: 0
; COMPUTE_PGM_RSRC2:USER_SGPR: 2
; COMPUTE_PGM_RSRC2:TRAP_HANDLER: 0
; COMPUTE_PGM_RSRC2:TGID_X_EN: 1
; COMPUTE_PGM_RSRC2:TGID_Y_EN: 1
; COMPUTE_PGM_RSRC2:TGID_Z_EN: 1
; COMPUTE_PGM_RSRC2:TIDIG_COMP_CNT: 1
	.section	.text._ZL39rocblas_trsm_block_forward_substitutionIffPKPKfPKPfLb0ELb0ELb1EEv18rocblas_operation_llT0_T1_lllT2_lllib,"axG",@progbits,_ZL39rocblas_trsm_block_forward_substitutionIffPKPKfPKPfLb0ELb0ELb1EEv18rocblas_operation_llT0_T1_lllT2_lllib,comdat
	.globl	_ZL39rocblas_trsm_block_forward_substitutionIffPKPKfPKPfLb0ELb0ELb1EEv18rocblas_operation_llT0_T1_lllT2_lllib ; -- Begin function _ZL39rocblas_trsm_block_forward_substitutionIffPKPKfPKPfLb0ELb0ELb1EEv18rocblas_operation_llT0_T1_lllT2_lllib
	.p2align	8
	.type	_ZL39rocblas_trsm_block_forward_substitutionIffPKPKfPKPfLb0ELb0ELb1EEv18rocblas_operation_llT0_T1_lllT2_lllib,@function
_ZL39rocblas_trsm_block_forward_substitutionIffPKPKfPKPfLb0ELb0ELb1EEv18rocblas_operation_llT0_T1_lllT2_lllib: ; @_ZL39rocblas_trsm_block_forward_substitutionIffPKPKfPKPfLb0ELb0ELb1EEv18rocblas_operation_llT0_T1_lllT2_lllib
; %bb.0:
	s_load_b64 s[2:3], s[0:1], 0x60
	s_lshr_b32 s16, ttmp7, 16
	s_wait_kmcnt 0x0
	s_cmp_ge_u32 s16, s2
	s_cbranch_scc1 .LBB48_19
; %bb.1:
	s_clause 0x1
	s_load_u16 s28, s[0:1], 0x76
	s_load_b64 s[24:25], s[0:1], 0x50
	v_bfe_u32 v1, v0, 10, 10
	s_bitcmp1_b32 s3, 0
	s_clause 0x3
	s_load_b128 s[8:11], s[0:1], 0x40
	s_load_b32 s29, s[0:1], 0x18
	s_load_b128 s[12:15], s[0:1], 0x20
	s_load_b64 s[22:23], s[0:1], 0x30
	s_cselect_b32 s3, -1, 0
	s_and_b32 s4, ttmp7, 0xffff
	v_mov_b32_e32 v3, 0
	s_add_nc_u64 s[18:19], s[0:1], 0x68
	s_mov_b64 s[20:21], src_shared_base
	s_mov_b32 s17, 0
	s_wait_kmcnt 0x0
	v_mad_co_u64_u32 v[4:5], null, s4, s28, v[1:2]
	s_load_b128 s[4:7], s[0:1], 0x8
	v_and_b32_e32 v2, 0x3ff, v0
	s_lshl_b32 s1, s28, 2
	v_lshl_add_u32 v0, v1, 2, 0
	s_add_co_i32 s20, s1, 0
	s_lshl_b64 s[14:15], s[14:15], 2
	v_mad_co_u64_u32 v[6:7], null, s24, v4, 0
	v_lshl_add_u32 v10, v2, 2, s20
	v_lshlrev_b32_e32 v11, 2, v2
	s_lshl_b64 s[10:11], s[10:11], 2
	s_delay_alu instid0(VALU_DEP_3) | instskip(NEXT) | instid1(VALU_DEP_1)
	v_mov_b32_e32 v5, v7
	v_mad_co_u64_u32 v[7:8], null, s25, v4, v[5:6]
	v_mov_b32_e32 v5, v3
	s_wait_kmcnt 0x0
	v_cmp_gt_i64_e64 s0, s[4:5], v[2:3]
	v_cmp_gt_i64_e64 s1, s[4:5], 0
	;; [unrolled: 1-line block ×3, first 2 shown]
	v_cmp_gt_i64_e32 vcc_lo, s[6:7], v[4:5]
	v_lshlrev_b64_e32 v[4:5], 2, v[6:7]
	s_add_nc_u64 s[6:7], s[4:5], -1
	s_and_b32 s30, vcc_lo, s0
	s_branch .LBB48_4
.LBB48_2:                               ;   in Loop: Header=BB48_4 Depth=1
	flat_store_b32 v[6:7], v12
.LBB48_3:                               ;   in Loop: Header=BB48_4 Depth=1
	s_or_b32 exec_lo, exec_lo, s33
	s_add_co_i32 s16, s16, 0x10000
	s_delay_alu instid0(SALU_CYCLE_1)
	s_cmp_lt_u32 s16, s2
	s_cbranch_scc0 .LBB48_19
.LBB48_4:                               ; =>This Loop Header: Depth=1
                                        ;     Child Loop BB48_9 Depth 2
                                        ;     Child Loop BB48_15 Depth 2
	s_lshl_b64 s[24:25], s[16:17], 3
	s_wait_alu 0xfffe
	s_add_nc_u64 s[26:27], s[12:13], s[24:25]
	s_add_nc_u64 s[24:25], s[8:9], s[24:25]
	global_load_b64 v[8:9], v3, s[26:27]
	s_wait_loadcnt 0x1
	global_load_b64 v[6:7], v3, s[24:25]
	s_wait_loadcnt 0x1
	v_add_co_u32 v8, vcc_lo, v8, s14
	s_wait_alu 0xfffd
	v_add_co_ci_u32_e64 v9, null, s15, v9, vcc_lo
	s_and_not1_b32 vcc_lo, exec_lo, s3
	s_wait_alu 0xfffe
	s_cbranch_vccz .LBB48_6
; %bb.5:                                ;   in Loop: Header=BB48_4 Depth=1
	s_and_saveexec_b32 s33, s30
	s_cbranch_execz .LBB48_3
	s_branch .LBB48_12
.LBB48_6:                               ;   in Loop: Header=BB48_4 Depth=1
	s_and_not1_b32 vcc_lo, exec_lo, s1
	s_wait_alu 0xfffe
	s_cbranch_vccnz .LBB48_11
; %bb.7:                                ;   in Loop: Header=BB48_4 Depth=1
	v_add_co_u32 v8, vcc_lo, v8, v11
	s_wait_alu 0xfffd
	v_add_co_ci_u32_e64 v9, null, 0, v9, vcc_lo
	s_mov_b32 s24, 0
	s_branch .LBB48_9
.LBB48_8:                               ;   in Loop: Header=BB48_9 Depth=2
	s_wait_alu 0xfffe
	s_or_b32 exec_lo, exec_lo, s25
	s_add_co_i32 s24, s24, s28
	s_wait_alu 0xfffe
	s_ashr_i32 s25, s24, 31
	s_wait_alu 0xfffe
	v_cmp_le_i64_e64 s25, s[4:5], s[24:25]
	s_and_b32 vcc_lo, exec_lo, s25
	s_wait_alu 0xfffe
	s_cbranch_vccnz .LBB48_11
.LBB48_9:                               ;   Parent Loop BB48_4 Depth=1
                                        ; =>  This Inner Loop Header: Depth=2
	s_wait_alu 0xfffe
	v_add_nc_u32_e32 v12, s24, v1
	s_delay_alu instid0(VALU_DEP_1)
	v_cmp_gt_i32_e32 vcc_lo, v2, v12
	s_and_b32 s26, s0, vcc_lo
	s_wait_alu 0xfffe
	s_and_saveexec_b32 s25, s26
	s_cbranch_execz .LBB48_8
; %bb.10:                               ;   in Loop: Header=BB48_9 Depth=2
	v_ashrrev_i32_e32 v15, 31, v12
	v_mul_lo_u32 v16, s23, v12
	v_mad_co_u64_u32 v[13:14], null, s22, v12, 0
	s_load_b32 s26, s[18:19], 0xc
	v_mul_lo_u32 v15, s22, v15
	s_delay_alu instid0(VALU_DEP_1) | instskip(NEXT) | instid1(VALU_DEP_1)
	v_add3_u32 v14, v14, v15, v16
	v_lshlrev_b64_e32 v[13:14], 2, v[13:14]
	s_wait_kmcnt 0x0
	s_and_b32 s26, s26, 0xffff
	s_delay_alu instid0(VALU_DEP_1) | instskip(SKIP_1) | instid1(VALU_DEP_2)
	v_add_co_u32 v13, vcc_lo, v8, v13
	s_wait_alu 0xfffd
	v_add_co_ci_u32_e64 v14, null, v9, v14, vcc_lo
	s_wait_alu 0xfffe
	v_mul_lo_u32 v12, v12, s26
	flat_load_b32 v13, v[13:14]
	v_lshl_add_u32 v12, v12, 2, v10
	s_wait_loadcnt_dscnt 0x0
	ds_store_b32 v12, v13
	s_branch .LBB48_8
.LBB48_11:                              ;   in Loop: Header=BB48_4 Depth=1
	s_load_b32 s22, s[18:19], 0xc
	v_dual_mov_b32 v8, s20 :: v_dual_mov_b32 v9, s21
	s_mov_b32 s23, s17
	s_wait_kmcnt 0x0
	s_and_b32 s22, s22, 0xffff
	s_and_saveexec_b32 s33, s30
	s_cbranch_execz .LBB48_3
.LBB48_12:                              ;   in Loop: Header=BB48_4 Depth=1
	s_wait_loadcnt 0x0
	v_add_co_u32 v6, vcc_lo, v6, s10
	s_wait_alu 0xfffd
	v_add_co_ci_u32_e64 v7, null, s11, v7, vcc_lo
	s_delay_alu instid0(VALU_DEP_2) | instskip(SKIP_1) | instid1(VALU_DEP_2)
	v_add_co_u32 v6, vcc_lo, v6, v4
	s_wait_alu 0xfffd
	v_add_co_ci_u32_e64 v7, null, v7, v5, vcc_lo
	s_delay_alu instid0(VALU_DEP_2) | instskip(SKIP_1) | instid1(VALU_DEP_2)
	v_add_co_u32 v6, vcc_lo, v6, v11
	s_wait_alu 0xfffd
	v_add_co_ci_u32_e64 v7, null, 0, v7, vcc_lo
	s_and_not1_b32 vcc_lo, exec_lo, s31
	flat_load_b32 v12, v[6:7]
	s_wait_loadcnt_dscnt 0x0
	v_mul_f32_e32 v12, s29, v12
	s_wait_alu 0xfffe
	s_cbranch_vccnz .LBB48_2
; %bb.13:                               ;   in Loop: Header=BB48_4 Depth=1
	v_add_co_u32 v8, vcc_lo, v8, v11
	s_wait_alu 0xfffd
	v_add_co_ci_u32_e64 v9, null, 0, v9, vcc_lo
	s_lshl_b64 s[24:25], s[22:23], 2
	s_mov_b64 s[26:27], 0
	s_branch .LBB48_15
.LBB48_14:                              ;   in Loop: Header=BB48_15 Depth=2
	s_or_b32 exec_lo, exec_lo, s34
	v_add_co_u32 v8, vcc_lo, v8, s24
	s_wait_alu 0xfffd
	v_add_co_ci_u32_e64 v9, null, s25, v9, vcc_lo
	s_add_nc_u64 s[26:27], s[26:27], 1
	s_wait_alu 0xfffe
	s_cmp_eq_u64 s[6:7], s[26:27]
	s_cbranch_scc1 .LBB48_2
.LBB48_15:                              ;   Parent Loop BB48_4 Depth=1
                                        ; =>  This Inner Loop Header: Depth=2
	s_mov_b32 s34, exec_lo
	s_barrier_signal -1
	s_barrier_wait -1
	global_inv scope:SCOPE_SE
	s_wait_alu 0xfffe
	v_cmpx_eq_u64_e64 s[26:27], v[2:3]
; %bb.16:                               ;   in Loop: Header=BB48_15 Depth=2
	ds_store_b32 v0, v12
; %bb.17:                               ;   in Loop: Header=BB48_15 Depth=2
	s_or_b32 exec_lo, exec_lo, s34
	s_delay_alu instid0(SALU_CYCLE_1)
	s_mov_b32 s34, exec_lo
	s_wait_loadcnt_dscnt 0x0
	s_barrier_signal -1
	s_barrier_wait -1
	global_inv scope:SCOPE_SE
	v_cmpx_lt_u64_e64 s[26:27], v[2:3]
	s_cbranch_execz .LBB48_14
; %bb.18:                               ;   in Loop: Header=BB48_15 Depth=2
	flat_load_b32 v13, v[8:9]
	ds_load_b32 v14, v0
	s_wait_loadcnt_dscnt 0x0
	v_fma_f32 v12, -v13, v14, v12
	s_branch .LBB48_14
.LBB48_19:
	s_endpgm
	.section	.rodata,"a",@progbits
	.p2align	6, 0x0
	.amdhsa_kernel _ZL39rocblas_trsm_block_forward_substitutionIffPKPKfPKPfLb0ELb0ELb1EEv18rocblas_operation_llT0_T1_lllT2_lllib
		.amdhsa_group_segment_fixed_size 0
		.amdhsa_private_segment_fixed_size 0
		.amdhsa_kernarg_size 360
		.amdhsa_user_sgpr_count 2
		.amdhsa_user_sgpr_dispatch_ptr 0
		.amdhsa_user_sgpr_queue_ptr 0
		.amdhsa_user_sgpr_kernarg_segment_ptr 1
		.amdhsa_user_sgpr_dispatch_id 0
		.amdhsa_user_sgpr_private_segment_size 0
		.amdhsa_wavefront_size32 1
		.amdhsa_uses_dynamic_stack 0
		.amdhsa_enable_private_segment 0
		.amdhsa_system_sgpr_workgroup_id_x 1
		.amdhsa_system_sgpr_workgroup_id_y 1
		.amdhsa_system_sgpr_workgroup_id_z 1
		.amdhsa_system_sgpr_workgroup_info 0
		.amdhsa_system_vgpr_workitem_id 1
		.amdhsa_next_free_vgpr 17
		.amdhsa_next_free_sgpr 35
		.amdhsa_reserve_vcc 1
		.amdhsa_float_round_mode_32 0
		.amdhsa_float_round_mode_16_64 0
		.amdhsa_float_denorm_mode_32 3
		.amdhsa_float_denorm_mode_16_64 3
		.amdhsa_fp16_overflow 0
		.amdhsa_workgroup_processor_mode 1
		.amdhsa_memory_ordered 1
		.amdhsa_forward_progress 1
		.amdhsa_inst_pref_size 8
		.amdhsa_round_robin_scheduling 0
		.amdhsa_exception_fp_ieee_invalid_op 0
		.amdhsa_exception_fp_denorm_src 0
		.amdhsa_exception_fp_ieee_div_zero 0
		.amdhsa_exception_fp_ieee_overflow 0
		.amdhsa_exception_fp_ieee_underflow 0
		.amdhsa_exception_fp_ieee_inexact 0
		.amdhsa_exception_int_div_zero 0
	.end_amdhsa_kernel
	.section	.text._ZL39rocblas_trsm_block_forward_substitutionIffPKPKfPKPfLb0ELb0ELb1EEv18rocblas_operation_llT0_T1_lllT2_lllib,"axG",@progbits,_ZL39rocblas_trsm_block_forward_substitutionIffPKPKfPKPfLb0ELb0ELb1EEv18rocblas_operation_llT0_T1_lllT2_lllib,comdat
.Lfunc_end48:
	.size	_ZL39rocblas_trsm_block_forward_substitutionIffPKPKfPKPfLb0ELb0ELb1EEv18rocblas_operation_llT0_T1_lllT2_lllib, .Lfunc_end48-_ZL39rocblas_trsm_block_forward_substitutionIffPKPKfPKPfLb0ELb0ELb1EEv18rocblas_operation_llT0_T1_lllT2_lllib
                                        ; -- End function
	.set _ZL39rocblas_trsm_block_forward_substitutionIffPKPKfPKPfLb0ELb0ELb1EEv18rocblas_operation_llT0_T1_lllT2_lllib.num_vgpr, 17
	.set _ZL39rocblas_trsm_block_forward_substitutionIffPKPKfPKPfLb0ELb0ELb1EEv18rocblas_operation_llT0_T1_lllT2_lllib.num_agpr, 0
	.set _ZL39rocblas_trsm_block_forward_substitutionIffPKPKfPKPfLb0ELb0ELb1EEv18rocblas_operation_llT0_T1_lllT2_lllib.numbered_sgpr, 35
	.set _ZL39rocblas_trsm_block_forward_substitutionIffPKPKfPKPfLb0ELb0ELb1EEv18rocblas_operation_llT0_T1_lllT2_lllib.num_named_barrier, 0
	.set _ZL39rocblas_trsm_block_forward_substitutionIffPKPKfPKPfLb0ELb0ELb1EEv18rocblas_operation_llT0_T1_lllT2_lllib.private_seg_size, 0
	.set _ZL39rocblas_trsm_block_forward_substitutionIffPKPKfPKPfLb0ELb0ELb1EEv18rocblas_operation_llT0_T1_lllT2_lllib.uses_vcc, 1
	.set _ZL39rocblas_trsm_block_forward_substitutionIffPKPKfPKPfLb0ELb0ELb1EEv18rocblas_operation_llT0_T1_lllT2_lllib.uses_flat_scratch, 0
	.set _ZL39rocblas_trsm_block_forward_substitutionIffPKPKfPKPfLb0ELb0ELb1EEv18rocblas_operation_llT0_T1_lllT2_lllib.has_dyn_sized_stack, 0
	.set _ZL39rocblas_trsm_block_forward_substitutionIffPKPKfPKPfLb0ELb0ELb1EEv18rocblas_operation_llT0_T1_lllT2_lllib.has_recursion, 0
	.set _ZL39rocblas_trsm_block_forward_substitutionIffPKPKfPKPfLb0ELb0ELb1EEv18rocblas_operation_llT0_T1_lllT2_lllib.has_indirect_call, 0
	.section	.AMDGPU.csdata,"",@progbits
; Kernel info:
; codeLenInByte = 992
; TotalNumSgprs: 37
; NumVgprs: 17
; ScratchSize: 0
; MemoryBound: 0
; FloatMode: 240
; IeeeMode: 1
; LDSByteSize: 0 bytes/workgroup (compile time only)
; SGPRBlocks: 0
; VGPRBlocks: 2
; NumSGPRsForWavesPerEU: 37
; NumVGPRsForWavesPerEU: 17
; Occupancy: 16
; WaveLimiterHint : 1
; COMPUTE_PGM_RSRC2:SCRATCH_EN: 0
; COMPUTE_PGM_RSRC2:USER_SGPR: 2
; COMPUTE_PGM_RSRC2:TRAP_HANDLER: 0
; COMPUTE_PGM_RSRC2:TGID_X_EN: 1
; COMPUTE_PGM_RSRC2:TGID_Y_EN: 1
; COMPUTE_PGM_RSRC2:TGID_Z_EN: 1
; COMPUTE_PGM_RSRC2:TIDIG_COMP_CNT: 1
	.section	.text._ZL40rocblas_trsm_block_backward_substitutionIffPKPKfPKPfLb0ELb0ELb1EEv18rocblas_operation_llT0_T1_lllT2_lllib,"axG",@progbits,_ZL40rocblas_trsm_block_backward_substitutionIffPKPKfPKPfLb0ELb0ELb1EEv18rocblas_operation_llT0_T1_lllT2_lllib,comdat
	.globl	_ZL40rocblas_trsm_block_backward_substitutionIffPKPKfPKPfLb0ELb0ELb1EEv18rocblas_operation_llT0_T1_lllT2_lllib ; -- Begin function _ZL40rocblas_trsm_block_backward_substitutionIffPKPKfPKPfLb0ELb0ELb1EEv18rocblas_operation_llT0_T1_lllT2_lllib
	.p2align	8
	.type	_ZL40rocblas_trsm_block_backward_substitutionIffPKPKfPKPfLb0ELb0ELb1EEv18rocblas_operation_llT0_T1_lllT2_lllib,@function
_ZL40rocblas_trsm_block_backward_substitutionIffPKPKfPKPfLb0ELb0ELb1EEv18rocblas_operation_llT0_T1_lllT2_lllib: ; @_ZL40rocblas_trsm_block_backward_substitutionIffPKPKfPKPfLb0ELb0ELb1EEv18rocblas_operation_llT0_T1_lllT2_lllib
; %bb.0:
	s_load_b64 s[2:3], s[0:1], 0x60
	s_lshr_b32 s16, ttmp7, 16
	s_wait_kmcnt 0x0
	s_cmp_ge_u32 s16, s2
	s_cbranch_scc1 .LBB49_19
; %bb.1:
	s_clause 0x6
	s_load_b64 s[18:19], s[0:1], 0x30
	s_load_b64 s[24:25], s[0:1], 0x50
	s_load_b128 s[4:7], s[0:1], 0x20
	s_load_b128 s[8:11], s[0:1], 0x40
	s_load_u16 s30, s[0:1], 0x76
	s_load_b128 s[12:15], s[0:1], 0x8
	s_load_b32 s31, s[0:1], 0x18
	v_dual_mov_b32 v3, 0 :: v_dual_and_b32 v2, 0x3ff, v0
	v_bfe_u32 v1, v0, 10, 10
	s_bitcmp1_b32 s3, 0
	s_add_nc_u64 s[20:21], s[0:1], 0x68
	s_cselect_b32 s3, -1, 0
	s_and_b32 s0, ttmp7, 0xffff
	v_lshlrev_b32_e32 v0, 2, v2
	s_mov_b64 s[22:23], src_shared_base
	v_lshl_add_u32 v14, v1, 2, 0
	s_mov_b32 s17, 0
	s_wait_kmcnt 0x0
	v_mad_co_u64_u32 v[6:7], null, s18, v2, 0
	v_mad_co_u64_u32 v[8:9], null, s24, v2, 0
	;; [unrolled: 1-line block ×3, first 2 shown]
	v_mov_b32_e32 v5, v3
	s_lshl_b32 s1, s30, 2
	v_cmp_gt_i64_e64 s0, s[12:13], v[2:3]
	s_wait_alu 0xfffe
	s_add_co_i32 s22, s1, 0
	v_mad_co_u64_u32 v[10:11], null, s19, v2, v[7:8]
	v_cmp_gt_i64_e32 vcc_lo, s[14:15], v[4:5]
	v_cmp_gt_i64_e64 s33, s[12:13], 0
	v_lshlrev_b64_e32 v[4:5], 2, v[4:5]
	v_cmp_gt_i64_e64 s35, s[12:13], 1
	v_add_nc_u32_e32 v15, s22, v0
	s_lshl_b64 s[6:7], s[6:7], 2
	v_mad_co_u64_u32 v[11:12], null, s25, v2, v[9:10]
	v_mov_b32_e32 v7, v10
	s_add_nc_u64 s[24:25], s[12:13], -1
	s_and_b32 s34, vcc_lo, s0
	s_wait_alu 0xfffe
	s_lshl_b64 s[14:15], s[24:25], 2
	s_lshl_b64 s[10:11], s[10:11], 2
	v_lshlrev_b64_e32 v[6:7], 2, v[6:7]
	v_mov_b32_e32 v9, v11
	s_delay_alu instid0(VALU_DEP_1)
	v_lshlrev_b64_e32 v[8:9], 2, v[8:9]
	s_branch .LBB49_4
.LBB49_2:                               ;   in Loop: Header=BB49_4 Depth=1
	flat_store_b32 v[10:11], v16
.LBB49_3:                               ;   in Loop: Header=BB49_4 Depth=1
	s_wait_alu 0xfffe
	s_or_b32 exec_lo, exec_lo, s1
	s_add_co_i32 s16, s16, 0x10000
	s_delay_alu instid0(SALU_CYCLE_1)
	s_cmp_lt_u32 s16, s2
	s_cbranch_scc0 .LBB49_19
.LBB49_4:                               ; =>This Loop Header: Depth=1
                                        ;     Child Loop BB49_9 Depth 2
                                        ;     Child Loop BB49_15 Depth 2
	s_lshl_b64 s[26:27], s[16:17], 3
	s_wait_alu 0xfffe
	s_add_nc_u64 s[28:29], s[4:5], s[26:27]
	s_add_nc_u64 s[26:27], s[8:9], s[26:27]
	global_load_b64 v[12:13], v3, s[28:29]
	s_wait_loadcnt 0x1
	global_load_b64 v[10:11], v3, s[26:27]
	s_mov_b64 s[26:27], 1
	s_mov_b64 s[28:29], s[18:19]
	s_wait_loadcnt 0x1
	v_add_co_u32 v12, vcc_lo, v12, s6
	s_wait_alu 0xfffd
	v_add_co_ci_u32_e64 v13, null, s7, v13, vcc_lo
	s_and_not1_b32 vcc_lo, exec_lo, s3
	s_wait_alu 0xfffe
	s_cbranch_vccz .LBB49_6
; %bb.5:                                ;   in Loop: Header=BB49_4 Depth=1
	s_and_saveexec_b32 s1, s34
	s_cbranch_execz .LBB49_3
	s_branch .LBB49_12
.LBB49_6:                               ;   in Loop: Header=BB49_4 Depth=1
	s_and_not1_b32 vcc_lo, exec_lo, s33
	s_wait_alu 0xfffe
	s_cbranch_vccnz .LBB49_11
; %bb.7:                                ;   in Loop: Header=BB49_4 Depth=1
	v_add_co_u32 v16, vcc_lo, v12, v6
	s_wait_alu 0xfffd
	v_add_co_ci_u32_e64 v17, null, v13, v7, vcc_lo
	s_mov_b32 s26, 0
	s_branch .LBB49_9
.LBB49_8:                               ;   in Loop: Header=BB49_9 Depth=2
	s_wait_alu 0xfffe
	s_or_b32 exec_lo, exec_lo, s1
	s_add_co_i32 s26, s26, s30
	s_wait_alu 0xfffe
	s_ashr_i32 s27, s26, 31
	s_wait_alu 0xfffe
	v_cmp_le_i64_e64 s1, s[12:13], s[26:27]
	s_and_b32 vcc_lo, exec_lo, s1
	s_wait_alu 0xfffe
	s_cbranch_vccnz .LBB49_11
.LBB49_9:                               ;   Parent Loop BB49_4 Depth=1
                                        ; =>  This Inner Loop Header: Depth=2
	s_wait_alu 0xfffe
	v_add_nc_u32_e32 v12, s26, v1
	s_delay_alu instid0(VALU_DEP_1) | instskip(SKIP_1) | instid1(VALU_DEP_2)
	v_ashrrev_i32_e32 v13, 31, v12
	v_cmp_lt_i32_e64 s1, v2, v12
	v_cmp_gt_i64_e32 vcc_lo, s[12:13], v[12:13]
	s_and_b32 s1, s1, vcc_lo
	s_wait_alu 0xfffe
	s_and_b32 s27, s0, s1
	s_wait_alu 0xfffe
	s_and_saveexec_b32 s1, s27
	s_cbranch_execz .LBB49_8
; %bb.10:                               ;   in Loop: Header=BB49_9 Depth=2
	v_lshlrev_b64_e32 v[18:19], 2, v[12:13]
	s_load_b32 s27, s[20:21], 0xc
	s_delay_alu instid0(VALU_DEP_1) | instskip(SKIP_1) | instid1(VALU_DEP_2)
	v_add_co_u32 v18, vcc_lo, v16, v18
	s_wait_alu 0xfffd
	v_add_co_ci_u32_e64 v19, null, v17, v19, vcc_lo
	flat_load_b32 v13, v[18:19]
	s_wait_kmcnt 0x0
	s_and_b32 s27, s27, 0xffff
	s_wait_alu 0xfffe
	v_mul_lo_u32 v12, v12, s27
	s_delay_alu instid0(VALU_DEP_1)
	v_lshl_add_u32 v12, v12, 2, v15
	s_wait_loadcnt_dscnt 0x0
	ds_store_b32 v12, v13
	s_branch .LBB49_8
.LBB49_11:                              ;   in Loop: Header=BB49_4 Depth=1
	s_load_b32 s1, s[20:21], 0xc
	v_dual_mov_b32 v12, s22 :: v_dual_mov_b32 v13, s23
	s_mov_b32 s27, s17
	s_mov_b64 s[28:29], 1
	s_wait_kmcnt 0x0
	s_and_b32 s26, s1, 0xffff
	s_and_saveexec_b32 s1, s34
	s_cbranch_execz .LBB49_3
.LBB49_12:                              ;   in Loop: Header=BB49_4 Depth=1
	s_wait_loadcnt 0x0
	v_add_co_u32 v10, vcc_lo, v10, s10
	s_wait_alu 0xfffd
	v_add_co_ci_u32_e64 v11, null, s11, v11, vcc_lo
	s_delay_alu instid0(VALU_DEP_2) | instskip(SKIP_1) | instid1(VALU_DEP_2)
	v_add_co_u32 v10, vcc_lo, v10, v8
	s_wait_alu 0xfffd
	v_add_co_ci_u32_e64 v11, null, v11, v9, vcc_lo
	s_delay_alu instid0(VALU_DEP_2) | instskip(SKIP_1) | instid1(VALU_DEP_2)
	v_add_co_u32 v10, vcc_lo, v10, v4
	s_wait_alu 0xfffd
	v_add_co_ci_u32_e64 v11, null, v11, v5, vcc_lo
	s_and_not1_b32 vcc_lo, exec_lo, s35
	flat_load_b32 v16, v[10:11]
	s_wait_loadcnt_dscnt 0x0
	v_mul_f32_e32 v16, s31, v16
	s_wait_alu 0xfffe
	s_cbranch_vccnz .LBB49_2
; %bb.13:                               ;   in Loop: Header=BB49_4 Depth=1
	s_mul_u64 s[36:37], s[14:15], s[26:27]
	s_lshl_b32 s26, s26, 2
	s_wait_alu 0xfffe
	v_add_co_u32 v12, vcc_lo, v12, s36
	s_wait_alu 0xfffd
	v_add_co_ci_u32_e64 v13, null, s37, v13, vcc_lo
	s_mov_b32 s27, s17
	s_wait_alu 0xfffe
	s_sub_nc_u64 s[26:27], 0, s[26:27]
	v_mad_co_u64_u32 v[12:13], null, v0, s28, v[12:13]
	s_delay_alu instid0(VALU_DEP_1)
	v_mad_co_u64_u32 v[17:18], null, v0, s29, v[13:14]
	s_mov_b64 s[28:29], s[24:25]
	v_mov_b32_e32 v13, v17
	s_branch .LBB49_15
.LBB49_14:                              ;   in Loop: Header=BB49_15 Depth=2
	s_wait_alu 0xfffe
	s_or_b32 exec_lo, exec_lo, s36
	s_add_nc_u64 s[36:37], s[28:29], 1
	v_add_co_u32 v12, vcc_lo, v12, s26
	s_wait_alu 0xfffe
	v_cmp_lt_u64_e64 s36, s[36:37], 3
	s_wait_alu 0xfffd
	v_add_co_ci_u32_e64 v13, null, s27, v13, vcc_lo
	s_add_nc_u64 s[28:29], s[28:29], -1
	s_and_b32 vcc_lo, exec_lo, s36
	s_wait_alu 0xfffe
	s_cbranch_vccnz .LBB49_2
.LBB49_15:                              ;   Parent Loop BB49_4 Depth=1
                                        ; =>  This Inner Loop Header: Depth=2
	s_mov_b32 s36, exec_lo
	s_barrier_signal -1
	s_barrier_wait -1
	global_inv scope:SCOPE_SE
	s_wait_alu 0xfffe
	v_cmpx_eq_u64_e64 s[28:29], v[2:3]
; %bb.16:                               ;   in Loop: Header=BB49_15 Depth=2
	ds_store_b32 v14, v16
; %bb.17:                               ;   in Loop: Header=BB49_15 Depth=2
	s_or_b32 exec_lo, exec_lo, s36
	s_delay_alu instid0(SALU_CYCLE_1)
	s_mov_b32 s36, exec_lo
	s_wait_loadcnt_dscnt 0x0
	s_barrier_signal -1
	s_barrier_wait -1
	global_inv scope:SCOPE_SE
	v_cmpx_gt_i64_e64 s[28:29], v[2:3]
	s_cbranch_execz .LBB49_14
; %bb.18:                               ;   in Loop: Header=BB49_15 Depth=2
	flat_load_b32 v17, v[12:13]
	ds_load_b32 v18, v14
	s_wait_loadcnt_dscnt 0x0
	v_fma_f32 v16, -v17, v18, v16
	s_branch .LBB49_14
.LBB49_19:
	s_endpgm
	.section	.rodata,"a",@progbits
	.p2align	6, 0x0
	.amdhsa_kernel _ZL40rocblas_trsm_block_backward_substitutionIffPKPKfPKPfLb0ELb0ELb1EEv18rocblas_operation_llT0_T1_lllT2_lllib
		.amdhsa_group_segment_fixed_size 0
		.amdhsa_private_segment_fixed_size 0
		.amdhsa_kernarg_size 360
		.amdhsa_user_sgpr_count 2
		.amdhsa_user_sgpr_dispatch_ptr 0
		.amdhsa_user_sgpr_queue_ptr 0
		.amdhsa_user_sgpr_kernarg_segment_ptr 1
		.amdhsa_user_sgpr_dispatch_id 0
		.amdhsa_user_sgpr_private_segment_size 0
		.amdhsa_wavefront_size32 1
		.amdhsa_uses_dynamic_stack 0
		.amdhsa_enable_private_segment 0
		.amdhsa_system_sgpr_workgroup_id_x 1
		.amdhsa_system_sgpr_workgroup_id_y 1
		.amdhsa_system_sgpr_workgroup_id_z 1
		.amdhsa_system_sgpr_workgroup_info 0
		.amdhsa_system_vgpr_workitem_id 1
		.amdhsa_next_free_vgpr 20
		.amdhsa_next_free_sgpr 38
		.amdhsa_reserve_vcc 1
		.amdhsa_float_round_mode_32 0
		.amdhsa_float_round_mode_16_64 0
		.amdhsa_float_denorm_mode_32 3
		.amdhsa_float_denorm_mode_16_64 3
		.amdhsa_fp16_overflow 0
		.amdhsa_workgroup_processor_mode 1
		.amdhsa_memory_ordered 1
		.amdhsa_forward_progress 1
		.amdhsa_inst_pref_size 9
		.amdhsa_round_robin_scheduling 0
		.amdhsa_exception_fp_ieee_invalid_op 0
		.amdhsa_exception_fp_denorm_src 0
		.amdhsa_exception_fp_ieee_div_zero 0
		.amdhsa_exception_fp_ieee_overflow 0
		.amdhsa_exception_fp_ieee_underflow 0
		.amdhsa_exception_fp_ieee_inexact 0
		.amdhsa_exception_int_div_zero 0
	.end_amdhsa_kernel
	.section	.text._ZL40rocblas_trsm_block_backward_substitutionIffPKPKfPKPfLb0ELb0ELb1EEv18rocblas_operation_llT0_T1_lllT2_lllib,"axG",@progbits,_ZL40rocblas_trsm_block_backward_substitutionIffPKPKfPKPfLb0ELb0ELb1EEv18rocblas_operation_llT0_T1_lllT2_lllib,comdat
.Lfunc_end49:
	.size	_ZL40rocblas_trsm_block_backward_substitutionIffPKPKfPKPfLb0ELb0ELb1EEv18rocblas_operation_llT0_T1_lllT2_lllib, .Lfunc_end49-_ZL40rocblas_trsm_block_backward_substitutionIffPKPKfPKPfLb0ELb0ELb1EEv18rocblas_operation_llT0_T1_lllT2_lllib
                                        ; -- End function
	.set _ZL40rocblas_trsm_block_backward_substitutionIffPKPKfPKPfLb0ELb0ELb1EEv18rocblas_operation_llT0_T1_lllT2_lllib.num_vgpr, 20
	.set _ZL40rocblas_trsm_block_backward_substitutionIffPKPKfPKPfLb0ELb0ELb1EEv18rocblas_operation_llT0_T1_lllT2_lllib.num_agpr, 0
	.set _ZL40rocblas_trsm_block_backward_substitutionIffPKPKfPKPfLb0ELb0ELb1EEv18rocblas_operation_llT0_T1_lllT2_lllib.numbered_sgpr, 38
	.set _ZL40rocblas_trsm_block_backward_substitutionIffPKPKfPKPfLb0ELb0ELb1EEv18rocblas_operation_llT0_T1_lllT2_lllib.num_named_barrier, 0
	.set _ZL40rocblas_trsm_block_backward_substitutionIffPKPKfPKPfLb0ELb0ELb1EEv18rocblas_operation_llT0_T1_lllT2_lllib.private_seg_size, 0
	.set _ZL40rocblas_trsm_block_backward_substitutionIffPKPKfPKPfLb0ELb0ELb1EEv18rocblas_operation_llT0_T1_lllT2_lllib.uses_vcc, 1
	.set _ZL40rocblas_trsm_block_backward_substitutionIffPKPKfPKPfLb0ELb0ELb1EEv18rocblas_operation_llT0_T1_lllT2_lllib.uses_flat_scratch, 0
	.set _ZL40rocblas_trsm_block_backward_substitutionIffPKPKfPKPfLb0ELb0ELb1EEv18rocblas_operation_llT0_T1_lllT2_lllib.has_dyn_sized_stack, 0
	.set _ZL40rocblas_trsm_block_backward_substitutionIffPKPKfPKPfLb0ELb0ELb1EEv18rocblas_operation_llT0_T1_lllT2_lllib.has_recursion, 0
	.set _ZL40rocblas_trsm_block_backward_substitutionIffPKPKfPKPfLb0ELb0ELb1EEv18rocblas_operation_llT0_T1_lllT2_lllib.has_indirect_call, 0
	.section	.AMDGPU.csdata,"",@progbits
; Kernel info:
; codeLenInByte = 1084
; TotalNumSgprs: 40
; NumVgprs: 20
; ScratchSize: 0
; MemoryBound: 0
; FloatMode: 240
; IeeeMode: 1
; LDSByteSize: 0 bytes/workgroup (compile time only)
; SGPRBlocks: 0
; VGPRBlocks: 2
; NumSGPRsForWavesPerEU: 40
; NumVGPRsForWavesPerEU: 20
; Occupancy: 16
; WaveLimiterHint : 1
; COMPUTE_PGM_RSRC2:SCRATCH_EN: 0
; COMPUTE_PGM_RSRC2:USER_SGPR: 2
; COMPUTE_PGM_RSRC2:TRAP_HANDLER: 0
; COMPUTE_PGM_RSRC2:TGID_X_EN: 1
; COMPUTE_PGM_RSRC2:TGID_Y_EN: 1
; COMPUTE_PGM_RSRC2:TGID_Z_EN: 1
; COMPUTE_PGM_RSRC2:TIDIG_COMP_CNT: 1
	.section	.text._ZL39rocblas_trsm_block_forward_substitutionIffPKPKfPKPfLb0ELb1ELb0EEv18rocblas_operation_llT0_T1_lllT2_lllib,"axG",@progbits,_ZL39rocblas_trsm_block_forward_substitutionIffPKPKfPKPfLb0ELb1ELb0EEv18rocblas_operation_llT0_T1_lllT2_lllib,comdat
	.globl	_ZL39rocblas_trsm_block_forward_substitutionIffPKPKfPKPfLb0ELb1ELb0EEv18rocblas_operation_llT0_T1_lllT2_lllib ; -- Begin function _ZL39rocblas_trsm_block_forward_substitutionIffPKPKfPKPfLb0ELb1ELb0EEv18rocblas_operation_llT0_T1_lllT2_lllib
	.p2align	8
	.type	_ZL39rocblas_trsm_block_forward_substitutionIffPKPKfPKPfLb0ELb1ELb0EEv18rocblas_operation_llT0_T1_lllT2_lllib,@function
_ZL39rocblas_trsm_block_forward_substitutionIffPKPKfPKPfLb0ELb1ELb0EEv18rocblas_operation_llT0_T1_lllT2_lllib: ; @_ZL39rocblas_trsm_block_forward_substitutionIffPKPKfPKPfLb0ELb1ELb0EEv18rocblas_operation_llT0_T1_lllT2_lllib
; %bb.0:
	s_load_b64 s[16:17], s[0:1], 0x60
	s_lshr_b32 s18, ttmp7, 16
	s_wait_kmcnt 0x0
	s_cmp_ge_u32 s18, s16
	s_cbranch_scc1 .LBB50_27
; %bb.1:
	s_clause 0x6
	s_load_b64 s[2:3], s[0:1], 0x50
	s_load_b128 s[4:7], s[0:1], 0x40
	s_load_u16 s28, s[0:1], 0x76
	s_load_b128 s[8:11], s[0:1], 0x8
	s_load_b32 s29, s[0:1], 0x18
	s_load_b128 s[12:15], s[0:1], 0x20
	s_load_b64 s[22:23], s[0:1], 0x30
	v_dual_mov_b32 v2, 0 :: v_dual_and_b32 v1, 0x3ff, v0
	v_bfe_u32 v0, v0, 10, 10
	s_bitcmp1_b32 s17, 0
	s_add_nc_u64 s[20:21], s[0:1], 0x68
	s_cselect_b32 s0, -1, 0
	s_and_b32 s1, ttmp7, 0xffff
	s_mov_b64 s[24:25], src_shared_base
	v_lshl_add_u32 v15, v0, 2, 0
	s_mov_b32 s19, 0
	v_lshlrev_b32_e32 v17, 2, v1
	s_wait_kmcnt 0x0
	v_mad_co_u64_u32 v[5:6], null, s2, v1, 0
	v_mad_co_u64_u32 v[7:8], null, s1, s28, v[0:1]
	v_mov_b32_e32 v8, v2
	s_lshl_b32 s1, s28, 2
	v_cmp_le_i64_e32 vcc_lo, s[8:9], v[1:2]
	v_cmp_gt_i64_e64 s2, s[8:9], v[1:2]
	v_mov_b32_e32 v3, v6
	s_add_nc_u64 s[26:27], s[8:9], -1
	s_wait_alu 0xfffe
	s_add_co_i32 s24, s1, 0
	v_cmp_gt_i64_e64 s17, s[8:9], 0
	v_cmp_eq_u64_e64 s1, s[26:27], v[1:2]
	v_mad_co_u64_u32 v[3:4], null, s3, v1, v[3:4]
	v_cmp_gt_i64_e64 s3, s[10:11], v[7:8]
	v_cmp_gt_i64_e64 s31, s[8:9], 1
	v_lshl_add_u32 v16, v1, 2, s24
	s_lshl_b64 s[6:7], s[6:7], 2
	s_xor_b32 s33, vcc_lo, -1
	v_mov_b32_e32 v6, v3
	v_lshlrev_b64_e32 v[3:4], 2, v[7:8]
	s_and_b32 s30, s3, s2
	s_lshl_b64 s[2:3], s[14:15], 2
	s_delay_alu instid0(VALU_DEP_2)
	v_lshlrev_b64_e32 v[5:6], 2, v[5:6]
	s_branch .LBB50_4
.LBB50_2:                               ;   in Loop: Header=BB50_4 Depth=1
	s_wait_alu 0xfffe
	s_or_b32 exec_lo, exec_lo, s10
	flat_store_b32 v[9:10], v18
.LBB50_3:                               ;   in Loop: Header=BB50_4 Depth=1
	s_or_b32 exec_lo, exec_lo, s34
	s_add_co_i32 s18, s18, 0x10000
	s_delay_alu instid0(SALU_CYCLE_1)
	s_cmp_lt_u32 s18, s16
	s_cbranch_scc0 .LBB50_27
.LBB50_4:                               ; =>This Loop Header: Depth=1
                                        ;     Child Loop BB50_9 Depth 2
                                        ;     Child Loop BB50_21 Depth 2
	s_lshl_b64 s[10:11], s[18:19], 3
	s_wait_alu 0xfffe
	s_add_nc_u64 s[14:15], s[12:13], s[10:11]
	s_add_nc_u64 s[10:11], s[4:5], s[10:11]
	global_load_b64 v[7:8], v2, s[14:15]
	s_wait_loadcnt 0x1
	global_load_b64 v[9:10], v2, s[10:11]
	s_wait_loadcnt 0x1
	v_add_co_u32 v7, vcc_lo, v7, s2
	s_wait_alu 0xfffd
	v_add_co_ci_u32_e64 v8, null, s3, v8, vcc_lo
	s_and_not1_b32 vcc_lo, exec_lo, s0
	s_wait_alu 0xfffe
	s_cbranch_vccz .LBB50_6
; %bb.5:                                ;   in Loop: Header=BB50_4 Depth=1
	s_and_saveexec_b32 s34, s30
	s_cbranch_execz .LBB50_3
	s_branch .LBB50_18
.LBB50_6:                               ;   in Loop: Header=BB50_4 Depth=1
	s_and_not1_b32 vcc_lo, exec_lo, s17
	s_wait_alu 0xfffe
	s_cbranch_vccnz .LBB50_17
; %bb.7:                                ;   in Loop: Header=BB50_4 Depth=1
	v_mad_co_u64_u32 v[11:12], null, s22, v1, 0
	s_mov_b32 s10, s28
	v_mad_co_u64_u32 v[12:13], null, s23, v1, v[12:13]
	s_wait_dscnt 0x0
	s_delay_alu instid0(VALU_DEP_1) | instskip(SKIP_3) | instid1(VALU_DEP_2)
	v_lshlrev_b64_e32 v[13:14], 2, v[11:12]
	v_add_co_u32 v11, vcc_lo, v7, v17
	s_wait_alu 0xfffd
	v_add_co_ci_u32_e64 v12, null, 0, v8, vcc_lo
	v_add_co_u32 v7, vcc_lo, v11, v13
	s_wait_alu 0xfffd
	s_delay_alu instid0(VALU_DEP_2)
	v_add_co_ci_u32_e64 v8, null, v12, v14, vcc_lo
	v_mov_b32_e32 v13, v0
	s_branch .LBB50_9
.LBB50_8:                               ;   in Loop: Header=BB50_9 Depth=2
	s_wait_alu 0xfffe
	s_or_b32 exec_lo, exec_lo, s14
	s_ashr_i32 s11, s10, 31
	v_add_nc_u32_e32 v13, s28, v13
	s_wait_alu 0xfffe
	v_cmp_le_i64_e64 s11, s[8:9], s[10:11]
	s_add_co_i32 s10, s10, s28
	s_and_b32 vcc_lo, exec_lo, s11
	s_wait_alu 0xfffe
	s_cbranch_vccnz .LBB50_17
.LBB50_9:                               ;   Parent Loop BB50_4 Depth=1
                                        ; =>  This Inner Loop Header: Depth=2
	s_delay_alu instid0(VALU_DEP_1)
	v_cmp_gt_i32_e32 vcc_lo, v1, v13
	s_mov_b32 s11, 0
                                        ; implicit-def: $vgpr14
	s_and_b32 s14, s33, vcc_lo
	s_wait_alu 0xfffe
	s_and_saveexec_b32 s15, s14
	s_wait_alu 0xfffe
	s_xor_b32 s14, exec_lo, s15
	s_cbranch_execnz .LBB50_12
; %bb.10:                               ;   in Loop: Header=BB50_9 Depth=2
	s_wait_alu 0xfffe
	s_or_saveexec_b32 s14, s14
	v_mov_b32_e32 v18, v13
	s_wait_alu 0xfffe
	s_xor_b32 exec_lo, exec_lo, s14
	s_cbranch_execnz .LBB50_13
.LBB50_11:                              ;   in Loop: Header=BB50_9 Depth=2
	s_or_b32 exec_lo, exec_lo, s14
	s_wait_alu 0xfffe
	s_and_saveexec_b32 s14, s11
	s_cbranch_execz .LBB50_8
	s_branch .LBB50_16
.LBB50_12:                              ;   in Loop: Header=BB50_9 Depth=2
	s_wait_loadcnt_dscnt 0x0
	v_ashrrev_i32_e32 v14, 31, v13
	v_mul_lo_u32 v20, s23, v13
	v_mad_co_u64_u32 v[18:19], null, s22, v13, 0
	s_mov_b32 s11, exec_lo
	v_mul_lo_u32 v14, s22, v14
	s_delay_alu instid0(VALU_DEP_1) | instskip(NEXT) | instid1(VALU_DEP_1)
	v_add3_u32 v19, v19, v14, v20
	v_lshlrev_b64_e32 v[18:19], 2, v[18:19]
	s_delay_alu instid0(VALU_DEP_1) | instskip(SKIP_1) | instid1(VALU_DEP_2)
	v_add_co_u32 v18, vcc_lo, v11, v18
	s_wait_alu 0xfffd
	v_add_co_ci_u32_e64 v19, null, v12, v19, vcc_lo
	flat_load_b32 v14, v[18:19]
	s_wait_alu 0xfffe
	s_or_saveexec_b32 s14, s14
	v_mov_b32_e32 v18, v13
	s_wait_alu 0xfffe
	s_xor_b32 exec_lo, exec_lo, s14
	s_cbranch_execz .LBB50_11
.LBB50_13:                              ;   in Loop: Header=BB50_9 Depth=2
	v_cmp_eq_u32_e32 vcc_lo, v1, v13
	s_wait_alu 0xfffe
	s_mov_b32 s34, s11
                                        ; implicit-def: $vgpr14
	s_and_b32 s35, s33, vcc_lo
	s_delay_alu instid0(SALU_CYCLE_1)
	s_and_saveexec_b32 s15, s35
	s_cbranch_execz .LBB50_15
; %bb.14:                               ;   in Loop: Header=BB50_9 Depth=2
	s_wait_loadcnt_dscnt 0x0
	flat_load_b32 v14, v[7:8]
	s_or_b32 s34, s11, exec_lo
	s_wait_loadcnt_dscnt 0x0
	v_div_scale_f32 v18, null, v14, v14, 1.0
	s_delay_alu instid0(VALU_DEP_1) | instskip(NEXT) | instid1(TRANS32_DEP_1)
	v_rcp_f32_e32 v19, v18
	v_fma_f32 v20, -v18, v19, 1.0
	s_delay_alu instid0(VALU_DEP_1) | instskip(SKIP_1) | instid1(VALU_DEP_1)
	v_fmac_f32_e32 v19, v20, v19
	v_div_scale_f32 v20, vcc_lo, 1.0, v14, 1.0
	v_mul_f32_e32 v21, v20, v19
	s_delay_alu instid0(VALU_DEP_1) | instskip(NEXT) | instid1(VALU_DEP_1)
	v_fma_f32 v22, -v18, v21, v20
	v_fmac_f32_e32 v21, v22, v19
	s_delay_alu instid0(VALU_DEP_1) | instskip(SKIP_1) | instid1(VALU_DEP_1)
	v_fma_f32 v18, -v18, v21, v20
	s_wait_alu 0xfffd
	v_div_fmas_f32 v18, v18, v19, v21
	s_delay_alu instid0(VALU_DEP_1)
	v_div_fixup_f32 v14, v18, v14, 1.0
.LBB50_15:                              ;   in Loop: Header=BB50_9 Depth=2
	s_wait_alu 0xfffe
	s_or_b32 exec_lo, exec_lo, s15
	v_mov_b32_e32 v18, v1
	s_and_not1_b32 s11, s11, exec_lo
	s_and_b32 s15, s34, exec_lo
	s_wait_alu 0xfffe
	s_or_b32 s11, s11, s15
	s_or_b32 exec_lo, exec_lo, s14
	s_wait_alu 0xfffe
	s_and_saveexec_b32 s14, s11
	s_cbranch_execz .LBB50_8
.LBB50_16:                              ;   in Loop: Header=BB50_9 Depth=2
	s_load_b32 s11, s[20:21], 0xc
	s_wait_kmcnt 0x0
	s_and_b32 s11, s11, 0xffff
	s_wait_alu 0xfffe
	v_mul_lo_u32 v18, v18, s11
	s_delay_alu instid0(VALU_DEP_1)
	v_lshl_add_u32 v18, v18, 2, v16
	s_wait_loadcnt_dscnt 0x0
	ds_store_b32 v18, v14
	s_branch .LBB50_8
.LBB50_17:                              ;   in Loop: Header=BB50_4 Depth=1
	s_load_b32 s10, s[20:21], 0xc
	v_dual_mov_b32 v7, s24 :: v_dual_mov_b32 v8, s25
	s_mov_b32 s23, s19
	s_wait_kmcnt 0x0
	s_and_b32 s22, s10, 0xffff
	s_and_saveexec_b32 s34, s30
	s_cbranch_execz .LBB50_3
.LBB50_18:                              ;   in Loop: Header=BB50_4 Depth=1
	s_wait_loadcnt 0x0
	v_add_co_u32 v9, vcc_lo, v9, s6
	s_wait_alu 0xfffd
	v_add_co_ci_u32_e64 v10, null, s7, v10, vcc_lo
	s_delay_alu instid0(VALU_DEP_2) | instskip(SKIP_1) | instid1(VALU_DEP_2)
	v_add_co_u32 v9, vcc_lo, v9, v5
	s_wait_alu 0xfffd
	v_add_co_ci_u32_e64 v10, null, v10, v6, vcc_lo
	s_delay_alu instid0(VALU_DEP_2) | instskip(SKIP_1) | instid1(VALU_DEP_2)
	v_add_co_u32 v9, vcc_lo, v9, v3
	s_wait_alu 0xfffd
	v_add_co_ci_u32_e64 v10, null, v10, v4, vcc_lo
	s_and_not1_b32 vcc_lo, exec_lo, s31
	flat_load_b32 v11, v[9:10]
	s_wait_loadcnt_dscnt 0x0
	v_mul_f32_e32 v18, s29, v11
	s_wait_alu 0xfffe
	s_cbranch_vccnz .LBB50_25
; %bb.19:                               ;   in Loop: Header=BB50_4 Depth=1
	v_mad_co_u64_u32 v[11:12], null, v1, s22, v[1:2]
	s_lshl_b64 s[10:11], s[22:23], 2
	s_mov_b64 s[14:15], 0
	v_mad_co_u64_u32 v[12:13], null, v1, s23, v[12:13]
	s_delay_alu instid0(VALU_DEP_1) | instskip(SKIP_3) | instid1(VALU_DEP_3)
	v_lshlrev_b64_e32 v[13:14], 2, v[11:12]
	v_add_co_u32 v11, vcc_lo, v7, v17
	s_wait_alu 0xfffd
	v_add_co_ci_u32_e64 v12, null, 0, v8, vcc_lo
	v_add_co_u32 v13, vcc_lo, v7, v13
	s_wait_alu 0xfffd
	v_add_co_ci_u32_e64 v14, null, v8, v14, vcc_lo
	s_branch .LBB50_21
.LBB50_20:                              ;   in Loop: Header=BB50_21 Depth=2
	s_or_b32 exec_lo, exec_lo, s35
	s_wait_alu 0xfffe
	v_add_co_u32 v11, vcc_lo, v11, s10
	s_wait_alu 0xfffd
	v_add_co_ci_u32_e64 v12, null, s11, v12, vcc_lo
	s_add_nc_u64 s[14:15], s[14:15], 1
	s_wait_alu 0xfffe
	s_cmp_eq_u64 s[26:27], s[14:15]
	s_cbranch_scc1 .LBB50_25
.LBB50_21:                              ;   Parent Loop BB50_4 Depth=1
                                        ; =>  This Inner Loop Header: Depth=2
	s_mov_b32 s35, exec_lo
	s_barrier_signal -1
	s_barrier_wait -1
	global_inv scope:SCOPE_SE
	s_wait_alu 0xfffe
	v_cmpx_eq_u64_e64 s[14:15], v[1:2]
	s_cbranch_execz .LBB50_23
; %bb.22:                               ;   in Loop: Header=BB50_21 Depth=2
	flat_load_b32 v19, v[13:14]
	s_wait_loadcnt_dscnt 0x0
	v_div_scale_f32 v20, null, v19, v19, 1.0
	s_delay_alu instid0(VALU_DEP_1) | instskip(NEXT) | instid1(TRANS32_DEP_1)
	v_rcp_f32_e32 v21, v20
	v_fma_f32 v22, -v20, v21, 1.0
	s_delay_alu instid0(VALU_DEP_1) | instskip(SKIP_1) | instid1(VALU_DEP_1)
	v_fmac_f32_e32 v21, v22, v21
	v_div_scale_f32 v22, vcc_lo, 1.0, v19, 1.0
	v_mul_f32_e32 v23, v22, v21
	s_delay_alu instid0(VALU_DEP_1) | instskip(NEXT) | instid1(VALU_DEP_1)
	v_fma_f32 v24, -v20, v23, v22
	v_fmac_f32_e32 v23, v24, v21
	s_delay_alu instid0(VALU_DEP_1) | instskip(SKIP_1) | instid1(VALU_DEP_1)
	v_fma_f32 v20, -v20, v23, v22
	s_wait_alu 0xfffd
	v_div_fmas_f32 v20, v20, v21, v23
	s_delay_alu instid0(VALU_DEP_1) | instskip(NEXT) | instid1(VALU_DEP_1)
	v_div_fixup_f32 v20, v20, v19, 1.0
	v_cndmask_b32_e64 v19, v20, v19, s0
	s_delay_alu instid0(VALU_DEP_1)
	v_mul_f32_e32 v18, v18, v19
	ds_store_b32 v15, v18
.LBB50_23:                              ;   in Loop: Header=BB50_21 Depth=2
	s_or_b32 exec_lo, exec_lo, s35
	s_delay_alu instid0(SALU_CYCLE_1)
	s_mov_b32 s35, exec_lo
	s_wait_loadcnt_dscnt 0x0
	s_barrier_signal -1
	s_barrier_wait -1
	global_inv scope:SCOPE_SE
	v_cmpx_lt_u64_e64 s[14:15], v[1:2]
	s_cbranch_execz .LBB50_20
; %bb.24:                               ;   in Loop: Header=BB50_21 Depth=2
	flat_load_b32 v19, v[11:12]
	ds_load_b32 v20, v15
	s_wait_loadcnt_dscnt 0x0
	v_fma_f32 v18, -v19, v20, v18
	s_branch .LBB50_20
.LBB50_25:                              ;   in Loop: Header=BB50_4 Depth=1
	s_and_saveexec_b32 s10, s1
	s_cbranch_execz .LBB50_2
; %bb.26:                               ;   in Loop: Header=BB50_4 Depth=1
	v_mad_co_u64_u32 v[11:12], null, v1, s22, v[1:2]
	s_delay_alu instid0(VALU_DEP_1) | instskip(NEXT) | instid1(VALU_DEP_1)
	v_mad_co_u64_u32 v[12:13], null, v1, s23, v[12:13]
	v_lshlrev_b64_e32 v[11:12], 2, v[11:12]
	s_delay_alu instid0(VALU_DEP_1) | instskip(SKIP_1) | instid1(VALU_DEP_2)
	v_add_co_u32 v7, vcc_lo, v7, v11
	s_wait_alu 0xfffd
	v_add_co_ci_u32_e64 v8, null, v8, v12, vcc_lo
	flat_load_b32 v7, v[7:8]
	s_wait_loadcnt_dscnt 0x0
	v_div_scale_f32 v8, null, v7, v7, 1.0
	s_delay_alu instid0(VALU_DEP_1) | instskip(NEXT) | instid1(TRANS32_DEP_1)
	v_rcp_f32_e32 v11, v8
	v_fma_f32 v12, -v8, v11, 1.0
	s_delay_alu instid0(VALU_DEP_1) | instskip(SKIP_1) | instid1(VALU_DEP_1)
	v_fmac_f32_e32 v11, v12, v11
	v_div_scale_f32 v12, vcc_lo, 1.0, v7, 1.0
	v_mul_f32_e32 v13, v12, v11
	s_delay_alu instid0(VALU_DEP_1) | instskip(NEXT) | instid1(VALU_DEP_1)
	v_fma_f32 v14, -v8, v13, v12
	v_fmac_f32_e32 v13, v14, v11
	s_delay_alu instid0(VALU_DEP_1) | instskip(SKIP_1) | instid1(VALU_DEP_1)
	v_fma_f32 v8, -v8, v13, v12
	s_wait_alu 0xfffd
	v_div_fmas_f32 v8, v8, v11, v13
	s_delay_alu instid0(VALU_DEP_1) | instskip(NEXT) | instid1(VALU_DEP_1)
	v_div_fixup_f32 v8, v8, v7, 1.0
	v_cndmask_b32_e64 v7, v8, v7, s0
	s_delay_alu instid0(VALU_DEP_1)
	v_mul_f32_e32 v18, v18, v7
	s_branch .LBB50_2
.LBB50_27:
	s_endpgm
	.section	.rodata,"a",@progbits
	.p2align	6, 0x0
	.amdhsa_kernel _ZL39rocblas_trsm_block_forward_substitutionIffPKPKfPKPfLb0ELb1ELb0EEv18rocblas_operation_llT0_T1_lllT2_lllib
		.amdhsa_group_segment_fixed_size 0
		.amdhsa_private_segment_fixed_size 0
		.amdhsa_kernarg_size 360
		.amdhsa_user_sgpr_count 2
		.amdhsa_user_sgpr_dispatch_ptr 0
		.amdhsa_user_sgpr_queue_ptr 0
		.amdhsa_user_sgpr_kernarg_segment_ptr 1
		.amdhsa_user_sgpr_dispatch_id 0
		.amdhsa_user_sgpr_private_segment_size 0
		.amdhsa_wavefront_size32 1
		.amdhsa_uses_dynamic_stack 0
		.amdhsa_enable_private_segment 0
		.amdhsa_system_sgpr_workgroup_id_x 1
		.amdhsa_system_sgpr_workgroup_id_y 1
		.amdhsa_system_sgpr_workgroup_id_z 1
		.amdhsa_system_sgpr_workgroup_info 0
		.amdhsa_system_vgpr_workitem_id 1
		.amdhsa_next_free_vgpr 25
		.amdhsa_next_free_sgpr 36
		.amdhsa_reserve_vcc 1
		.amdhsa_float_round_mode_32 0
		.amdhsa_float_round_mode_16_64 0
		.amdhsa_float_denorm_mode_32 3
		.amdhsa_float_denorm_mode_16_64 3
		.amdhsa_fp16_overflow 0
		.amdhsa_workgroup_processor_mode 1
		.amdhsa_memory_ordered 1
		.amdhsa_forward_progress 1
		.amdhsa_inst_pref_size 14
		.amdhsa_round_robin_scheduling 0
		.amdhsa_exception_fp_ieee_invalid_op 0
		.amdhsa_exception_fp_denorm_src 0
		.amdhsa_exception_fp_ieee_div_zero 0
		.amdhsa_exception_fp_ieee_overflow 0
		.amdhsa_exception_fp_ieee_underflow 0
		.amdhsa_exception_fp_ieee_inexact 0
		.amdhsa_exception_int_div_zero 0
	.end_amdhsa_kernel
	.section	.text._ZL39rocblas_trsm_block_forward_substitutionIffPKPKfPKPfLb0ELb1ELb0EEv18rocblas_operation_llT0_T1_lllT2_lllib,"axG",@progbits,_ZL39rocblas_trsm_block_forward_substitutionIffPKPKfPKPfLb0ELb1ELb0EEv18rocblas_operation_llT0_T1_lllT2_lllib,comdat
.Lfunc_end50:
	.size	_ZL39rocblas_trsm_block_forward_substitutionIffPKPKfPKPfLb0ELb1ELb0EEv18rocblas_operation_llT0_T1_lllT2_lllib, .Lfunc_end50-_ZL39rocblas_trsm_block_forward_substitutionIffPKPKfPKPfLb0ELb1ELb0EEv18rocblas_operation_llT0_T1_lllT2_lllib
                                        ; -- End function
	.set _ZL39rocblas_trsm_block_forward_substitutionIffPKPKfPKPfLb0ELb1ELb0EEv18rocblas_operation_llT0_T1_lllT2_lllib.num_vgpr, 25
	.set _ZL39rocblas_trsm_block_forward_substitutionIffPKPKfPKPfLb0ELb1ELb0EEv18rocblas_operation_llT0_T1_lllT2_lllib.num_agpr, 0
	.set _ZL39rocblas_trsm_block_forward_substitutionIffPKPKfPKPfLb0ELb1ELb0EEv18rocblas_operation_llT0_T1_lllT2_lllib.numbered_sgpr, 36
	.set _ZL39rocblas_trsm_block_forward_substitutionIffPKPKfPKPfLb0ELb1ELb0EEv18rocblas_operation_llT0_T1_lllT2_lllib.num_named_barrier, 0
	.set _ZL39rocblas_trsm_block_forward_substitutionIffPKPKfPKPfLb0ELb1ELb0EEv18rocblas_operation_llT0_T1_lllT2_lllib.private_seg_size, 0
	.set _ZL39rocblas_trsm_block_forward_substitutionIffPKPKfPKPfLb0ELb1ELb0EEv18rocblas_operation_llT0_T1_lllT2_lllib.uses_vcc, 1
	.set _ZL39rocblas_trsm_block_forward_substitutionIffPKPKfPKPfLb0ELb1ELb0EEv18rocblas_operation_llT0_T1_lllT2_lllib.uses_flat_scratch, 0
	.set _ZL39rocblas_trsm_block_forward_substitutionIffPKPKfPKPfLb0ELb1ELb0EEv18rocblas_operation_llT0_T1_lllT2_lllib.has_dyn_sized_stack, 0
	.set _ZL39rocblas_trsm_block_forward_substitutionIffPKPKfPKPfLb0ELb1ELb0EEv18rocblas_operation_llT0_T1_lllT2_lllib.has_recursion, 0
	.set _ZL39rocblas_trsm_block_forward_substitutionIffPKPKfPKPfLb0ELb1ELb0EEv18rocblas_operation_llT0_T1_lllT2_lllib.has_indirect_call, 0
	.section	.AMDGPU.csdata,"",@progbits
; Kernel info:
; codeLenInByte = 1724
; TotalNumSgprs: 38
; NumVgprs: 25
; ScratchSize: 0
; MemoryBound: 0
; FloatMode: 240
; IeeeMode: 1
; LDSByteSize: 0 bytes/workgroup (compile time only)
; SGPRBlocks: 0
; VGPRBlocks: 3
; NumSGPRsForWavesPerEU: 38
; NumVGPRsForWavesPerEU: 25
; Occupancy: 16
; WaveLimiterHint : 1
; COMPUTE_PGM_RSRC2:SCRATCH_EN: 0
; COMPUTE_PGM_RSRC2:USER_SGPR: 2
; COMPUTE_PGM_RSRC2:TRAP_HANDLER: 0
; COMPUTE_PGM_RSRC2:TGID_X_EN: 1
; COMPUTE_PGM_RSRC2:TGID_Y_EN: 1
; COMPUTE_PGM_RSRC2:TGID_Z_EN: 1
; COMPUTE_PGM_RSRC2:TIDIG_COMP_CNT: 1
	.section	.text._ZL40rocblas_trsm_block_backward_substitutionIffPKPKfPKPfLb0ELb1ELb0EEv18rocblas_operation_llT0_T1_lllT2_lllib,"axG",@progbits,_ZL40rocblas_trsm_block_backward_substitutionIffPKPKfPKPfLb0ELb1ELb0EEv18rocblas_operation_llT0_T1_lllT2_lllib,comdat
	.globl	_ZL40rocblas_trsm_block_backward_substitutionIffPKPKfPKPfLb0ELb1ELb0EEv18rocblas_operation_llT0_T1_lllT2_lllib ; -- Begin function _ZL40rocblas_trsm_block_backward_substitutionIffPKPKfPKPfLb0ELb1ELb0EEv18rocblas_operation_llT0_T1_lllT2_lllib
	.p2align	8
	.type	_ZL40rocblas_trsm_block_backward_substitutionIffPKPKfPKPfLb0ELb1ELb0EEv18rocblas_operation_llT0_T1_lllT2_lllib,@function
_ZL40rocblas_trsm_block_backward_substitutionIffPKPKfPKPfLb0ELb1ELb0EEv18rocblas_operation_llT0_T1_lllT2_lllib: ; @_ZL40rocblas_trsm_block_backward_substitutionIffPKPKfPKPfLb0ELb1ELb0EEv18rocblas_operation_llT0_T1_lllT2_lllib
; %bb.0:
	s_load_b64 s[16:17], s[0:1], 0x60
	s_lshr_b32 s18, ttmp7, 16
	s_wait_kmcnt 0x0
	s_cmp_ge_u32 s18, s16
	s_cbranch_scc1 .LBB51_29
; %bb.1:
	s_clause 0x6
	s_load_u16 s33, s[0:1], 0x76
	s_load_b64 s[20:21], s[0:1], 0x30
	s_load_b64 s[26:27], s[0:1], 0x50
	s_load_b128 s[4:7], s[0:1], 0x20
	s_load_b128 s[8:11], s[0:1], 0x40
	;; [unrolled: 1-line block ×3, first 2 shown]
	s_load_b32 s38, s[0:1], 0x18
	v_bfe_u32 v1, v0, 10, 10
	v_dual_mov_b32 v3, 0 :: v_dual_and_b32 v2, 0x3ff, v0
	s_bitcmp1_b32 s17, 0
	s_mov_b64 s[24:25], src_shared_base
	s_cselect_b32 s2, -1, 0
	s_and_b32 s3, ttmp7, 0xffff
	v_lshlrev_b32_e32 v0, 2, v2
	s_add_nc_u64 s[22:23], s[0:1], 0x68
	v_lshl_add_u32 v16, v1, 2, 0
	v_cmp_eq_u32_e64 s0, 0, v2
	s_mov_b32 s19, 0
	v_lshlrev_b32_e32 v18, 2, v2
	s_wait_kmcnt 0x0
	v_mad_co_u64_u32 v[4:5], null, s3, s33, v[1:2]
	v_mad_co_u64_u32 v[6:7], null, s20, v2, 0
	v_mov_b32_e32 v5, v3
	s_lshl_b32 s3, s33, 2
	v_cmp_le_i64_e64 s17, s[12:13], v[2:3]
	v_cmp_gt_i64_e64 s1, s[12:13], v[2:3]
	v_mad_co_u64_u32 v[8:9], null, s26, v4, 0
	v_cmp_gt_i64_e32 vcc_lo, s[14:15], v[4:5]
	s_wait_alu 0xfffe
	s_add_co_i32 s24, s3, 0
	v_cmp_gt_i64_e64 s39, s[12:13], 0
	v_cmp_gt_i64_e64 s41, s[12:13], 1
	v_add_nc_u32_e32 v17, s24, v0
	s_lshl_b64 s[6:7], s[6:7], 2
	v_mad_co_u64_u32 v[10:11], null, s21, v2, v[7:8]
	s_and_b32 s40, vcc_lo, s1
	s_xor_b32 s42, s17, -1
	s_lshl_b64 s[10:11], s[10:11], 2
	v_mad_co_u64_u32 v[11:12], null, s27, v4, v[9:10]
	v_mov_b32_e32 v7, v10
	s_add_nc_u64 s[26:27], s[12:13], -1
	s_wait_alu 0xfffe
	s_lshl_b64 s[14:15], s[26:27], 2
	s_delay_alu instid0(VALU_DEP_1) | instskip(NEXT) | instid1(VALU_DEP_3)
	v_lshlrev_b64_e32 v[4:5], 2, v[6:7]
	v_mov_b32_e32 v9, v11
	s_delay_alu instid0(VALU_DEP_1)
	v_lshlrev_b64_e32 v[6:7], 2, v[8:9]
	s_branch .LBB51_4
.LBB51_2:                               ;   in Loop: Header=BB51_4 Depth=1
	s_wait_alu 0xfffe
	s_or_b32 exec_lo, exec_lo, s34
	flat_store_b32 v[8:9], v19
.LBB51_3:                               ;   in Loop: Header=BB51_4 Depth=1
	s_wait_alu 0xfffe
	s_or_b32 exec_lo, exec_lo, s3
	s_add_co_i32 s18, s18, 0x10000
	s_delay_alu instid0(SALU_CYCLE_1)
	s_cmp_lt_u32 s18, s16
	s_cbranch_scc0 .LBB51_29
.LBB51_4:                               ; =>This Loop Header: Depth=1
                                        ;     Child Loop BB51_9 Depth 2
                                        ;     Child Loop BB51_23 Depth 2
	s_lshl_b64 s[28:29], s[18:19], 3
	s_wait_alu 0xfffe
	s_add_nc_u64 s[30:31], s[4:5], s[28:29]
	s_add_nc_u64 s[28:29], s[8:9], s[28:29]
	global_load_b64 v[10:11], v3, s[30:31]
	s_wait_loadcnt 0x1
	global_load_b64 v[8:9], v3, s[28:29]
	s_mov_b64 s[28:29], 1
	s_mov_b64 s[30:31], s[20:21]
	s_wait_loadcnt 0x1
	v_add_co_u32 v10, vcc_lo, v10, s6
	s_wait_alu 0xfffd
	v_add_co_ci_u32_e64 v11, null, s7, v11, vcc_lo
	s_and_not1_b32 vcc_lo, exec_lo, s2
	s_wait_alu 0xfffe
	s_cbranch_vccz .LBB51_6
; %bb.5:                                ;   in Loop: Header=BB51_4 Depth=1
	s_and_saveexec_b32 s3, s40
	s_cbranch_execz .LBB51_3
	s_branch .LBB51_20
.LBB51_6:                               ;   in Loop: Header=BB51_4 Depth=1
	s_and_not1_b32 vcc_lo, exec_lo, s39
	s_wait_alu 0xfffe
	s_cbranch_vccnz .LBB51_19
; %bb.7:                                ;   in Loop: Header=BB51_4 Depth=1
	v_add_co_u32 v14, vcc_lo, v10, v4
	s_wait_alu 0xfffd
	v_add_co_ci_u32_e64 v15, null, v11, v5, vcc_lo
	v_mov_b32_e32 v12, v1
	s_delay_alu instid0(VALU_DEP_3) | instskip(SKIP_1) | instid1(VALU_DEP_3)
	v_add_co_u32 v10, vcc_lo, v14, v18
	s_wait_alu 0xfffd
	v_add_co_ci_u32_e64 v11, null, 0, v15, vcc_lo
	s_mov_b32 s28, s33
	s_branch .LBB51_9
.LBB51_8:                               ;   in Loop: Header=BB51_9 Depth=2
	s_wait_alu 0xfffe
	s_or_b32 exec_lo, exec_lo, s29
	s_ashr_i32 s29, s28, 31
	v_add_nc_u32_e32 v12, s33, v12
	s_wait_alu 0xfffe
	v_cmp_le_i64_e64 s3, s[12:13], s[28:29]
	s_add_co_i32 s28, s28, s33
	s_and_b32 vcc_lo, exec_lo, s3
	s_wait_alu 0xfffe
	s_cbranch_vccnz .LBB51_19
.LBB51_9:                               ;   Parent Loop BB51_4 Depth=1
                                        ; =>  This Inner Loop Header: Depth=2
	s_mov_b32 s3, 0
	s_mov_b32 s30, s17
                                        ; implicit-def: $vgpr19
	s_and_saveexec_b32 s29, s1
	s_cbranch_execnz .LBB51_12
; %bb.10:                               ;   in Loop: Header=BB51_9 Depth=2
	s_wait_alu 0xfffe
	s_or_b32 exec_lo, exec_lo, s29
	v_mov_b32_e32 v13, v12
	s_and_saveexec_b32 s29, s30
	s_cbranch_execnz .LBB51_15
.LBB51_11:                              ;   in Loop: Header=BB51_9 Depth=2
	s_wait_alu 0xfffe
	s_or_b32 exec_lo, exec_lo, s29
	s_and_saveexec_b32 s29, s3
	s_cbranch_execz .LBB51_8
	s_branch .LBB51_18
.LBB51_12:                              ;   in Loop: Header=BB51_9 Depth=2
	v_ashrrev_i32_e32 v13, 31, v12
	v_cmp_lt_i32_e64 s3, v2, v12
	s_mov_b32 s30, -1
                                        ; implicit-def: $vgpr19
	v_cmp_gt_i64_e32 vcc_lo, s[12:13], v[12:13]
	s_wait_alu 0xfffe
	s_and_b32 s34, s3, vcc_lo
	s_mov_b32 s3, 0
	s_wait_alu 0xfffe
	s_and_saveexec_b32 s31, s34
	s_cbranch_execz .LBB51_14
; %bb.13:                               ;   in Loop: Header=BB51_9 Depth=2
	s_wait_loadcnt_dscnt 0x0
	v_lshlrev_b64_e32 v[19:20], 2, v[12:13]
	s_mov_b32 s3, exec_lo
	s_xor_b32 s30, exec_lo, -1
	s_delay_alu instid0(VALU_DEP_1) | instskip(SKIP_1) | instid1(VALU_DEP_2)
	v_add_co_u32 v19, vcc_lo, v14, v19
	s_wait_alu 0xfffd
	v_add_co_ci_u32_e64 v20, null, v15, v20, vcc_lo
	flat_load_b32 v19, v[19:20]
.LBB51_14:                              ;   in Loop: Header=BB51_9 Depth=2
	s_wait_alu 0xfffe
	s_or_b32 exec_lo, exec_lo, s31
	s_delay_alu instid0(SALU_CYCLE_1)
	s_and_not1_b32 s31, s17, exec_lo
	s_and_b32 s30, s30, exec_lo
	s_and_b32 s3, s3, exec_lo
	s_wait_alu 0xfffe
	s_or_b32 s30, s31, s30
	s_or_b32 exec_lo, exec_lo, s29
	v_mov_b32_e32 v13, v12
	s_wait_alu 0xfffe
	s_and_saveexec_b32 s29, s30
	s_cbranch_execz .LBB51_11
.LBB51_15:                              ;   in Loop: Header=BB51_9 Depth=2
	v_cmp_eq_u32_e32 vcc_lo, v2, v12
	s_wait_alu 0xfffe
	s_mov_b32 s31, s3
                                        ; implicit-def: $vgpr19
	s_and_b32 s34, s42, vcc_lo
	s_wait_alu 0xfffe
	s_and_saveexec_b32 s30, s34
	s_cbranch_execz .LBB51_17
; %bb.16:                               ;   in Loop: Header=BB51_9 Depth=2
	flat_load_b32 v13, v[10:11]
	s_or_b32 s31, s3, exec_lo
	s_wait_loadcnt_dscnt 0x0
	v_div_scale_f32 v19, null, v13, v13, 1.0
	s_delay_alu instid0(VALU_DEP_1) | instskip(NEXT) | instid1(TRANS32_DEP_1)
	v_rcp_f32_e32 v20, v19
	v_fma_f32 v21, -v19, v20, 1.0
	s_delay_alu instid0(VALU_DEP_1) | instskip(SKIP_1) | instid1(VALU_DEP_1)
	v_fmac_f32_e32 v20, v21, v20
	v_div_scale_f32 v21, vcc_lo, 1.0, v13, 1.0
	v_mul_f32_e32 v22, v21, v20
	s_delay_alu instid0(VALU_DEP_1) | instskip(NEXT) | instid1(VALU_DEP_1)
	v_fma_f32 v23, -v19, v22, v21
	v_fmac_f32_e32 v22, v23, v20
	s_delay_alu instid0(VALU_DEP_1) | instskip(SKIP_1) | instid1(VALU_DEP_1)
	v_fma_f32 v19, -v19, v22, v21
	s_wait_alu 0xfffd
	v_div_fmas_f32 v19, v19, v20, v22
	s_delay_alu instid0(VALU_DEP_1)
	v_div_fixup_f32 v19, v19, v13, 1.0
.LBB51_17:                              ;   in Loop: Header=BB51_9 Depth=2
	s_wait_alu 0xfffe
	s_or_b32 exec_lo, exec_lo, s30
	v_mov_b32_e32 v13, v2
	s_and_not1_b32 s3, s3, exec_lo
	s_and_b32 s30, s31, exec_lo
	s_wait_alu 0xfffe
	s_or_b32 s3, s3, s30
	s_or_b32 exec_lo, exec_lo, s29
	s_wait_alu 0xfffe
	s_and_saveexec_b32 s29, s3
	s_cbranch_execz .LBB51_8
.LBB51_18:                              ;   in Loop: Header=BB51_9 Depth=2
	s_load_b32 s3, s[22:23], 0xc
	s_wait_kmcnt 0x0
	s_and_b32 s3, s3, 0xffff
	s_wait_alu 0xfffe
	v_mul_lo_u32 v13, v13, s3
	s_delay_alu instid0(VALU_DEP_1)
	v_lshl_add_u32 v13, v13, 2, v17
	s_wait_loadcnt_dscnt 0x0
	ds_store_b32 v13, v19
	s_branch .LBB51_8
.LBB51_19:                              ;   in Loop: Header=BB51_4 Depth=1
	s_load_b32 s3, s[22:23], 0xc
	v_dual_mov_b32 v10, s24 :: v_dual_mov_b32 v11, s25
	s_mov_b32 s29, s19
	s_mov_b64 s[30:31], 1
	s_wait_kmcnt 0x0
	s_and_b32 s28, s3, 0xffff
	s_and_saveexec_b32 s3, s40
	s_cbranch_execz .LBB51_3
.LBB51_20:                              ;   in Loop: Header=BB51_4 Depth=1
	s_wait_loadcnt 0x0
	v_add_co_u32 v8, vcc_lo, v8, s10
	s_wait_alu 0xfffd
	v_add_co_ci_u32_e64 v9, null, s11, v9, vcc_lo
	s_delay_alu instid0(VALU_DEP_2) | instskip(SKIP_1) | instid1(VALU_DEP_2)
	v_add_co_u32 v8, vcc_lo, v8, v6
	s_wait_alu 0xfffd
	v_add_co_ci_u32_e64 v9, null, v9, v7, vcc_lo
	s_delay_alu instid0(VALU_DEP_2) | instskip(SKIP_1) | instid1(VALU_DEP_2)
	v_add_co_u32 v8, vcc_lo, v8, v18
	s_wait_alu 0xfffd
	v_add_co_ci_u32_e64 v9, null, 0, v9, vcc_lo
	s_and_not1_b32 vcc_lo, exec_lo, s41
	flat_load_b32 v12, v[8:9]
	s_wait_loadcnt_dscnt 0x0
	v_mul_f32_e32 v19, s38, v12
	s_wait_alu 0xfffe
	s_cbranch_vccnz .LBB51_27
; %bb.21:                               ;   in Loop: Header=BB51_4 Depth=1
	s_add_nc_u64 s[34:35], s[28:29], s[30:31]
	s_mul_u64 s[36:37], s[14:15], s[28:29]
	s_wait_alu 0xfffe
	v_mad_co_u64_u32 v[14:15], null, s34, v2, 0
	v_add_co_u32 v12, vcc_lo, v10, s36
	s_wait_alu 0xfffd
	v_add_co_ci_u32_e64 v13, null, s37, v11, vcc_lo
	s_lshl_b32 s34, s28, 2
	s_mov_b64 s[36:37], s[26:27]
	v_mad_co_u64_u32 v[20:21], null, s35, v2, v[15:16]
	v_mad_co_u64_u32 v[12:13], null, v0, s30, v[12:13]
	s_mov_b32 s35, s19
	s_wait_alu 0xfffe
	s_sub_nc_u64 s[34:35], 0, s[34:35]
	v_mov_b32_e32 v15, v20
	v_mad_co_u64_u32 v[20:21], null, v0, s31, v[13:14]
	s_delay_alu instid0(VALU_DEP_2) | instskip(NEXT) | instid1(VALU_DEP_2)
	v_lshlrev_b64_e32 v[14:15], 2, v[14:15]
	v_mov_b32_e32 v13, v20
	s_delay_alu instid0(VALU_DEP_2) | instskip(SKIP_1) | instid1(VALU_DEP_3)
	v_add_co_u32 v14, vcc_lo, v10, v14
	s_wait_alu 0xfffd
	v_add_co_ci_u32_e64 v15, null, v11, v15, vcc_lo
	s_branch .LBB51_23
.LBB51_22:                              ;   in Loop: Header=BB51_23 Depth=2
	s_or_b32 exec_lo, exec_lo, s43
	s_add_nc_u64 s[44:45], s[36:37], 1
	s_wait_alu 0xfffe
	v_add_co_u32 v12, vcc_lo, v12, s34
	v_cmp_lt_u64_e64 s43, s[44:45], 3
	s_wait_alu 0xfffd
	v_add_co_ci_u32_e64 v13, null, s35, v13, vcc_lo
	s_add_nc_u64 s[36:37], s[36:37], -1
	s_and_b32 vcc_lo, exec_lo, s43
	s_wait_alu 0xfffe
	s_cbranch_vccnz .LBB51_27
.LBB51_23:                              ;   Parent Loop BB51_4 Depth=1
                                        ; =>  This Inner Loop Header: Depth=2
	s_mov_b32 s43, exec_lo
	s_barrier_signal -1
	s_barrier_wait -1
	global_inv scope:SCOPE_SE
	v_cmpx_eq_u64_e64 s[36:37], v[2:3]
	s_cbranch_execz .LBB51_25
; %bb.24:                               ;   in Loop: Header=BB51_23 Depth=2
	flat_load_b32 v20, v[14:15]
	s_wait_loadcnt_dscnt 0x0
	v_div_scale_f32 v21, null, v20, v20, 1.0
	s_delay_alu instid0(VALU_DEP_1) | instskip(NEXT) | instid1(TRANS32_DEP_1)
	v_rcp_f32_e32 v22, v21
	v_fma_f32 v23, -v21, v22, 1.0
	s_delay_alu instid0(VALU_DEP_1) | instskip(SKIP_1) | instid1(VALU_DEP_1)
	v_fmac_f32_e32 v22, v23, v22
	v_div_scale_f32 v23, vcc_lo, 1.0, v20, 1.0
	v_mul_f32_e32 v24, v23, v22
	s_delay_alu instid0(VALU_DEP_1) | instskip(NEXT) | instid1(VALU_DEP_1)
	v_fma_f32 v25, -v21, v24, v23
	v_fmac_f32_e32 v24, v25, v22
	s_delay_alu instid0(VALU_DEP_1) | instskip(SKIP_1) | instid1(VALU_DEP_1)
	v_fma_f32 v21, -v21, v24, v23
	s_wait_alu 0xfffd
	v_div_fmas_f32 v21, v21, v22, v24
	s_delay_alu instid0(VALU_DEP_1) | instskip(NEXT) | instid1(VALU_DEP_1)
	v_div_fixup_f32 v21, v21, v20, 1.0
	v_cndmask_b32_e64 v20, v21, v20, s2
	s_delay_alu instid0(VALU_DEP_1)
	v_mul_f32_e32 v19, v19, v20
	ds_store_b32 v16, v19
.LBB51_25:                              ;   in Loop: Header=BB51_23 Depth=2
	s_or_b32 exec_lo, exec_lo, s43
	s_delay_alu instid0(SALU_CYCLE_1)
	s_mov_b32 s43, exec_lo
	s_wait_loadcnt_dscnt 0x0
	s_barrier_signal -1
	s_barrier_wait -1
	global_inv scope:SCOPE_SE
	v_cmpx_gt_i64_e64 s[36:37], v[2:3]
	s_cbranch_execz .LBB51_22
; %bb.26:                               ;   in Loop: Header=BB51_23 Depth=2
	flat_load_b32 v20, v[12:13]
	ds_load_b32 v21, v16
	s_wait_loadcnt_dscnt 0x0
	v_fma_f32 v19, -v20, v21, v19
	s_branch .LBB51_22
.LBB51_27:                              ;   in Loop: Header=BB51_4 Depth=1
	s_and_saveexec_b32 s34, s0
	s_cbranch_execz .LBB51_2
; %bb.28:                               ;   in Loop: Header=BB51_4 Depth=1
	s_add_nc_u64 s[28:29], s[28:29], s[30:31]
	s_wait_alu 0xfffe
	v_mad_co_u64_u32 v[12:13], null, s28, v2, 0
	s_delay_alu instid0(VALU_DEP_1) | instskip(NEXT) | instid1(VALU_DEP_1)
	v_mad_co_u64_u32 v[13:14], null, s29, v2, v[13:14]
	v_lshlrev_b64_e32 v[12:13], 2, v[12:13]
	s_delay_alu instid0(VALU_DEP_1) | instskip(SKIP_1) | instid1(VALU_DEP_2)
	v_add_co_u32 v10, vcc_lo, v10, v12
	s_wait_alu 0xfffd
	v_add_co_ci_u32_e64 v11, null, v11, v13, vcc_lo
	flat_load_b32 v10, v[10:11]
	s_wait_loadcnt_dscnt 0x0
	v_div_scale_f32 v11, null, v10, v10, 1.0
	s_delay_alu instid0(VALU_DEP_1) | instskip(NEXT) | instid1(TRANS32_DEP_1)
	v_rcp_f32_e32 v12, v11
	v_fma_f32 v13, -v11, v12, 1.0
	s_delay_alu instid0(VALU_DEP_1) | instskip(SKIP_1) | instid1(VALU_DEP_1)
	v_fmac_f32_e32 v12, v13, v12
	v_div_scale_f32 v13, vcc_lo, 1.0, v10, 1.0
	v_mul_f32_e32 v14, v13, v12
	s_delay_alu instid0(VALU_DEP_1) | instskip(NEXT) | instid1(VALU_DEP_1)
	v_fma_f32 v15, -v11, v14, v13
	v_fmac_f32_e32 v14, v15, v12
	s_delay_alu instid0(VALU_DEP_1) | instskip(SKIP_1) | instid1(VALU_DEP_1)
	v_fma_f32 v11, -v11, v14, v13
	s_wait_alu 0xfffd
	v_div_fmas_f32 v11, v11, v12, v14
	s_delay_alu instid0(VALU_DEP_1) | instskip(NEXT) | instid1(VALU_DEP_1)
	v_div_fixup_f32 v11, v11, v10, 1.0
	v_cndmask_b32_e64 v10, v11, v10, s2
	s_delay_alu instid0(VALU_DEP_1)
	v_mul_f32_e32 v19, v19, v10
	s_branch .LBB51_2
.LBB51_29:
	s_endpgm
	.section	.rodata,"a",@progbits
	.p2align	6, 0x0
	.amdhsa_kernel _ZL40rocblas_trsm_block_backward_substitutionIffPKPKfPKPfLb0ELb1ELb0EEv18rocblas_operation_llT0_T1_lllT2_lllib
		.amdhsa_group_segment_fixed_size 0
		.amdhsa_private_segment_fixed_size 0
		.amdhsa_kernarg_size 360
		.amdhsa_user_sgpr_count 2
		.amdhsa_user_sgpr_dispatch_ptr 0
		.amdhsa_user_sgpr_queue_ptr 0
		.amdhsa_user_sgpr_kernarg_segment_ptr 1
		.amdhsa_user_sgpr_dispatch_id 0
		.amdhsa_user_sgpr_private_segment_size 0
		.amdhsa_wavefront_size32 1
		.amdhsa_uses_dynamic_stack 0
		.amdhsa_enable_private_segment 0
		.amdhsa_system_sgpr_workgroup_id_x 1
		.amdhsa_system_sgpr_workgroup_id_y 1
		.amdhsa_system_sgpr_workgroup_id_z 1
		.amdhsa_system_sgpr_workgroup_info 0
		.amdhsa_system_vgpr_workitem_id 1
		.amdhsa_next_free_vgpr 26
		.amdhsa_next_free_sgpr 46
		.amdhsa_reserve_vcc 1
		.amdhsa_float_round_mode_32 0
		.amdhsa_float_round_mode_16_64 0
		.amdhsa_float_denorm_mode_32 3
		.amdhsa_float_denorm_mode_16_64 3
		.amdhsa_fp16_overflow 0
		.amdhsa_workgroup_processor_mode 1
		.amdhsa_memory_ordered 1
		.amdhsa_forward_progress 1
		.amdhsa_inst_pref_size 15
		.amdhsa_round_robin_scheduling 0
		.amdhsa_exception_fp_ieee_invalid_op 0
		.amdhsa_exception_fp_denorm_src 0
		.amdhsa_exception_fp_ieee_div_zero 0
		.amdhsa_exception_fp_ieee_overflow 0
		.amdhsa_exception_fp_ieee_underflow 0
		.amdhsa_exception_fp_ieee_inexact 0
		.amdhsa_exception_int_div_zero 0
	.end_amdhsa_kernel
	.section	.text._ZL40rocblas_trsm_block_backward_substitutionIffPKPKfPKPfLb0ELb1ELb0EEv18rocblas_operation_llT0_T1_lllT2_lllib,"axG",@progbits,_ZL40rocblas_trsm_block_backward_substitutionIffPKPKfPKPfLb0ELb1ELb0EEv18rocblas_operation_llT0_T1_lllT2_lllib,comdat
.Lfunc_end51:
	.size	_ZL40rocblas_trsm_block_backward_substitutionIffPKPKfPKPfLb0ELb1ELb0EEv18rocblas_operation_llT0_T1_lllT2_lllib, .Lfunc_end51-_ZL40rocblas_trsm_block_backward_substitutionIffPKPKfPKPfLb0ELb1ELb0EEv18rocblas_operation_llT0_T1_lllT2_lllib
                                        ; -- End function
	.set _ZL40rocblas_trsm_block_backward_substitutionIffPKPKfPKPfLb0ELb1ELb0EEv18rocblas_operation_llT0_T1_lllT2_lllib.num_vgpr, 26
	.set _ZL40rocblas_trsm_block_backward_substitutionIffPKPKfPKPfLb0ELb1ELb0EEv18rocblas_operation_llT0_T1_lllT2_lllib.num_agpr, 0
	.set _ZL40rocblas_trsm_block_backward_substitutionIffPKPKfPKPfLb0ELb1ELb0EEv18rocblas_operation_llT0_T1_lllT2_lllib.numbered_sgpr, 46
	.set _ZL40rocblas_trsm_block_backward_substitutionIffPKPKfPKPfLb0ELb1ELb0EEv18rocblas_operation_llT0_T1_lllT2_lllib.num_named_barrier, 0
	.set _ZL40rocblas_trsm_block_backward_substitutionIffPKPKfPKPfLb0ELb1ELb0EEv18rocblas_operation_llT0_T1_lllT2_lllib.private_seg_size, 0
	.set _ZL40rocblas_trsm_block_backward_substitutionIffPKPKfPKPfLb0ELb1ELb0EEv18rocblas_operation_llT0_T1_lllT2_lllib.uses_vcc, 1
	.set _ZL40rocblas_trsm_block_backward_substitutionIffPKPKfPKPfLb0ELb1ELb0EEv18rocblas_operation_llT0_T1_lllT2_lllib.uses_flat_scratch, 0
	.set _ZL40rocblas_trsm_block_backward_substitutionIffPKPKfPKPfLb0ELb1ELb0EEv18rocblas_operation_llT0_T1_lllT2_lllib.has_dyn_sized_stack, 0
	.set _ZL40rocblas_trsm_block_backward_substitutionIffPKPKfPKPfLb0ELb1ELb0EEv18rocblas_operation_llT0_T1_lllT2_lllib.has_recursion, 0
	.set _ZL40rocblas_trsm_block_backward_substitutionIffPKPKfPKPfLb0ELb1ELb0EEv18rocblas_operation_llT0_T1_lllT2_lllib.has_indirect_call, 0
	.section	.AMDGPU.csdata,"",@progbits
; Kernel info:
; codeLenInByte = 1816
; TotalNumSgprs: 48
; NumVgprs: 26
; ScratchSize: 0
; MemoryBound: 0
; FloatMode: 240
; IeeeMode: 1
; LDSByteSize: 0 bytes/workgroup (compile time only)
; SGPRBlocks: 0
; VGPRBlocks: 3
; NumSGPRsForWavesPerEU: 48
; NumVGPRsForWavesPerEU: 26
; Occupancy: 16
; WaveLimiterHint : 1
; COMPUTE_PGM_RSRC2:SCRATCH_EN: 0
; COMPUTE_PGM_RSRC2:USER_SGPR: 2
; COMPUTE_PGM_RSRC2:TRAP_HANDLER: 0
; COMPUTE_PGM_RSRC2:TGID_X_EN: 1
; COMPUTE_PGM_RSRC2:TGID_Y_EN: 1
; COMPUTE_PGM_RSRC2:TGID_Z_EN: 1
; COMPUTE_PGM_RSRC2:TIDIG_COMP_CNT: 1
	.section	.text._ZL39rocblas_trsm_block_forward_substitutionIffPKPKfPKPfLb0ELb1ELb1EEv18rocblas_operation_llT0_T1_lllT2_lllib,"axG",@progbits,_ZL39rocblas_trsm_block_forward_substitutionIffPKPKfPKPfLb0ELb1ELb1EEv18rocblas_operation_llT0_T1_lllT2_lllib,comdat
	.globl	_ZL39rocblas_trsm_block_forward_substitutionIffPKPKfPKPfLb0ELb1ELb1EEv18rocblas_operation_llT0_T1_lllT2_lllib ; -- Begin function _ZL39rocblas_trsm_block_forward_substitutionIffPKPKfPKPfLb0ELb1ELb1EEv18rocblas_operation_llT0_T1_lllT2_lllib
	.p2align	8
	.type	_ZL39rocblas_trsm_block_forward_substitutionIffPKPKfPKPfLb0ELb1ELb1EEv18rocblas_operation_llT0_T1_lllT2_lllib,@function
_ZL39rocblas_trsm_block_forward_substitutionIffPKPKfPKPfLb0ELb1ELb1EEv18rocblas_operation_llT0_T1_lllT2_lllib: ; @_ZL39rocblas_trsm_block_forward_substitutionIffPKPKfPKPfLb0ELb1ELb1EEv18rocblas_operation_llT0_T1_lllT2_lllib
; %bb.0:
	s_load_b64 s[2:3], s[0:1], 0x60
	s_lshr_b32 s16, ttmp7, 16
	s_wait_kmcnt 0x0
	s_cmp_ge_u32 s16, s2
	s_cbranch_scc1 .LBB52_19
; %bb.1:
	s_clause 0x2
	s_load_b64 s[24:25], s[0:1], 0x50
	s_load_u16 s28, s[0:1], 0x76
	s_load_b128 s[4:7], s[0:1], 0x40
	v_dual_mov_b32 v2, 0 :: v_dual_and_b32 v1, 0x3ff, v0
	s_clause 0x3
	s_load_b128 s[8:11], s[0:1], 0x8
	s_load_b32 s29, s[0:1], 0x18
	s_load_b128 s[12:15], s[0:1], 0x20
	s_load_b64 s[18:19], s[0:1], 0x30
	v_bfe_u32 v0, v0, 10, 10
	s_bitcmp1_b32 s3, 0
	s_add_nc_u64 s[20:21], s[0:1], 0x68
	s_cselect_b32 s1, -1, 0
	s_and_b32 s0, ttmp7, 0xffff
	s_mov_b64 s[22:23], src_shared_base
	v_lshl_add_u32 v11, v0, 2, 0
	s_mov_b32 s17, 0
	v_lshlrev_b32_e32 v13, 2, v1
	s_wait_kmcnt 0x0
	v_mad_co_u64_u32 v[5:6], null, s24, v1, 0
	v_mad_co_u64_u32 v[7:8], null, s0, s28, v[0:1]
	v_mov_b32_e32 v8, v2
	s_lshl_b32 s3, s28, 2
	v_cmp_gt_i64_e64 s0, s[8:9], v[1:2]
	s_add_co_i32 s22, s3, 0
	v_mov_b32_e32 v3, v6
	v_cmp_gt_i64_e64 s3, s[8:9], 0
	v_cmp_gt_i64_e32 vcc_lo, s[10:11], v[7:8]
	v_cmp_gt_i64_e64 s31, s[8:9], 1
	v_lshl_add_u32 v12, v1, 2, s22
	v_mad_co_u64_u32 v[3:4], null, s25, v1, v[3:4]
	s_add_nc_u64 s[10:11], s[8:9], -1
	s_and_b32 s30, vcc_lo, s0
	s_lshl_b64 s[14:15], s[14:15], 2
	s_lshl_b64 s[6:7], s[6:7], 2
	v_mov_b32_e32 v6, v3
	v_lshlrev_b64_e32 v[3:4], 2, v[7:8]
	s_delay_alu instid0(VALU_DEP_2)
	v_lshlrev_b64_e32 v[5:6], 2, v[5:6]
	s_branch .LBB52_4
.LBB52_2:                               ;   in Loop: Header=BB52_4 Depth=1
	flat_store_b32 v[7:8], v14
.LBB52_3:                               ;   in Loop: Header=BB52_4 Depth=1
	s_or_b32 exec_lo, exec_lo, s33
	s_add_co_i32 s16, s16, 0x10000
	s_delay_alu instid0(SALU_CYCLE_1)
	s_cmp_lt_u32 s16, s2
	s_cbranch_scc0 .LBB52_19
.LBB52_4:                               ; =>This Loop Header: Depth=1
                                        ;     Child Loop BB52_9 Depth 2
                                        ;     Child Loop BB52_15 Depth 2
	s_lshl_b64 s[24:25], s[16:17], 3
	s_wait_alu 0xfffe
	s_add_nc_u64 s[26:27], s[12:13], s[24:25]
	s_add_nc_u64 s[24:25], s[4:5], s[24:25]
	global_load_b64 v[9:10], v2, s[26:27]
	s_wait_loadcnt 0x1
	global_load_b64 v[7:8], v2, s[24:25]
	s_wait_loadcnt 0x1
	v_add_co_u32 v9, vcc_lo, v9, s14
	s_wait_alu 0xfffd
	v_add_co_ci_u32_e64 v10, null, s15, v10, vcc_lo
	s_and_not1_b32 vcc_lo, exec_lo, s1
	s_wait_alu 0xfffe
	s_cbranch_vccz .LBB52_6
; %bb.5:                                ;   in Loop: Header=BB52_4 Depth=1
	s_and_saveexec_b32 s33, s30
	s_cbranch_execz .LBB52_3
	s_branch .LBB52_12
.LBB52_6:                               ;   in Loop: Header=BB52_4 Depth=1
	s_and_not1_b32 vcc_lo, exec_lo, s3
	s_wait_alu 0xfffe
	s_cbranch_vccnz .LBB52_11
; %bb.7:                                ;   in Loop: Header=BB52_4 Depth=1
	v_add_co_u32 v9, vcc_lo, v9, v13
	s_wait_alu 0xfffd
	v_add_co_ci_u32_e64 v10, null, 0, v10, vcc_lo
	s_mov_b32 s24, 0
	s_branch .LBB52_9
.LBB52_8:                               ;   in Loop: Header=BB52_9 Depth=2
	s_wait_alu 0xfffe
	s_or_b32 exec_lo, exec_lo, s25
	s_add_co_i32 s24, s24, s28
	s_wait_alu 0xfffe
	s_ashr_i32 s25, s24, 31
	s_wait_alu 0xfffe
	v_cmp_le_i64_e64 s25, s[8:9], s[24:25]
	s_and_b32 vcc_lo, exec_lo, s25
	s_wait_alu 0xfffe
	s_cbranch_vccnz .LBB52_11
.LBB52_9:                               ;   Parent Loop BB52_4 Depth=1
                                        ; =>  This Inner Loop Header: Depth=2
	s_wait_alu 0xfffe
	v_add_nc_u32_e32 v14, s24, v0
	s_delay_alu instid0(VALU_DEP_1)
	v_cmp_gt_i32_e32 vcc_lo, v1, v14
	s_and_b32 s26, s0, vcc_lo
	s_wait_alu 0xfffe
	s_and_saveexec_b32 s25, s26
	s_cbranch_execz .LBB52_8
; %bb.10:                               ;   in Loop: Header=BB52_9 Depth=2
	v_ashrrev_i32_e32 v17, 31, v14
	v_mul_lo_u32 v18, s19, v14
	v_mad_co_u64_u32 v[15:16], null, s18, v14, 0
	s_load_b32 s26, s[20:21], 0xc
	v_mul_lo_u32 v17, s18, v17
	s_delay_alu instid0(VALU_DEP_1) | instskip(NEXT) | instid1(VALU_DEP_1)
	v_add3_u32 v16, v16, v17, v18
	v_lshlrev_b64_e32 v[15:16], 2, v[15:16]
	s_wait_kmcnt 0x0
	s_and_b32 s26, s26, 0xffff
	s_delay_alu instid0(VALU_DEP_1) | instskip(SKIP_1) | instid1(VALU_DEP_2)
	v_add_co_u32 v15, vcc_lo, v9, v15
	s_wait_alu 0xfffd
	v_add_co_ci_u32_e64 v16, null, v10, v16, vcc_lo
	s_wait_alu 0xfffe
	v_mul_lo_u32 v14, v14, s26
	flat_load_b32 v15, v[15:16]
	v_lshl_add_u32 v14, v14, 2, v12
	s_wait_loadcnt_dscnt 0x0
	ds_store_b32 v14, v15
	s_branch .LBB52_8
.LBB52_11:                              ;   in Loop: Header=BB52_4 Depth=1
	s_load_b32 s18, s[20:21], 0xc
	v_dual_mov_b32 v9, s22 :: v_dual_mov_b32 v10, s23
	s_mov_b32 s19, s17
	s_wait_kmcnt 0x0
	s_and_b32 s18, s18, 0xffff
	s_and_saveexec_b32 s33, s30
	s_cbranch_execz .LBB52_3
.LBB52_12:                              ;   in Loop: Header=BB52_4 Depth=1
	s_wait_loadcnt 0x0
	v_add_co_u32 v7, vcc_lo, v7, s6
	s_wait_alu 0xfffd
	v_add_co_ci_u32_e64 v8, null, s7, v8, vcc_lo
	s_delay_alu instid0(VALU_DEP_2) | instskip(SKIP_1) | instid1(VALU_DEP_2)
	v_add_co_u32 v7, vcc_lo, v7, v5
	s_wait_alu 0xfffd
	v_add_co_ci_u32_e64 v8, null, v8, v6, vcc_lo
	s_delay_alu instid0(VALU_DEP_2) | instskip(SKIP_1) | instid1(VALU_DEP_2)
	v_add_co_u32 v7, vcc_lo, v7, v3
	s_wait_alu 0xfffd
	v_add_co_ci_u32_e64 v8, null, v8, v4, vcc_lo
	s_and_not1_b32 vcc_lo, exec_lo, s31
	flat_load_b32 v14, v[7:8]
	s_wait_loadcnt_dscnt 0x0
	v_mul_f32_e32 v14, s29, v14
	s_wait_alu 0xfffe
	s_cbranch_vccnz .LBB52_2
; %bb.13:                               ;   in Loop: Header=BB52_4 Depth=1
	v_add_co_u32 v9, vcc_lo, v9, v13
	s_wait_alu 0xfffd
	v_add_co_ci_u32_e64 v10, null, 0, v10, vcc_lo
	s_lshl_b64 s[24:25], s[18:19], 2
	s_mov_b64 s[26:27], 0
	s_branch .LBB52_15
.LBB52_14:                              ;   in Loop: Header=BB52_15 Depth=2
	s_or_b32 exec_lo, exec_lo, s34
	v_add_co_u32 v9, vcc_lo, v9, s24
	s_wait_alu 0xfffd
	v_add_co_ci_u32_e64 v10, null, s25, v10, vcc_lo
	s_add_nc_u64 s[26:27], s[26:27], 1
	s_wait_alu 0xfffe
	s_cmp_eq_u64 s[10:11], s[26:27]
	s_cbranch_scc1 .LBB52_2
.LBB52_15:                              ;   Parent Loop BB52_4 Depth=1
                                        ; =>  This Inner Loop Header: Depth=2
	s_mov_b32 s34, exec_lo
	s_barrier_signal -1
	s_barrier_wait -1
	global_inv scope:SCOPE_SE
	s_wait_alu 0xfffe
	v_cmpx_eq_u64_e64 s[26:27], v[1:2]
; %bb.16:                               ;   in Loop: Header=BB52_15 Depth=2
	ds_store_b32 v11, v14
; %bb.17:                               ;   in Loop: Header=BB52_15 Depth=2
	s_or_b32 exec_lo, exec_lo, s34
	s_delay_alu instid0(SALU_CYCLE_1)
	s_mov_b32 s34, exec_lo
	s_wait_loadcnt_dscnt 0x0
	s_barrier_signal -1
	s_barrier_wait -1
	global_inv scope:SCOPE_SE
	v_cmpx_lt_u64_e64 s[26:27], v[1:2]
	s_cbranch_execz .LBB52_14
; %bb.18:                               ;   in Loop: Header=BB52_15 Depth=2
	flat_load_b32 v15, v[9:10]
	ds_load_b32 v16, v11
	s_wait_loadcnt_dscnt 0x0
	v_fma_f32 v14, -v15, v16, v14
	s_branch .LBB52_14
.LBB52_19:
	s_endpgm
	.section	.rodata,"a",@progbits
	.p2align	6, 0x0
	.amdhsa_kernel _ZL39rocblas_trsm_block_forward_substitutionIffPKPKfPKPfLb0ELb1ELb1EEv18rocblas_operation_llT0_T1_lllT2_lllib
		.amdhsa_group_segment_fixed_size 0
		.amdhsa_private_segment_fixed_size 0
		.amdhsa_kernarg_size 360
		.amdhsa_user_sgpr_count 2
		.amdhsa_user_sgpr_dispatch_ptr 0
		.amdhsa_user_sgpr_queue_ptr 0
		.amdhsa_user_sgpr_kernarg_segment_ptr 1
		.amdhsa_user_sgpr_dispatch_id 0
		.amdhsa_user_sgpr_private_segment_size 0
		.amdhsa_wavefront_size32 1
		.amdhsa_uses_dynamic_stack 0
		.amdhsa_enable_private_segment 0
		.amdhsa_system_sgpr_workgroup_id_x 1
		.amdhsa_system_sgpr_workgroup_id_y 1
		.amdhsa_system_sgpr_workgroup_id_z 1
		.amdhsa_system_sgpr_workgroup_info 0
		.amdhsa_system_vgpr_workitem_id 1
		.amdhsa_next_free_vgpr 19
		.amdhsa_next_free_sgpr 35
		.amdhsa_reserve_vcc 1
		.amdhsa_float_round_mode_32 0
		.amdhsa_float_round_mode_16_64 0
		.amdhsa_float_denorm_mode_32 3
		.amdhsa_float_denorm_mode_16_64 3
		.amdhsa_fp16_overflow 0
		.amdhsa_workgroup_processor_mode 1
		.amdhsa_memory_ordered 1
		.amdhsa_forward_progress 1
		.amdhsa_inst_pref_size 8
		.amdhsa_round_robin_scheduling 0
		.amdhsa_exception_fp_ieee_invalid_op 0
		.amdhsa_exception_fp_denorm_src 0
		.amdhsa_exception_fp_ieee_div_zero 0
		.amdhsa_exception_fp_ieee_overflow 0
		.amdhsa_exception_fp_ieee_underflow 0
		.amdhsa_exception_fp_ieee_inexact 0
		.amdhsa_exception_int_div_zero 0
	.end_amdhsa_kernel
	.section	.text._ZL39rocblas_trsm_block_forward_substitutionIffPKPKfPKPfLb0ELb1ELb1EEv18rocblas_operation_llT0_T1_lllT2_lllib,"axG",@progbits,_ZL39rocblas_trsm_block_forward_substitutionIffPKPKfPKPfLb0ELb1ELb1EEv18rocblas_operation_llT0_T1_lllT2_lllib,comdat
.Lfunc_end52:
	.size	_ZL39rocblas_trsm_block_forward_substitutionIffPKPKfPKPfLb0ELb1ELb1EEv18rocblas_operation_llT0_T1_lllT2_lllib, .Lfunc_end52-_ZL39rocblas_trsm_block_forward_substitutionIffPKPKfPKPfLb0ELb1ELb1EEv18rocblas_operation_llT0_T1_lllT2_lllib
                                        ; -- End function
	.set _ZL39rocblas_trsm_block_forward_substitutionIffPKPKfPKPfLb0ELb1ELb1EEv18rocblas_operation_llT0_T1_lllT2_lllib.num_vgpr, 19
	.set _ZL39rocblas_trsm_block_forward_substitutionIffPKPKfPKPfLb0ELb1ELb1EEv18rocblas_operation_llT0_T1_lllT2_lllib.num_agpr, 0
	.set _ZL39rocblas_trsm_block_forward_substitutionIffPKPKfPKPfLb0ELb1ELb1EEv18rocblas_operation_llT0_T1_lllT2_lllib.numbered_sgpr, 35
	.set _ZL39rocblas_trsm_block_forward_substitutionIffPKPKfPKPfLb0ELb1ELb1EEv18rocblas_operation_llT0_T1_lllT2_lllib.num_named_barrier, 0
	.set _ZL39rocblas_trsm_block_forward_substitutionIffPKPKfPKPfLb0ELb1ELb1EEv18rocblas_operation_llT0_T1_lllT2_lllib.private_seg_size, 0
	.set _ZL39rocblas_trsm_block_forward_substitutionIffPKPKfPKPfLb0ELb1ELb1EEv18rocblas_operation_llT0_T1_lllT2_lllib.uses_vcc, 1
	.set _ZL39rocblas_trsm_block_forward_substitutionIffPKPKfPKPfLb0ELb1ELb1EEv18rocblas_operation_llT0_T1_lllT2_lllib.uses_flat_scratch, 0
	.set _ZL39rocblas_trsm_block_forward_substitutionIffPKPKfPKPfLb0ELb1ELb1EEv18rocblas_operation_llT0_T1_lllT2_lllib.has_dyn_sized_stack, 0
	.set _ZL39rocblas_trsm_block_forward_substitutionIffPKPKfPKPfLb0ELb1ELb1EEv18rocblas_operation_llT0_T1_lllT2_lllib.has_recursion, 0
	.set _ZL39rocblas_trsm_block_forward_substitutionIffPKPKfPKPfLb0ELb1ELb1EEv18rocblas_operation_llT0_T1_lllT2_lllib.has_indirect_call, 0
	.section	.AMDGPU.csdata,"",@progbits
; Kernel info:
; codeLenInByte = 996
; TotalNumSgprs: 37
; NumVgprs: 19
; ScratchSize: 0
; MemoryBound: 0
; FloatMode: 240
; IeeeMode: 1
; LDSByteSize: 0 bytes/workgroup (compile time only)
; SGPRBlocks: 0
; VGPRBlocks: 2
; NumSGPRsForWavesPerEU: 37
; NumVGPRsForWavesPerEU: 19
; Occupancy: 16
; WaveLimiterHint : 1
; COMPUTE_PGM_RSRC2:SCRATCH_EN: 0
; COMPUTE_PGM_RSRC2:USER_SGPR: 2
; COMPUTE_PGM_RSRC2:TRAP_HANDLER: 0
; COMPUTE_PGM_RSRC2:TGID_X_EN: 1
; COMPUTE_PGM_RSRC2:TGID_Y_EN: 1
; COMPUTE_PGM_RSRC2:TGID_Z_EN: 1
; COMPUTE_PGM_RSRC2:TIDIG_COMP_CNT: 1
	.section	.text._ZL40rocblas_trsm_block_backward_substitutionIffPKPKfPKPfLb0ELb1ELb1EEv18rocblas_operation_llT0_T1_lllT2_lllib,"axG",@progbits,_ZL40rocblas_trsm_block_backward_substitutionIffPKPKfPKPfLb0ELb1ELb1EEv18rocblas_operation_llT0_T1_lllT2_lllib,comdat
	.globl	_ZL40rocblas_trsm_block_backward_substitutionIffPKPKfPKPfLb0ELb1ELb1EEv18rocblas_operation_llT0_T1_lllT2_lllib ; -- Begin function _ZL40rocblas_trsm_block_backward_substitutionIffPKPKfPKPfLb0ELb1ELb1EEv18rocblas_operation_llT0_T1_lllT2_lllib
	.p2align	8
	.type	_ZL40rocblas_trsm_block_backward_substitutionIffPKPKfPKPfLb0ELb1ELb1EEv18rocblas_operation_llT0_T1_lllT2_lllib,@function
_ZL40rocblas_trsm_block_backward_substitutionIffPKPKfPKPfLb0ELb1ELb1EEv18rocblas_operation_llT0_T1_lllT2_lllib: ; @_ZL40rocblas_trsm_block_backward_substitutionIffPKPKfPKPfLb0ELb1ELb1EEv18rocblas_operation_llT0_T1_lllT2_lllib
; %bb.0:
	s_load_b64 s[2:3], s[0:1], 0x60
	s_lshr_b32 s16, ttmp7, 16
	s_wait_kmcnt 0x0
	s_cmp_ge_u32 s16, s2
	s_cbranch_scc1 .LBB53_19
; %bb.1:
	s_clause 0x2
	s_load_u16 s30, s[0:1], 0x76
	s_load_b64 s[18:19], s[0:1], 0x30
	s_load_b64 s[24:25], s[0:1], 0x50
	v_bfe_u32 v1, v0, 10, 10
	s_bitcmp1_b32 s3, 0
	s_load_b128 s[4:7], s[0:1], 0x20
	s_cselect_b32 s3, -1, 0
	s_and_b32 s8, ttmp7, 0xffff
	s_add_nc_u64 s[20:21], s[0:1], 0x68
	s_mov_b64 s[22:23], src_shared_base
	v_lshl_add_u32 v12, v1, 2, 0
	s_mov_b32 s17, 0
	v_mov_b32_e32 v3, 0
	s_wait_kmcnt 0x0
	v_mad_co_u64_u32 v[4:5], null, s8, s30, v[1:2]
	v_and_b32_e32 v2, 0x3ff, v0
	s_clause 0x2
	s_load_b128 s[8:11], s[0:1], 0x40
	s_load_b128 s[12:15], s[0:1], 0x8
	s_load_b32 s31, s[0:1], 0x18
	s_lshl_b32 s1, s30, 2
	s_lshl_b64 s[6:7], s[6:7], 2
	s_add_co_i32 s22, s1, 0
	v_mad_co_u64_u32 v[6:7], null, s18, v2, 0
	v_mad_co_u64_u32 v[8:9], null, s24, v4, 0
	v_lshlrev_b32_e32 v0, 2, v2
	s_delay_alu instid0(VALU_DEP_3) | instskip(NEXT) | instid1(VALU_DEP_2)
	v_dual_mov_b32 v5, v7 :: v_dual_lshlrev_b32 v14, 2, v2
	v_add_nc_u32_e32 v13, s22, v0
	s_delay_alu instid0(VALU_DEP_4) | instskip(NEXT) | instid1(VALU_DEP_3)
	v_mov_b32_e32 v7, v9
	v_mad_co_u64_u32 v[9:10], null, s19, v2, v[5:6]
	s_delay_alu instid0(VALU_DEP_2)
	v_mad_co_u64_u32 v[10:11], null, s25, v4, v[7:8]
	v_mov_b32_e32 v5, v3
	s_wait_kmcnt 0x0
	v_cmp_gt_i64_e64 s0, s[12:13], v[2:3]
	v_cmp_gt_i64_e64 s33, s[12:13], 0
	;; [unrolled: 1-line block ×3, first 2 shown]
	v_mov_b32_e32 v7, v9
	v_cmp_gt_i64_e32 vcc_lo, s[14:15], v[4:5]
	v_mov_b32_e32 v9, v10
	s_add_nc_u64 s[24:25], s[12:13], -1
	s_lshl_b64 s[10:11], s[10:11], 2
	v_lshlrev_b64_e32 v[4:5], 2, v[6:7]
	s_wait_alu 0xfffe
	s_lshl_b64 s[14:15], s[24:25], 2
	v_lshlrev_b64_e32 v[6:7], 2, v[8:9]
	s_and_b32 s34, vcc_lo, s0
	s_branch .LBB53_4
.LBB53_2:                               ;   in Loop: Header=BB53_4 Depth=1
	flat_store_b32 v[8:9], v15
.LBB53_3:                               ;   in Loop: Header=BB53_4 Depth=1
	s_or_b32 exec_lo, exec_lo, s1
	s_add_co_i32 s16, s16, 0x10000
	s_delay_alu instid0(SALU_CYCLE_1)
	s_cmp_lt_u32 s16, s2
	s_cbranch_scc0 .LBB53_19
.LBB53_4:                               ; =>This Loop Header: Depth=1
                                        ;     Child Loop BB53_9 Depth 2
                                        ;     Child Loop BB53_15 Depth 2
	s_lshl_b64 s[26:27], s[16:17], 3
	s_wait_alu 0xfffe
	s_add_nc_u64 s[28:29], s[4:5], s[26:27]
	s_add_nc_u64 s[26:27], s[8:9], s[26:27]
	global_load_b64 v[10:11], v3, s[28:29]
	s_wait_loadcnt 0x1
	global_load_b64 v[8:9], v3, s[26:27]
	s_mov_b64 s[26:27], 1
	s_mov_b64 s[28:29], s[18:19]
	s_wait_loadcnt 0x1
	v_add_co_u32 v10, vcc_lo, v10, s6
	s_wait_alu 0xfffd
	v_add_co_ci_u32_e64 v11, null, s7, v11, vcc_lo
	s_and_not1_b32 vcc_lo, exec_lo, s3
	s_wait_alu 0xfffe
	s_cbranch_vccz .LBB53_6
; %bb.5:                                ;   in Loop: Header=BB53_4 Depth=1
	s_and_saveexec_b32 s1, s34
	s_cbranch_execz .LBB53_3
	s_branch .LBB53_12
.LBB53_6:                               ;   in Loop: Header=BB53_4 Depth=1
	s_and_not1_b32 vcc_lo, exec_lo, s33
	s_wait_alu 0xfffe
	s_cbranch_vccnz .LBB53_11
; %bb.7:                                ;   in Loop: Header=BB53_4 Depth=1
	v_add_co_u32 v15, vcc_lo, v10, v4
	s_wait_alu 0xfffd
	v_add_co_ci_u32_e64 v16, null, v11, v5, vcc_lo
	s_mov_b32 s26, 0
	s_branch .LBB53_9
.LBB53_8:                               ;   in Loop: Header=BB53_9 Depth=2
	s_or_b32 exec_lo, exec_lo, s1
	s_add_co_i32 s26, s26, s30
	s_wait_alu 0xfffe
	s_ashr_i32 s27, s26, 31
	s_wait_alu 0xfffe
	v_cmp_le_i64_e64 s1, s[12:13], s[26:27]
	s_and_b32 vcc_lo, exec_lo, s1
	s_wait_alu 0xfffe
	s_cbranch_vccnz .LBB53_11
.LBB53_9:                               ;   Parent Loop BB53_4 Depth=1
                                        ; =>  This Inner Loop Header: Depth=2
	s_wait_alu 0xfffe
	v_add_nc_u32_e32 v10, s26, v1
	s_delay_alu instid0(VALU_DEP_1) | instskip(SKIP_1) | instid1(VALU_DEP_2)
	v_ashrrev_i32_e32 v11, 31, v10
	v_cmp_lt_i32_e64 s1, v2, v10
	v_cmp_gt_i64_e32 vcc_lo, s[12:13], v[10:11]
	s_and_b32 s1, s1, vcc_lo
	s_delay_alu instid0(SALU_CYCLE_1)
	s_and_b32 s27, s0, s1
	s_wait_alu 0xfffe
	s_and_saveexec_b32 s1, s27
	s_cbranch_execz .LBB53_8
; %bb.10:                               ;   in Loop: Header=BB53_9 Depth=2
	v_lshlrev_b64_e32 v[17:18], 2, v[10:11]
	s_load_b32 s27, s[20:21], 0xc
	s_delay_alu instid0(VALU_DEP_1) | instskip(SKIP_1) | instid1(VALU_DEP_2)
	v_add_co_u32 v17, vcc_lo, v15, v17
	s_wait_alu 0xfffd
	v_add_co_ci_u32_e64 v18, null, v16, v18, vcc_lo
	flat_load_b32 v11, v[17:18]
	s_wait_kmcnt 0x0
	s_and_b32 s27, s27, 0xffff
	s_wait_alu 0xfffe
	v_mul_lo_u32 v10, v10, s27
	s_delay_alu instid0(VALU_DEP_1)
	v_lshl_add_u32 v10, v10, 2, v13
	s_wait_loadcnt_dscnt 0x0
	ds_store_b32 v10, v11
	s_branch .LBB53_8
.LBB53_11:                              ;   in Loop: Header=BB53_4 Depth=1
	s_load_b32 s1, s[20:21], 0xc
	v_dual_mov_b32 v10, s22 :: v_dual_mov_b32 v11, s23
	s_mov_b32 s27, s17
	s_mov_b64 s[28:29], 1
	s_wait_kmcnt 0x0
	s_and_b32 s26, s1, 0xffff
	s_and_saveexec_b32 s1, s34
	s_cbranch_execz .LBB53_3
.LBB53_12:                              ;   in Loop: Header=BB53_4 Depth=1
	s_wait_loadcnt 0x0
	v_add_co_u32 v8, vcc_lo, v8, s10
	s_wait_alu 0xfffd
	v_add_co_ci_u32_e64 v9, null, s11, v9, vcc_lo
	s_delay_alu instid0(VALU_DEP_2) | instskip(SKIP_1) | instid1(VALU_DEP_2)
	v_add_co_u32 v8, vcc_lo, v8, v6
	s_wait_alu 0xfffd
	v_add_co_ci_u32_e64 v9, null, v9, v7, vcc_lo
	s_delay_alu instid0(VALU_DEP_2) | instskip(SKIP_1) | instid1(VALU_DEP_2)
	v_add_co_u32 v8, vcc_lo, v8, v14
	s_wait_alu 0xfffd
	v_add_co_ci_u32_e64 v9, null, 0, v9, vcc_lo
	s_and_not1_b32 vcc_lo, exec_lo, s35
	flat_load_b32 v15, v[8:9]
	s_wait_loadcnt_dscnt 0x0
	v_mul_f32_e32 v15, s31, v15
	s_wait_alu 0xfffe
	s_cbranch_vccnz .LBB53_2
; %bb.13:                               ;   in Loop: Header=BB53_4 Depth=1
	s_mul_u64 s[36:37], s[14:15], s[26:27]
	s_lshl_b32 s26, s26, 2
	s_wait_alu 0xfffe
	v_add_co_u32 v10, vcc_lo, v10, s36
	s_wait_alu 0xfffd
	v_add_co_ci_u32_e64 v11, null, s37, v11, vcc_lo
	s_mov_b32 s27, s17
	s_wait_alu 0xfffe
	s_sub_nc_u64 s[26:27], 0, s[26:27]
	v_mad_co_u64_u32 v[10:11], null, v0, s28, v[10:11]
	s_delay_alu instid0(VALU_DEP_1)
	v_mad_co_u64_u32 v[16:17], null, v0, s29, v[11:12]
	s_mov_b64 s[28:29], s[24:25]
	v_mov_b32_e32 v11, v16
	s_branch .LBB53_15
.LBB53_14:                              ;   in Loop: Header=BB53_15 Depth=2
	s_wait_alu 0xfffe
	s_or_b32 exec_lo, exec_lo, s36
	s_add_nc_u64 s[36:37], s[28:29], 1
	v_add_co_u32 v10, vcc_lo, v10, s26
	s_wait_alu 0xfffe
	v_cmp_lt_u64_e64 s36, s[36:37], 3
	s_wait_alu 0xfffd
	v_add_co_ci_u32_e64 v11, null, s27, v11, vcc_lo
	s_add_nc_u64 s[28:29], s[28:29], -1
	s_and_b32 vcc_lo, exec_lo, s36
	s_wait_alu 0xfffe
	s_cbranch_vccnz .LBB53_2
.LBB53_15:                              ;   Parent Loop BB53_4 Depth=1
                                        ; =>  This Inner Loop Header: Depth=2
	s_mov_b32 s36, exec_lo
	s_barrier_signal -1
	s_barrier_wait -1
	global_inv scope:SCOPE_SE
	s_wait_alu 0xfffe
	v_cmpx_eq_u64_e64 s[28:29], v[2:3]
; %bb.16:                               ;   in Loop: Header=BB53_15 Depth=2
	ds_store_b32 v12, v15
; %bb.17:                               ;   in Loop: Header=BB53_15 Depth=2
	s_or_b32 exec_lo, exec_lo, s36
	s_delay_alu instid0(SALU_CYCLE_1)
	s_mov_b32 s36, exec_lo
	s_wait_loadcnt_dscnt 0x0
	s_barrier_signal -1
	s_barrier_wait -1
	global_inv scope:SCOPE_SE
	v_cmpx_gt_i64_e64 s[28:29], v[2:3]
	s_cbranch_execz .LBB53_14
; %bb.18:                               ;   in Loop: Header=BB53_15 Depth=2
	flat_load_b32 v16, v[10:11]
	ds_load_b32 v17, v12
	s_wait_loadcnt_dscnt 0x0
	v_fma_f32 v15, -v16, v17, v15
	s_branch .LBB53_14
.LBB53_19:
	s_endpgm
	.section	.rodata,"a",@progbits
	.p2align	6, 0x0
	.amdhsa_kernel _ZL40rocblas_trsm_block_backward_substitutionIffPKPKfPKPfLb0ELb1ELb1EEv18rocblas_operation_llT0_T1_lllT2_lllib
		.amdhsa_group_segment_fixed_size 0
		.amdhsa_private_segment_fixed_size 0
		.amdhsa_kernarg_size 360
		.amdhsa_user_sgpr_count 2
		.amdhsa_user_sgpr_dispatch_ptr 0
		.amdhsa_user_sgpr_queue_ptr 0
		.amdhsa_user_sgpr_kernarg_segment_ptr 1
		.amdhsa_user_sgpr_dispatch_id 0
		.amdhsa_user_sgpr_private_segment_size 0
		.amdhsa_wavefront_size32 1
		.amdhsa_uses_dynamic_stack 0
		.amdhsa_enable_private_segment 0
		.amdhsa_system_sgpr_workgroup_id_x 1
		.amdhsa_system_sgpr_workgroup_id_y 1
		.amdhsa_system_sgpr_workgroup_id_z 1
		.amdhsa_system_sgpr_workgroup_info 0
		.amdhsa_system_vgpr_workitem_id 1
		.amdhsa_next_free_vgpr 19
		.amdhsa_next_free_sgpr 38
		.amdhsa_reserve_vcc 1
		.amdhsa_float_round_mode_32 0
		.amdhsa_float_round_mode_16_64 0
		.amdhsa_float_denorm_mode_32 3
		.amdhsa_float_denorm_mode_16_64 3
		.amdhsa_fp16_overflow 0
		.amdhsa_workgroup_processor_mode 1
		.amdhsa_memory_ordered 1
		.amdhsa_forward_progress 1
		.amdhsa_inst_pref_size 9
		.amdhsa_round_robin_scheduling 0
		.amdhsa_exception_fp_ieee_invalid_op 0
		.amdhsa_exception_fp_denorm_src 0
		.amdhsa_exception_fp_ieee_div_zero 0
		.amdhsa_exception_fp_ieee_overflow 0
		.amdhsa_exception_fp_ieee_underflow 0
		.amdhsa_exception_fp_ieee_inexact 0
		.amdhsa_exception_int_div_zero 0
	.end_amdhsa_kernel
	.section	.text._ZL40rocblas_trsm_block_backward_substitutionIffPKPKfPKPfLb0ELb1ELb1EEv18rocblas_operation_llT0_T1_lllT2_lllib,"axG",@progbits,_ZL40rocblas_trsm_block_backward_substitutionIffPKPKfPKPfLb0ELb1ELb1EEv18rocblas_operation_llT0_T1_lllT2_lllib,comdat
.Lfunc_end53:
	.size	_ZL40rocblas_trsm_block_backward_substitutionIffPKPKfPKPfLb0ELb1ELb1EEv18rocblas_operation_llT0_T1_lllT2_lllib, .Lfunc_end53-_ZL40rocblas_trsm_block_backward_substitutionIffPKPKfPKPfLb0ELb1ELb1EEv18rocblas_operation_llT0_T1_lllT2_lllib
                                        ; -- End function
	.set _ZL40rocblas_trsm_block_backward_substitutionIffPKPKfPKPfLb0ELb1ELb1EEv18rocblas_operation_llT0_T1_lllT2_lllib.num_vgpr, 19
	.set _ZL40rocblas_trsm_block_backward_substitutionIffPKPKfPKPfLb0ELb1ELb1EEv18rocblas_operation_llT0_T1_lllT2_lllib.num_agpr, 0
	.set _ZL40rocblas_trsm_block_backward_substitutionIffPKPKfPKPfLb0ELb1ELb1EEv18rocblas_operation_llT0_T1_lllT2_lllib.numbered_sgpr, 38
	.set _ZL40rocblas_trsm_block_backward_substitutionIffPKPKfPKPfLb0ELb1ELb1EEv18rocblas_operation_llT0_T1_lllT2_lllib.num_named_barrier, 0
	.set _ZL40rocblas_trsm_block_backward_substitutionIffPKPKfPKPfLb0ELb1ELb1EEv18rocblas_operation_llT0_T1_lllT2_lllib.private_seg_size, 0
	.set _ZL40rocblas_trsm_block_backward_substitutionIffPKPKfPKPfLb0ELb1ELb1EEv18rocblas_operation_llT0_T1_lllT2_lllib.uses_vcc, 1
	.set _ZL40rocblas_trsm_block_backward_substitutionIffPKPKfPKPfLb0ELb1ELb1EEv18rocblas_operation_llT0_T1_lllT2_lllib.uses_flat_scratch, 0
	.set _ZL40rocblas_trsm_block_backward_substitutionIffPKPKfPKPfLb0ELb1ELb1EEv18rocblas_operation_llT0_T1_lllT2_lllib.has_dyn_sized_stack, 0
	.set _ZL40rocblas_trsm_block_backward_substitutionIffPKPKfPKPfLb0ELb1ELb1EEv18rocblas_operation_llT0_T1_lllT2_lllib.has_recursion, 0
	.set _ZL40rocblas_trsm_block_backward_substitutionIffPKPKfPKPfLb0ELb1ELb1EEv18rocblas_operation_llT0_T1_lllT2_lllib.has_indirect_call, 0
	.section	.AMDGPU.csdata,"",@progbits
; Kernel info:
; codeLenInByte = 1096
; TotalNumSgprs: 40
; NumVgprs: 19
; ScratchSize: 0
; MemoryBound: 0
; FloatMode: 240
; IeeeMode: 1
; LDSByteSize: 0 bytes/workgroup (compile time only)
; SGPRBlocks: 0
; VGPRBlocks: 2
; NumSGPRsForWavesPerEU: 40
; NumVGPRsForWavesPerEU: 19
; Occupancy: 16
; WaveLimiterHint : 1
; COMPUTE_PGM_RSRC2:SCRATCH_EN: 0
; COMPUTE_PGM_RSRC2:USER_SGPR: 2
; COMPUTE_PGM_RSRC2:TRAP_HANDLER: 0
; COMPUTE_PGM_RSRC2:TGID_X_EN: 1
; COMPUTE_PGM_RSRC2:TGID_Y_EN: 1
; COMPUTE_PGM_RSRC2:TGID_Z_EN: 1
; COMPUTE_PGM_RSRC2:TIDIG_COMP_CNT: 1
	.section	.text._ZL39rocblas_trsm_block_forward_substitutionIffPKPKfPKPfLb1ELb1ELb0EEv18rocblas_operation_llT0_T1_lllT2_lllib,"axG",@progbits,_ZL39rocblas_trsm_block_forward_substitutionIffPKPKfPKPfLb1ELb1ELb0EEv18rocblas_operation_llT0_T1_lllT2_lllib,comdat
	.globl	_ZL39rocblas_trsm_block_forward_substitutionIffPKPKfPKPfLb1ELb1ELb0EEv18rocblas_operation_llT0_T1_lllT2_lllib ; -- Begin function _ZL39rocblas_trsm_block_forward_substitutionIffPKPKfPKPfLb1ELb1ELb0EEv18rocblas_operation_llT0_T1_lllT2_lllib
	.p2align	8
	.type	_ZL39rocblas_trsm_block_forward_substitutionIffPKPKfPKPfLb1ELb1ELb0EEv18rocblas_operation_llT0_T1_lllT2_lllib,@function
_ZL39rocblas_trsm_block_forward_substitutionIffPKPKfPKPfLb1ELb1ELb0EEv18rocblas_operation_llT0_T1_lllT2_lllib: ; @_ZL39rocblas_trsm_block_forward_substitutionIffPKPKfPKPfLb1ELb1ELb0EEv18rocblas_operation_llT0_T1_lllT2_lllib
; %bb.0:
	s_load_b64 s[16:17], s[0:1], 0x60
	s_lshr_b32 s18, ttmp7, 16
	s_wait_kmcnt 0x0
	s_cmp_ge_u32 s18, s16
	s_cbranch_scc1 .LBB54_27
; %bb.1:
	s_clause 0x6
	s_load_b64 s[2:3], s[0:1], 0x50
	s_load_b128 s[4:7], s[0:1], 0x40
	s_load_u16 s30, s[0:1], 0x76
	s_load_b128 s[8:11], s[0:1], 0x8
	s_load_b32 s31, s[0:1], 0x18
	s_load_b128 s[12:15], s[0:1], 0x20
	s_load_b64 s[28:29], s[0:1], 0x30
	v_dual_mov_b32 v2, 0 :: v_dual_and_b32 v1, 0x3ff, v0
	v_bfe_u32 v0, v0, 10, 10
	s_bitcmp1_b32 s17, 0
	s_add_nc_u64 s[20:21], s[0:1], 0x68
	s_cselect_b32 s0, -1, 0
	s_and_b32 s1, ttmp7, 0xffff
	s_mov_b64 s[22:23], src_shared_base
	v_lshl_add_u32 v15, v0, 2, 0
	s_mov_b32 s19, 0
	s_mov_b64 s[24:25], 1
	s_wait_kmcnt 0x0
	v_mad_co_u64_u32 v[5:6], null, s2, v1, 0
	v_mad_co_u64_u32 v[7:8], null, s1, s30, v[0:1]
	s_lshl_b32 s1, s30, 2
	v_cmp_le_i64_e32 vcc_lo, s[8:9], v[1:2]
	v_cmp_gt_i64_e64 s2, s[8:9], v[1:2]
	s_add_nc_u64 s[26:27], s[8:9], -1
	v_dual_mov_b32 v3, v6 :: v_dual_mov_b32 v8, v2
	s_wait_alu 0xfffe
	s_add_co_i32 s22, s1, 0
	v_cmp_gt_i64_e64 s17, s[8:9], 0
	v_cmp_eq_u64_e64 s1, s[26:27], v[1:2]
	v_mad_co_u64_u32 v[3:4], null, s3, v1, v[3:4]
	v_cmp_gt_i64_e64 s3, s[10:11], v[7:8]
	v_cmp_gt_i64_e64 s34, s[8:9], 1
	v_lshl_add_u32 v16, v1, 2, s22
	s_lshl_b64 s[6:7], s[6:7], 2
	s_xor_b32 s35, vcc_lo, -1
	s_and_b32 s33, s3, s2
	v_mov_b32_e32 v6, v3
	v_lshlrev_b64_e32 v[3:4], 2, v[7:8]
	s_lshl_b64 s[2:3], s[14:15], 2
	s_delay_alu instid0(VALU_DEP_2)
	v_lshlrev_b64_e32 v[5:6], 2, v[5:6]
	s_branch .LBB54_4
.LBB54_2:                               ;   in Loop: Header=BB54_4 Depth=1
	s_wait_alu 0xfffe
	s_or_b32 exec_lo, exec_lo, s10
	flat_store_b32 v[9:10], v17
.LBB54_3:                               ;   in Loop: Header=BB54_4 Depth=1
	s_or_b32 exec_lo, exec_lo, s36
	s_add_co_i32 s18, s18, 0x10000
	s_delay_alu instid0(SALU_CYCLE_1)
	s_cmp_lt_u32 s18, s16
	s_cbranch_scc0 .LBB54_27
.LBB54_4:                               ; =>This Loop Header: Depth=1
                                        ;     Child Loop BB54_9 Depth 2
                                        ;     Child Loop BB54_21 Depth 2
	s_lshl_b64 s[10:11], s[18:19], 3
	s_wait_alu 0xfffe
	s_add_nc_u64 s[14:15], s[12:13], s[10:11]
	s_add_nc_u64 s[10:11], s[4:5], s[10:11]
	global_load_b64 v[7:8], v2, s[14:15]
	s_wait_loadcnt 0x1
	global_load_b64 v[9:10], v2, s[10:11]
	s_wait_loadcnt 0x1
	v_add_co_u32 v7, vcc_lo, v7, s2
	s_wait_alu 0xfffd
	v_add_co_ci_u32_e64 v8, null, s3, v8, vcc_lo
	s_and_not1_b32 vcc_lo, exec_lo, s0
	s_wait_alu 0xfffe
	s_cbranch_vccz .LBB54_6
; %bb.5:                                ;   in Loop: Header=BB54_4 Depth=1
	s_and_saveexec_b32 s36, s33
	s_cbranch_execz .LBB54_3
	s_branch .LBB54_18
.LBB54_6:                               ;   in Loop: Header=BB54_4 Depth=1
	s_and_not1_b32 vcc_lo, exec_lo, s17
	s_wait_alu 0xfffe
	s_cbranch_vccnz .LBB54_17
; %bb.7:                                ;   in Loop: Header=BB54_4 Depth=1
	v_mad_co_u64_u32 v[11:12], null, s28, v1, 0
	s_wait_dscnt 0x0
	v_mul_hi_u32_u24_e32 v14, s24, v1
	s_mov_b32 s10, s30
	s_delay_alu instid0(VALU_DEP_2) | instskip(SKIP_1) | instid1(VALU_DEP_1)
	v_mad_co_u64_u32 v[12:13], null, s29, v1, v[12:13]
	v_mul_u32_u24_e32 v13, s24, v1
	v_lshlrev_b64_e32 v[13:14], 2, v[13:14]
	s_delay_alu instid0(VALU_DEP_3) | instskip(NEXT) | instid1(VALU_DEP_1)
	v_lshlrev_b64_e32 v[11:12], 2, v[11:12]
	v_add_co_u32 v11, vcc_lo, v7, v11
	s_wait_alu 0xfffd
	s_delay_alu instid0(VALU_DEP_2) | instskip(NEXT) | instid1(VALU_DEP_2)
	v_add_co_ci_u32_e64 v12, null, v8, v12, vcc_lo
	v_add_co_u32 v7, vcc_lo, v11, v13
	s_wait_alu 0xfffd
	s_delay_alu instid0(VALU_DEP_2)
	v_add_co_ci_u32_e64 v8, null, v12, v14, vcc_lo
	v_mov_b32_e32 v13, v0
	s_branch .LBB54_9
.LBB54_8:                               ;   in Loop: Header=BB54_9 Depth=2
	s_wait_alu 0xfffe
	s_or_b32 exec_lo, exec_lo, s14
	s_ashr_i32 s11, s10, 31
	v_add_nc_u32_e32 v13, s30, v13
	s_wait_alu 0xfffe
	v_cmp_le_i64_e64 s11, s[8:9], s[10:11]
	s_add_co_i32 s10, s10, s30
	s_and_b32 vcc_lo, exec_lo, s11
	s_wait_alu 0xfffe
	s_cbranch_vccnz .LBB54_17
.LBB54_9:                               ;   Parent Loop BB54_4 Depth=1
                                        ; =>  This Inner Loop Header: Depth=2
	s_delay_alu instid0(VALU_DEP_1)
	v_cmp_gt_i32_e32 vcc_lo, v1, v13
	s_mov_b32 s11, 0
                                        ; implicit-def: $vgpr14
	s_and_b32 s14, s35, vcc_lo
	s_wait_alu 0xfffe
	s_and_saveexec_b32 s15, s14
	s_wait_alu 0xfffe
	s_xor_b32 s14, exec_lo, s15
	s_cbranch_execnz .LBB54_12
; %bb.10:                               ;   in Loop: Header=BB54_9 Depth=2
	s_wait_alu 0xfffe
	s_or_saveexec_b32 s14, s14
	v_mov_b32_e32 v17, v13
	s_wait_alu 0xfffe
	s_xor_b32 exec_lo, exec_lo, s14
	s_cbranch_execnz .LBB54_13
.LBB54_11:                              ;   in Loop: Header=BB54_9 Depth=2
	s_or_b32 exec_lo, exec_lo, s14
	s_wait_alu 0xfffe
	s_and_saveexec_b32 s14, s11
	s_cbranch_execz .LBB54_8
	s_branch .LBB54_16
.LBB54_12:                              ;   in Loop: Header=BB54_9 Depth=2
	s_wait_loadcnt_dscnt 0x0
	v_ashrrev_i32_e32 v14, 31, v13
	v_mul_lo_u32 v19, s25, v13
	v_mad_co_u64_u32 v[17:18], null, s24, v13, 0
	s_mov_b32 s11, exec_lo
	v_mul_lo_u32 v14, s24, v14
	s_delay_alu instid0(VALU_DEP_1) | instskip(NEXT) | instid1(VALU_DEP_1)
	v_add3_u32 v18, v18, v14, v19
	v_lshlrev_b64_e32 v[17:18], 2, v[17:18]
	s_delay_alu instid0(VALU_DEP_1) | instskip(SKIP_1) | instid1(VALU_DEP_2)
	v_add_co_u32 v17, vcc_lo, v11, v17
	s_wait_alu 0xfffd
	v_add_co_ci_u32_e64 v18, null, v12, v18, vcc_lo
	flat_load_b32 v14, v[17:18]
	s_wait_alu 0xfffe
	s_or_saveexec_b32 s14, s14
	v_mov_b32_e32 v17, v13
	s_wait_alu 0xfffe
	s_xor_b32 exec_lo, exec_lo, s14
	s_cbranch_execz .LBB54_11
.LBB54_13:                              ;   in Loop: Header=BB54_9 Depth=2
	v_cmp_eq_u32_e32 vcc_lo, v1, v13
	s_wait_alu 0xfffe
	s_mov_b32 s28, s11
                                        ; implicit-def: $vgpr14
	s_and_b32 s29, s35, vcc_lo
	s_wait_alu 0xfffe
	s_and_saveexec_b32 s15, s29
	s_cbranch_execz .LBB54_15
; %bb.14:                               ;   in Loop: Header=BB54_9 Depth=2
	s_wait_loadcnt_dscnt 0x0
	flat_load_b32 v14, v[7:8]
	s_or_b32 s28, s11, exec_lo
	s_wait_loadcnt_dscnt 0x0
	v_div_scale_f32 v17, null, v14, v14, 1.0
	s_delay_alu instid0(VALU_DEP_1) | instskip(NEXT) | instid1(TRANS32_DEP_1)
	v_rcp_f32_e32 v18, v17
	v_fma_f32 v19, -v17, v18, 1.0
	s_delay_alu instid0(VALU_DEP_1) | instskip(SKIP_1) | instid1(VALU_DEP_1)
	v_fmac_f32_e32 v18, v19, v18
	v_div_scale_f32 v19, vcc_lo, 1.0, v14, 1.0
	v_mul_f32_e32 v20, v19, v18
	s_delay_alu instid0(VALU_DEP_1) | instskip(NEXT) | instid1(VALU_DEP_1)
	v_fma_f32 v21, -v17, v20, v19
	v_fmac_f32_e32 v20, v21, v18
	s_delay_alu instid0(VALU_DEP_1) | instskip(SKIP_1) | instid1(VALU_DEP_1)
	v_fma_f32 v17, -v17, v20, v19
	s_wait_alu 0xfffd
	v_div_fmas_f32 v17, v17, v18, v20
	s_delay_alu instid0(VALU_DEP_1)
	v_div_fixup_f32 v14, v17, v14, 1.0
.LBB54_15:                              ;   in Loop: Header=BB54_9 Depth=2
	s_wait_alu 0xfffe
	s_or_b32 exec_lo, exec_lo, s15
	v_mov_b32_e32 v17, v1
	s_and_not1_b32 s11, s11, exec_lo
	s_and_b32 s15, s28, exec_lo
	s_wait_alu 0xfffe
	s_or_b32 s11, s11, s15
	s_or_b32 exec_lo, exec_lo, s14
	s_wait_alu 0xfffe
	s_and_saveexec_b32 s14, s11
	s_cbranch_execz .LBB54_8
.LBB54_16:                              ;   in Loop: Header=BB54_9 Depth=2
	s_load_b32 s11, s[20:21], 0xc
	s_wait_kmcnt 0x0
	s_and_b32 s11, s11, 0xffff
	s_wait_alu 0xfffe
	v_mul_lo_u32 v17, v17, s11
	s_delay_alu instid0(VALU_DEP_1)
	v_lshl_add_u32 v17, v17, 2, v16
	s_wait_loadcnt_dscnt 0x0
	ds_store_b32 v17, v14
	s_branch .LBB54_8
.LBB54_17:                              ;   in Loop: Header=BB54_4 Depth=1
	s_load_b32 s10, s[20:21], 0xc
	v_dual_mov_b32 v7, s22 :: v_dual_mov_b32 v8, s23
	s_mov_b32 s25, s19
	s_mov_b64 s[28:29], 1
	s_wait_kmcnt 0x0
	s_and_b32 s24, s10, 0xffff
	s_and_saveexec_b32 s36, s33
	s_cbranch_execz .LBB54_3
.LBB54_18:                              ;   in Loop: Header=BB54_4 Depth=1
	s_wait_loadcnt 0x0
	v_add_co_u32 v9, vcc_lo, v9, s6
	s_wait_alu 0xfffd
	v_add_co_ci_u32_e64 v10, null, s7, v10, vcc_lo
	s_delay_alu instid0(VALU_DEP_2) | instskip(SKIP_1) | instid1(VALU_DEP_2)
	v_add_co_u32 v9, vcc_lo, v9, v5
	s_wait_alu 0xfffd
	v_add_co_ci_u32_e64 v10, null, v10, v6, vcc_lo
	s_delay_alu instid0(VALU_DEP_2) | instskip(SKIP_1) | instid1(VALU_DEP_2)
	v_add_co_u32 v9, vcc_lo, v9, v3
	s_wait_alu 0xfffd
	v_add_co_ci_u32_e64 v10, null, v10, v4, vcc_lo
	s_and_not1_b32 vcc_lo, exec_lo, s34
	flat_load_b32 v11, v[9:10]
	s_wait_loadcnt_dscnt 0x0
	v_mul_f32_e32 v17, s31, v11
	s_wait_alu 0xfffe
	s_cbranch_vccnz .LBB54_25
; %bb.19:                               ;   in Loop: Header=BB54_4 Depth=1
	s_add_nc_u64 s[10:11], s[24:25], s[28:29]
	v_mad_co_u64_u32 v[13:14], null, s28, v1, 0
	s_wait_alu 0xfffe
	v_mad_co_u64_u32 v[11:12], null, s10, v1, 0
	s_mov_b64 s[14:15], 0
	v_mad_co_u64_u32 v[18:19], null, s11, v1, v[12:13]
	v_mad_co_u64_u32 v[19:20], null, s29, v1, v[14:15]
	s_lshl_b64 s[10:11], s[24:25], 2
	v_mov_b32_e32 v12, v18
	v_mov_b32_e32 v14, v19
	s_delay_alu instid0(VALU_DEP_2) | instskip(NEXT) | instid1(VALU_DEP_2)
	v_lshlrev_b64_e32 v[11:12], 2, v[11:12]
	v_lshlrev_b64_e32 v[13:14], 2, v[13:14]
	s_delay_alu instid0(VALU_DEP_2) | instskip(SKIP_1) | instid1(VALU_DEP_3)
	v_add_co_u32 v11, vcc_lo, v7, v11
	s_wait_alu 0xfffd
	v_add_co_ci_u32_e64 v12, null, v8, v12, vcc_lo
	s_delay_alu instid0(VALU_DEP_3)
	v_add_co_u32 v13, vcc_lo, v7, v13
	s_wait_alu 0xfffd
	v_add_co_ci_u32_e64 v14, null, v8, v14, vcc_lo
	s_branch .LBB54_21
.LBB54_20:                              ;   in Loop: Header=BB54_21 Depth=2
	s_or_b32 exec_lo, exec_lo, s37
	s_wait_alu 0xfffe
	v_add_co_u32 v13, vcc_lo, v13, s10
	s_wait_alu 0xfffd
	v_add_co_ci_u32_e64 v14, null, s11, v14, vcc_lo
	s_add_nc_u64 s[14:15], s[14:15], 1
	s_wait_alu 0xfffe
	s_cmp_eq_u64 s[26:27], s[14:15]
	s_cbranch_scc1 .LBB54_25
.LBB54_21:                              ;   Parent Loop BB54_4 Depth=1
                                        ; =>  This Inner Loop Header: Depth=2
	s_mov_b32 s37, exec_lo
	s_barrier_signal -1
	s_barrier_wait -1
	global_inv scope:SCOPE_SE
	s_wait_alu 0xfffe
	v_cmpx_eq_u64_e64 s[14:15], v[1:2]
	s_cbranch_execz .LBB54_23
; %bb.22:                               ;   in Loop: Header=BB54_21 Depth=2
	flat_load_b32 v18, v[11:12]
	s_wait_loadcnt_dscnt 0x0
	v_div_scale_f32 v19, null, v18, v18, 1.0
	s_delay_alu instid0(VALU_DEP_1) | instskip(NEXT) | instid1(TRANS32_DEP_1)
	v_rcp_f32_e32 v20, v19
	v_fma_f32 v21, -v19, v20, 1.0
	s_delay_alu instid0(VALU_DEP_1) | instskip(SKIP_1) | instid1(VALU_DEP_1)
	v_fmac_f32_e32 v20, v21, v20
	v_div_scale_f32 v21, vcc_lo, 1.0, v18, 1.0
	v_mul_f32_e32 v22, v21, v20
	s_delay_alu instid0(VALU_DEP_1) | instskip(NEXT) | instid1(VALU_DEP_1)
	v_fma_f32 v23, -v19, v22, v21
	v_fmac_f32_e32 v22, v23, v20
	s_delay_alu instid0(VALU_DEP_1) | instskip(SKIP_1) | instid1(VALU_DEP_1)
	v_fma_f32 v19, -v19, v22, v21
	s_wait_alu 0xfffd
	v_div_fmas_f32 v19, v19, v20, v22
	s_delay_alu instid0(VALU_DEP_1) | instskip(NEXT) | instid1(VALU_DEP_1)
	v_div_fixup_f32 v19, v19, v18, 1.0
	v_cndmask_b32_e64 v18, v19, v18, s0
	s_delay_alu instid0(VALU_DEP_1)
	v_mul_f32_e32 v17, v17, v18
	ds_store_b32 v15, v17
.LBB54_23:                              ;   in Loop: Header=BB54_21 Depth=2
	s_or_b32 exec_lo, exec_lo, s37
	s_delay_alu instid0(SALU_CYCLE_1)
	s_mov_b32 s37, exec_lo
	s_wait_loadcnt_dscnt 0x0
	s_barrier_signal -1
	s_barrier_wait -1
	global_inv scope:SCOPE_SE
	v_cmpx_lt_u64_e64 s[14:15], v[1:2]
	s_cbranch_execz .LBB54_20
; %bb.24:                               ;   in Loop: Header=BB54_21 Depth=2
	flat_load_b32 v18, v[13:14]
	ds_load_b32 v19, v15
	s_wait_loadcnt_dscnt 0x0
	v_fma_f32 v17, -v18, v19, v17
	s_branch .LBB54_20
.LBB54_25:                              ;   in Loop: Header=BB54_4 Depth=1
	s_and_saveexec_b32 s10, s1
	s_cbranch_execz .LBB54_2
; %bb.26:                               ;   in Loop: Header=BB54_4 Depth=1
	s_add_nc_u64 s[14:15], s[24:25], s[28:29]
	s_wait_alu 0xfffe
	v_mad_co_u64_u32 v[11:12], null, s14, v1, 0
	s_delay_alu instid0(VALU_DEP_1) | instskip(NEXT) | instid1(VALU_DEP_1)
	v_mad_co_u64_u32 v[12:13], null, s15, v1, v[12:13]
	v_lshlrev_b64_e32 v[11:12], 2, v[11:12]
	s_delay_alu instid0(VALU_DEP_1) | instskip(SKIP_1) | instid1(VALU_DEP_2)
	v_add_co_u32 v7, vcc_lo, v7, v11
	s_wait_alu 0xfffd
	v_add_co_ci_u32_e64 v8, null, v8, v12, vcc_lo
	flat_load_b32 v7, v[7:8]
	s_wait_loadcnt_dscnt 0x0
	v_div_scale_f32 v8, null, v7, v7, 1.0
	s_delay_alu instid0(VALU_DEP_1) | instskip(NEXT) | instid1(TRANS32_DEP_1)
	v_rcp_f32_e32 v11, v8
	v_fma_f32 v12, -v8, v11, 1.0
	s_delay_alu instid0(VALU_DEP_1) | instskip(SKIP_1) | instid1(VALU_DEP_1)
	v_fmac_f32_e32 v11, v12, v11
	v_div_scale_f32 v12, vcc_lo, 1.0, v7, 1.0
	v_mul_f32_e32 v13, v12, v11
	s_delay_alu instid0(VALU_DEP_1) | instskip(NEXT) | instid1(VALU_DEP_1)
	v_fma_f32 v14, -v8, v13, v12
	v_fmac_f32_e32 v13, v14, v11
	s_delay_alu instid0(VALU_DEP_1) | instskip(SKIP_1) | instid1(VALU_DEP_1)
	v_fma_f32 v8, -v8, v13, v12
	s_wait_alu 0xfffd
	v_div_fmas_f32 v8, v8, v11, v13
	s_delay_alu instid0(VALU_DEP_1) | instskip(NEXT) | instid1(VALU_DEP_1)
	v_div_fixup_f32 v8, v8, v7, 1.0
	v_cndmask_b32_e64 v7, v8, v7, s0
	s_delay_alu instid0(VALU_DEP_1)
	v_mul_f32_e32 v17, v17, v7
	s_branch .LBB54_2
.LBB54_27:
	s_endpgm
	.section	.rodata,"a",@progbits
	.p2align	6, 0x0
	.amdhsa_kernel _ZL39rocblas_trsm_block_forward_substitutionIffPKPKfPKPfLb1ELb1ELb0EEv18rocblas_operation_llT0_T1_lllT2_lllib
		.amdhsa_group_segment_fixed_size 0
		.amdhsa_private_segment_fixed_size 0
		.amdhsa_kernarg_size 360
		.amdhsa_user_sgpr_count 2
		.amdhsa_user_sgpr_dispatch_ptr 0
		.amdhsa_user_sgpr_queue_ptr 0
		.amdhsa_user_sgpr_kernarg_segment_ptr 1
		.amdhsa_user_sgpr_dispatch_id 0
		.amdhsa_user_sgpr_private_segment_size 0
		.amdhsa_wavefront_size32 1
		.amdhsa_uses_dynamic_stack 0
		.amdhsa_enable_private_segment 0
		.amdhsa_system_sgpr_workgroup_id_x 1
		.amdhsa_system_sgpr_workgroup_id_y 1
		.amdhsa_system_sgpr_workgroup_id_z 1
		.amdhsa_system_sgpr_workgroup_info 0
		.amdhsa_system_vgpr_workitem_id 1
		.amdhsa_next_free_vgpr 24
		.amdhsa_next_free_sgpr 38
		.amdhsa_reserve_vcc 1
		.amdhsa_float_round_mode_32 0
		.amdhsa_float_round_mode_16_64 0
		.amdhsa_float_denorm_mode_32 3
		.amdhsa_float_denorm_mode_16_64 3
		.amdhsa_fp16_overflow 0
		.amdhsa_workgroup_processor_mode 1
		.amdhsa_memory_ordered 1
		.amdhsa_forward_progress 1
		.amdhsa_inst_pref_size 15
		.amdhsa_round_robin_scheduling 0
		.amdhsa_exception_fp_ieee_invalid_op 0
		.amdhsa_exception_fp_denorm_src 0
		.amdhsa_exception_fp_ieee_div_zero 0
		.amdhsa_exception_fp_ieee_overflow 0
		.amdhsa_exception_fp_ieee_underflow 0
		.amdhsa_exception_fp_ieee_inexact 0
		.amdhsa_exception_int_div_zero 0
	.end_amdhsa_kernel
	.section	.text._ZL39rocblas_trsm_block_forward_substitutionIffPKPKfPKPfLb1ELb1ELb0EEv18rocblas_operation_llT0_T1_lllT2_lllib,"axG",@progbits,_ZL39rocblas_trsm_block_forward_substitutionIffPKPKfPKPfLb1ELb1ELb0EEv18rocblas_operation_llT0_T1_lllT2_lllib,comdat
.Lfunc_end54:
	.size	_ZL39rocblas_trsm_block_forward_substitutionIffPKPKfPKPfLb1ELb1ELb0EEv18rocblas_operation_llT0_T1_lllT2_lllib, .Lfunc_end54-_ZL39rocblas_trsm_block_forward_substitutionIffPKPKfPKPfLb1ELb1ELb0EEv18rocblas_operation_llT0_T1_lllT2_lllib
                                        ; -- End function
	.set _ZL39rocblas_trsm_block_forward_substitutionIffPKPKfPKPfLb1ELb1ELb0EEv18rocblas_operation_llT0_T1_lllT2_lllib.num_vgpr, 24
	.set _ZL39rocblas_trsm_block_forward_substitutionIffPKPKfPKPfLb1ELb1ELb0EEv18rocblas_operation_llT0_T1_lllT2_lllib.num_agpr, 0
	.set _ZL39rocblas_trsm_block_forward_substitutionIffPKPKfPKPfLb1ELb1ELb0EEv18rocblas_operation_llT0_T1_lllT2_lllib.numbered_sgpr, 38
	.set _ZL39rocblas_trsm_block_forward_substitutionIffPKPKfPKPfLb1ELb1ELb0EEv18rocblas_operation_llT0_T1_lllT2_lllib.num_named_barrier, 0
	.set _ZL39rocblas_trsm_block_forward_substitutionIffPKPKfPKPfLb1ELb1ELb0EEv18rocblas_operation_llT0_T1_lllT2_lllib.private_seg_size, 0
	.set _ZL39rocblas_trsm_block_forward_substitutionIffPKPKfPKPfLb1ELb1ELb0EEv18rocblas_operation_llT0_T1_lllT2_lllib.uses_vcc, 1
	.set _ZL39rocblas_trsm_block_forward_substitutionIffPKPKfPKPfLb1ELb1ELb0EEv18rocblas_operation_llT0_T1_lllT2_lllib.uses_flat_scratch, 0
	.set _ZL39rocblas_trsm_block_forward_substitutionIffPKPKfPKPfLb1ELb1ELb0EEv18rocblas_operation_llT0_T1_lllT2_lllib.has_dyn_sized_stack, 0
	.set _ZL39rocblas_trsm_block_forward_substitutionIffPKPKfPKPfLb1ELb1ELb0EEv18rocblas_operation_llT0_T1_lllT2_lllib.has_recursion, 0
	.set _ZL39rocblas_trsm_block_forward_substitutionIffPKPKfPKPfLb1ELb1ELb0EEv18rocblas_operation_llT0_T1_lllT2_lllib.has_indirect_call, 0
	.section	.AMDGPU.csdata,"",@progbits
; Kernel info:
; codeLenInByte = 1800
; TotalNumSgprs: 40
; NumVgprs: 24
; ScratchSize: 0
; MemoryBound: 0
; FloatMode: 240
; IeeeMode: 1
; LDSByteSize: 0 bytes/workgroup (compile time only)
; SGPRBlocks: 0
; VGPRBlocks: 2
; NumSGPRsForWavesPerEU: 40
; NumVGPRsForWavesPerEU: 24
; Occupancy: 16
; WaveLimiterHint : 1
; COMPUTE_PGM_RSRC2:SCRATCH_EN: 0
; COMPUTE_PGM_RSRC2:USER_SGPR: 2
; COMPUTE_PGM_RSRC2:TRAP_HANDLER: 0
; COMPUTE_PGM_RSRC2:TGID_X_EN: 1
; COMPUTE_PGM_RSRC2:TGID_Y_EN: 1
; COMPUTE_PGM_RSRC2:TGID_Z_EN: 1
; COMPUTE_PGM_RSRC2:TIDIG_COMP_CNT: 1
	.section	.text._ZL40rocblas_trsm_block_backward_substitutionIffPKPKfPKPfLb1ELb1ELb0EEv18rocblas_operation_llT0_T1_lllT2_lllib,"axG",@progbits,_ZL40rocblas_trsm_block_backward_substitutionIffPKPKfPKPfLb1ELb1ELb0EEv18rocblas_operation_llT0_T1_lllT2_lllib,comdat
	.globl	_ZL40rocblas_trsm_block_backward_substitutionIffPKPKfPKPfLb1ELb1ELb0EEv18rocblas_operation_llT0_T1_lllT2_lllib ; -- Begin function _ZL40rocblas_trsm_block_backward_substitutionIffPKPKfPKPfLb1ELb1ELb0EEv18rocblas_operation_llT0_T1_lllT2_lllib
	.p2align	8
	.type	_ZL40rocblas_trsm_block_backward_substitutionIffPKPKfPKPfLb1ELb1ELb0EEv18rocblas_operation_llT0_T1_lllT2_lllib,@function
_ZL40rocblas_trsm_block_backward_substitutionIffPKPKfPKPfLb1ELb1ELb0EEv18rocblas_operation_llT0_T1_lllT2_lllib: ; @_ZL40rocblas_trsm_block_backward_substitutionIffPKPKfPKPfLb1ELb1ELb0EEv18rocblas_operation_llT0_T1_lllT2_lllib
; %bb.0:
	s_load_b64 s[16:17], s[0:1], 0x60
	s_lshr_b32 s18, ttmp7, 16
	s_wait_kmcnt 0x0
	s_cmp_ge_u32 s18, s16
	s_cbranch_scc1 .LBB55_29
; %bb.1:
	s_clause 0x6
	s_load_u16 s33, s[0:1], 0x76
	s_load_b64 s[20:21], s[0:1], 0x30
	s_load_b64 s[26:27], s[0:1], 0x50
	s_load_b128 s[4:7], s[0:1], 0x20
	s_load_b128 s[8:11], s[0:1], 0x40
	;; [unrolled: 1-line block ×3, first 2 shown]
	s_load_b32 s36, s[0:1], 0x18
	v_bfe_u32 v1, v0, 10, 10
	v_dual_mov_b32 v3, 0 :: v_dual_and_b32 v2, 0x3ff, v0
	s_bitcmp1_b32 s17, 0
	s_mov_b64 s[24:25], src_shared_base
	s_cselect_b32 s2, -1, 0
	s_and_b32 s3, ttmp7, 0xffff
	v_lshlrev_b32_e32 v0, 2, v2
	s_add_nc_u64 s[22:23], s[0:1], 0x68
	v_lshl_add_u32 v16, v1, 2, 0
	v_cmp_eq_u32_e64 s0, 0, v2
	s_mov_b32 s19, 0
	v_lshlrev_b32_e32 v18, 2, v2
	s_wait_kmcnt 0x0
	v_mad_co_u64_u32 v[4:5], null, s3, s33, v[1:2]
	v_mad_co_u64_u32 v[6:7], null, s20, v2, 0
	v_mov_b32_e32 v5, v3
	s_lshl_b32 s3, s33, 2
	v_cmp_le_i64_e64 s17, s[12:13], v[2:3]
	v_cmp_gt_i64_e64 s1, s[12:13], v[2:3]
	v_mad_co_u64_u32 v[8:9], null, s26, v4, 0
	v_cmp_gt_i64_e32 vcc_lo, s[14:15], v[4:5]
	s_wait_alu 0xfffe
	s_add_co_i32 s24, s3, 0
	v_cmp_gt_i64_e64 s37, s[12:13], 0
	v_cmp_gt_i64_e64 s39, s[12:13], 1
	v_add_nc_u32_e32 v17, s24, v0
	s_lshl_b64 s[6:7], s[6:7], 2
	v_mad_co_u64_u32 v[10:11], null, s21, v2, v[7:8]
	s_and_b32 s38, vcc_lo, s1
	s_xor_b32 s40, s17, -1
	s_lshl_b64 s[10:11], s[10:11], 2
	v_mad_co_u64_u32 v[11:12], null, s27, v4, v[9:10]
	v_mov_b32_e32 v7, v10
	s_add_nc_u64 s[26:27], s[12:13], -1
	s_wait_alu 0xfffe
	s_lshl_b64 s[14:15], s[26:27], 2
	s_delay_alu instid0(VALU_DEP_1) | instskip(NEXT) | instid1(VALU_DEP_3)
	v_lshlrev_b64_e32 v[4:5], 2, v[6:7]
	v_mov_b32_e32 v9, v11
	s_delay_alu instid0(VALU_DEP_1)
	v_lshlrev_b64_e32 v[6:7], 2, v[8:9]
	s_branch .LBB55_4
.LBB55_2:                               ;   in Loop: Header=BB55_4 Depth=1
	s_wait_alu 0xfffe
	s_or_b32 exec_lo, exec_lo, s30
	flat_store_b32 v[8:9], v19
.LBB55_3:                               ;   in Loop: Header=BB55_4 Depth=1
	s_wait_alu 0xfffe
	s_or_b32 exec_lo, exec_lo, s3
	s_add_co_i32 s18, s18, 0x10000
	s_delay_alu instid0(SALU_CYCLE_1)
	s_cmp_lt_u32 s18, s16
	s_cbranch_scc0 .LBB55_29
.LBB55_4:                               ; =>This Loop Header: Depth=1
                                        ;     Child Loop BB55_9 Depth 2
                                        ;     Child Loop BB55_23 Depth 2
	s_lshl_b64 s[28:29], s[18:19], 3
	s_wait_alu 0xfffe
	s_add_nc_u64 s[30:31], s[4:5], s[28:29]
	s_add_nc_u64 s[28:29], s[8:9], s[28:29]
	global_load_b64 v[10:11], v3, s[30:31]
	s_wait_loadcnt 0x1
	global_load_b64 v[8:9], v3, s[28:29]
	s_mov_b64 s[28:29], s[20:21]
	s_wait_loadcnt 0x1
	v_add_co_u32 v10, vcc_lo, v10, s6
	s_wait_alu 0xfffd
	v_add_co_ci_u32_e64 v11, null, s7, v11, vcc_lo
	s_and_not1_b32 vcc_lo, exec_lo, s2
	s_wait_alu 0xfffe
	s_cbranch_vccz .LBB55_6
; %bb.5:                                ;   in Loop: Header=BB55_4 Depth=1
	s_and_saveexec_b32 s3, s38
	s_cbranch_execz .LBB55_3
	s_branch .LBB55_20
.LBB55_6:                               ;   in Loop: Header=BB55_4 Depth=1
	s_and_not1_b32 vcc_lo, exec_lo, s37
	s_wait_alu 0xfffe
	s_cbranch_vccnz .LBB55_19
; %bb.7:                                ;   in Loop: Header=BB55_4 Depth=1
	v_add_co_u32 v14, vcc_lo, v10, v18
	s_wait_alu 0xfffd
	v_add_co_ci_u32_e64 v15, null, 0, v11, vcc_lo
	v_mov_b32_e32 v12, v1
	s_delay_alu instid0(VALU_DEP_3) | instskip(SKIP_1) | instid1(VALU_DEP_3)
	v_add_co_u32 v10, vcc_lo, v14, v4
	s_wait_alu 0xfffd
	v_add_co_ci_u32_e64 v11, null, v15, v5, vcc_lo
	s_mov_b32 s28, s33
	s_branch .LBB55_9
.LBB55_8:                               ;   in Loop: Header=BB55_9 Depth=2
	s_wait_alu 0xfffe
	s_or_b32 exec_lo, exec_lo, s29
	s_ashr_i32 s29, s28, 31
	v_add_nc_u32_e32 v12, s33, v12
	s_wait_alu 0xfffe
	v_cmp_le_i64_e64 s3, s[12:13], s[28:29]
	s_add_co_i32 s28, s28, s33
	s_and_b32 vcc_lo, exec_lo, s3
	s_wait_alu 0xfffe
	s_cbranch_vccnz .LBB55_19
.LBB55_9:                               ;   Parent Loop BB55_4 Depth=1
                                        ; =>  This Inner Loop Header: Depth=2
	s_mov_b32 s3, 0
	s_mov_b32 s30, s17
                                        ; implicit-def: $vgpr19
	s_and_saveexec_b32 s29, s1
	s_cbranch_execnz .LBB55_12
; %bb.10:                               ;   in Loop: Header=BB55_9 Depth=2
	s_wait_alu 0xfffe
	s_or_b32 exec_lo, exec_lo, s29
	v_mov_b32_e32 v13, v12
	s_and_saveexec_b32 s29, s30
	s_cbranch_execnz .LBB55_15
.LBB55_11:                              ;   in Loop: Header=BB55_9 Depth=2
	s_wait_alu 0xfffe
	s_or_b32 exec_lo, exec_lo, s29
	s_and_saveexec_b32 s29, s3
	s_cbranch_execz .LBB55_8
	s_branch .LBB55_18
.LBB55_12:                              ;   in Loop: Header=BB55_9 Depth=2
	v_ashrrev_i32_e32 v13, 31, v12
	v_cmp_lt_i32_e64 s3, v2, v12
	s_mov_b32 s31, -1
                                        ; implicit-def: $vgpr19
	v_cmp_gt_i64_e32 vcc_lo, s[12:13], v[12:13]
	s_wait_alu 0xfffe
	s_and_b32 s34, s3, vcc_lo
	s_mov_b32 s3, 0
	s_wait_alu 0xfffe
	s_and_saveexec_b32 s30, s34
	s_cbranch_execz .LBB55_14
; %bb.13:                               ;   in Loop: Header=BB55_9 Depth=2
	v_mul_lo_u32 v21, s21, v12
	v_mul_lo_u32 v13, s20, v13
	s_wait_loadcnt_dscnt 0x0
	v_mad_co_u64_u32 v[19:20], null, s20, v12, 0
	s_mov_b32 s3, exec_lo
	s_xor_b32 s31, exec_lo, -1
	v_add3_u32 v20, v20, v13, v21
	s_delay_alu instid0(VALU_DEP_1) | instskip(NEXT) | instid1(VALU_DEP_1)
	v_lshlrev_b64_e32 v[19:20], 2, v[19:20]
	v_add_co_u32 v19, vcc_lo, v14, v19
	s_wait_alu 0xfffd
	s_delay_alu instid0(VALU_DEP_2)
	v_add_co_ci_u32_e64 v20, null, v15, v20, vcc_lo
	flat_load_b32 v19, v[19:20]
.LBB55_14:                              ;   in Loop: Header=BB55_9 Depth=2
	s_wait_alu 0xfffe
	s_or_b32 exec_lo, exec_lo, s30
	s_delay_alu instid0(SALU_CYCLE_1)
	s_and_not1_b32 s30, s17, exec_lo
	s_and_b32 s31, s31, exec_lo
	s_and_b32 s3, s3, exec_lo
	s_wait_alu 0xfffe
	s_or_b32 s30, s30, s31
	s_or_b32 exec_lo, exec_lo, s29
	v_mov_b32_e32 v13, v12
	s_wait_alu 0xfffe
	s_and_saveexec_b32 s29, s30
	s_cbranch_execz .LBB55_11
.LBB55_15:                              ;   in Loop: Header=BB55_9 Depth=2
	v_cmp_eq_u32_e32 vcc_lo, v2, v12
	s_wait_alu 0xfffe
	s_mov_b32 s31, s3
                                        ; implicit-def: $vgpr19
	s_and_b32 s34, s40, vcc_lo
	s_wait_alu 0xfffe
	s_and_saveexec_b32 s30, s34
	s_cbranch_execz .LBB55_17
; %bb.16:                               ;   in Loop: Header=BB55_9 Depth=2
	flat_load_b32 v13, v[10:11]
	s_or_b32 s31, s3, exec_lo
	s_wait_loadcnt_dscnt 0x0
	v_div_scale_f32 v19, null, v13, v13, 1.0
	s_delay_alu instid0(VALU_DEP_1) | instskip(NEXT) | instid1(TRANS32_DEP_1)
	v_rcp_f32_e32 v20, v19
	v_fma_f32 v21, -v19, v20, 1.0
	s_delay_alu instid0(VALU_DEP_1) | instskip(SKIP_1) | instid1(VALU_DEP_1)
	v_fmac_f32_e32 v20, v21, v20
	v_div_scale_f32 v21, vcc_lo, 1.0, v13, 1.0
	v_mul_f32_e32 v22, v21, v20
	s_delay_alu instid0(VALU_DEP_1) | instskip(NEXT) | instid1(VALU_DEP_1)
	v_fma_f32 v23, -v19, v22, v21
	v_fmac_f32_e32 v22, v23, v20
	s_delay_alu instid0(VALU_DEP_1) | instskip(SKIP_1) | instid1(VALU_DEP_1)
	v_fma_f32 v19, -v19, v22, v21
	s_wait_alu 0xfffd
	v_div_fmas_f32 v19, v19, v20, v22
	s_delay_alu instid0(VALU_DEP_1)
	v_div_fixup_f32 v19, v19, v13, 1.0
.LBB55_17:                              ;   in Loop: Header=BB55_9 Depth=2
	s_wait_alu 0xfffe
	s_or_b32 exec_lo, exec_lo, s30
	v_mov_b32_e32 v13, v2
	s_and_not1_b32 s3, s3, exec_lo
	s_and_b32 s30, s31, exec_lo
	s_wait_alu 0xfffe
	s_or_b32 s3, s3, s30
	s_or_b32 exec_lo, exec_lo, s29
	s_wait_alu 0xfffe
	s_and_saveexec_b32 s29, s3
	s_cbranch_execz .LBB55_8
.LBB55_18:                              ;   in Loop: Header=BB55_9 Depth=2
	s_load_b32 s3, s[22:23], 0xc
	s_wait_kmcnt 0x0
	s_and_b32 s3, s3, 0xffff
	s_wait_alu 0xfffe
	v_mul_lo_u32 v13, v13, s3
	s_delay_alu instid0(VALU_DEP_1)
	v_lshl_add_u32 v13, v13, 2, v17
	s_wait_loadcnt_dscnt 0x0
	ds_store_b32 v13, v19
	s_branch .LBB55_8
.LBB55_19:                              ;   in Loop: Header=BB55_4 Depth=1
	s_load_b32 s3, s[22:23], 0xc
	v_dual_mov_b32 v10, s24 :: v_dual_mov_b32 v11, s25
	s_mov_b32 s29, s19
	s_wait_kmcnt 0x0
	s_and_b32 s28, s3, 0xffff
	s_and_saveexec_b32 s3, s38
	s_cbranch_execz .LBB55_3
.LBB55_20:                              ;   in Loop: Header=BB55_4 Depth=1
	s_wait_loadcnt 0x0
	v_add_co_u32 v8, vcc_lo, v8, s10
	s_wait_alu 0xfffd
	v_add_co_ci_u32_e64 v9, null, s11, v9, vcc_lo
	s_delay_alu instid0(VALU_DEP_2) | instskip(SKIP_1) | instid1(VALU_DEP_2)
	v_add_co_u32 v8, vcc_lo, v8, v6
	s_wait_alu 0xfffd
	v_add_co_ci_u32_e64 v9, null, v9, v7, vcc_lo
	s_delay_alu instid0(VALU_DEP_2) | instskip(SKIP_1) | instid1(VALU_DEP_2)
	v_add_co_u32 v8, vcc_lo, v8, v18
	s_wait_alu 0xfffd
	v_add_co_ci_u32_e64 v9, null, 0, v9, vcc_lo
	s_and_not1_b32 vcc_lo, exec_lo, s39
	flat_load_b32 v12, v[8:9]
	s_wait_loadcnt_dscnt 0x0
	v_mul_f32_e32 v19, s36, v12
	s_wait_alu 0xfffe
	s_cbranch_vccnz .LBB55_27
; %bb.21:                               ;   in Loop: Header=BB55_4 Depth=1
	v_mad_co_u64_u32 v[14:15], null, v2, s28, v[2:3]
	v_add_co_u32 v20, vcc_lo, v10, v0
	s_wait_alu 0xfffd
	v_add_co_ci_u32_e64 v21, null, 0, v11, vcc_lo
	s_mul_i32 s30, s15, s28
	s_mul_i32 s31, s14, s29
	v_mov_b32_e32 v12, v15
	s_mov_b64 s[34:35], s[26:27]
	s_delay_alu instid0(VALU_DEP_1) | instskip(NEXT) | instid1(VALU_DEP_1)
	v_mad_co_u64_u32 v[12:13], null, v2, s29, v[12:13]
	v_mov_b32_e32 v15, v12
	v_mad_co_u64_u32 v[12:13], null, s14, s28, v[20:21]
	s_delay_alu instid0(VALU_DEP_2) | instskip(SKIP_1) | instid1(VALU_DEP_2)
	v_lshlrev_b64_e32 v[14:15], 2, v[14:15]
	s_wait_alu 0xfffe
	v_add3_u32 v13, s31, s30, v13
	s_lshl_b64 s[30:31], s[28:29], 2
	s_delay_alu instid0(VALU_DEP_2)
	v_add_co_u32 v14, vcc_lo, v10, v14
	s_wait_alu 0xfffd
	v_add_co_ci_u32_e64 v15, null, v11, v15, vcc_lo
	s_wait_alu 0xfffe
	s_sub_nc_u64 s[30:31], 0, s[30:31]
	s_branch .LBB55_23
.LBB55_22:                              ;   in Loop: Header=BB55_23 Depth=2
	s_or_b32 exec_lo, exec_lo, s41
	s_add_nc_u64 s[42:43], s[34:35], 1
	s_wait_alu 0xfffe
	v_add_co_u32 v12, vcc_lo, v12, s30
	v_cmp_lt_u64_e64 s41, s[42:43], 3
	s_wait_alu 0xfffd
	v_add_co_ci_u32_e64 v13, null, s31, v13, vcc_lo
	s_add_nc_u64 s[34:35], s[34:35], -1
	s_and_b32 vcc_lo, exec_lo, s41
	s_wait_alu 0xfffe
	s_cbranch_vccnz .LBB55_27
.LBB55_23:                              ;   Parent Loop BB55_4 Depth=1
                                        ; =>  This Inner Loop Header: Depth=2
	s_mov_b32 s41, exec_lo
	s_barrier_signal -1
	s_barrier_wait -1
	global_inv scope:SCOPE_SE
	v_cmpx_eq_u64_e64 s[34:35], v[2:3]
	s_cbranch_execz .LBB55_25
; %bb.24:                               ;   in Loop: Header=BB55_23 Depth=2
	flat_load_b32 v20, v[14:15]
	s_wait_loadcnt_dscnt 0x0
	v_div_scale_f32 v21, null, v20, v20, 1.0
	s_delay_alu instid0(VALU_DEP_1) | instskip(NEXT) | instid1(TRANS32_DEP_1)
	v_rcp_f32_e32 v22, v21
	v_fma_f32 v23, -v21, v22, 1.0
	s_delay_alu instid0(VALU_DEP_1) | instskip(SKIP_1) | instid1(VALU_DEP_1)
	v_fmac_f32_e32 v22, v23, v22
	v_div_scale_f32 v23, vcc_lo, 1.0, v20, 1.0
	v_mul_f32_e32 v24, v23, v22
	s_delay_alu instid0(VALU_DEP_1) | instskip(NEXT) | instid1(VALU_DEP_1)
	v_fma_f32 v25, -v21, v24, v23
	v_fmac_f32_e32 v24, v25, v22
	s_delay_alu instid0(VALU_DEP_1) | instskip(SKIP_1) | instid1(VALU_DEP_1)
	v_fma_f32 v21, -v21, v24, v23
	s_wait_alu 0xfffd
	v_div_fmas_f32 v21, v21, v22, v24
	s_delay_alu instid0(VALU_DEP_1) | instskip(NEXT) | instid1(VALU_DEP_1)
	v_div_fixup_f32 v21, v21, v20, 1.0
	v_cndmask_b32_e64 v20, v21, v20, s2
	s_delay_alu instid0(VALU_DEP_1)
	v_mul_f32_e32 v19, v19, v20
	ds_store_b32 v16, v19
.LBB55_25:                              ;   in Loop: Header=BB55_23 Depth=2
	s_or_b32 exec_lo, exec_lo, s41
	s_delay_alu instid0(SALU_CYCLE_1)
	s_mov_b32 s41, exec_lo
	s_wait_loadcnt_dscnt 0x0
	s_barrier_signal -1
	s_barrier_wait -1
	global_inv scope:SCOPE_SE
	v_cmpx_gt_i64_e64 s[34:35], v[2:3]
	s_cbranch_execz .LBB55_22
; %bb.26:                               ;   in Loop: Header=BB55_23 Depth=2
	flat_load_b32 v20, v[12:13]
	ds_load_b32 v21, v16
	s_wait_loadcnt_dscnt 0x0
	v_fma_f32 v19, -v20, v21, v19
	s_branch .LBB55_22
.LBB55_27:                              ;   in Loop: Header=BB55_4 Depth=1
	s_and_saveexec_b32 s30, s0
	s_cbranch_execz .LBB55_2
; %bb.28:                               ;   in Loop: Header=BB55_4 Depth=1
	v_mad_co_u64_u32 v[12:13], null, v2, s28, v[2:3]
	s_delay_alu instid0(VALU_DEP_1) | instskip(NEXT) | instid1(VALU_DEP_1)
	v_mad_co_u64_u32 v[13:14], null, v2, s29, v[13:14]
	v_lshlrev_b64_e32 v[12:13], 2, v[12:13]
	s_delay_alu instid0(VALU_DEP_1) | instskip(SKIP_1) | instid1(VALU_DEP_2)
	v_add_co_u32 v10, vcc_lo, v10, v12
	s_wait_alu 0xfffd
	v_add_co_ci_u32_e64 v11, null, v11, v13, vcc_lo
	flat_load_b32 v10, v[10:11]
	s_wait_loadcnt_dscnt 0x0
	v_div_scale_f32 v11, null, v10, v10, 1.0
	s_delay_alu instid0(VALU_DEP_1) | instskip(NEXT) | instid1(TRANS32_DEP_1)
	v_rcp_f32_e32 v12, v11
	v_fma_f32 v13, -v11, v12, 1.0
	s_delay_alu instid0(VALU_DEP_1) | instskip(SKIP_1) | instid1(VALU_DEP_1)
	v_fmac_f32_e32 v12, v13, v12
	v_div_scale_f32 v13, vcc_lo, 1.0, v10, 1.0
	v_mul_f32_e32 v14, v13, v12
	s_delay_alu instid0(VALU_DEP_1) | instskip(NEXT) | instid1(VALU_DEP_1)
	v_fma_f32 v15, -v11, v14, v13
	v_fmac_f32_e32 v14, v15, v12
	s_delay_alu instid0(VALU_DEP_1) | instskip(SKIP_1) | instid1(VALU_DEP_1)
	v_fma_f32 v11, -v11, v14, v13
	s_wait_alu 0xfffd
	v_div_fmas_f32 v11, v11, v12, v14
	s_delay_alu instid0(VALU_DEP_1) | instskip(NEXT) | instid1(VALU_DEP_1)
	v_div_fixup_f32 v11, v11, v10, 1.0
	v_cndmask_b32_e64 v10, v11, v10, s2
	s_delay_alu instid0(VALU_DEP_1)
	v_mul_f32_e32 v19, v19, v10
	s_branch .LBB55_2
.LBB55_29:
	s_endpgm
	.section	.rodata,"a",@progbits
	.p2align	6, 0x0
	.amdhsa_kernel _ZL40rocblas_trsm_block_backward_substitutionIffPKPKfPKPfLb1ELb1ELb0EEv18rocblas_operation_llT0_T1_lllT2_lllib
		.amdhsa_group_segment_fixed_size 0
		.amdhsa_private_segment_fixed_size 0
		.amdhsa_kernarg_size 360
		.amdhsa_user_sgpr_count 2
		.amdhsa_user_sgpr_dispatch_ptr 0
		.amdhsa_user_sgpr_queue_ptr 0
		.amdhsa_user_sgpr_kernarg_segment_ptr 1
		.amdhsa_user_sgpr_dispatch_id 0
		.amdhsa_user_sgpr_private_segment_size 0
		.amdhsa_wavefront_size32 1
		.amdhsa_uses_dynamic_stack 0
		.amdhsa_enable_private_segment 0
		.amdhsa_system_sgpr_workgroup_id_x 1
		.amdhsa_system_sgpr_workgroup_id_y 1
		.amdhsa_system_sgpr_workgroup_id_z 1
		.amdhsa_system_sgpr_workgroup_info 0
		.amdhsa_system_vgpr_workitem_id 1
		.amdhsa_next_free_vgpr 26
		.amdhsa_next_free_sgpr 44
		.amdhsa_reserve_vcc 1
		.amdhsa_float_round_mode_32 0
		.amdhsa_float_round_mode_16_64 0
		.amdhsa_float_denorm_mode_32 3
		.amdhsa_float_denorm_mode_16_64 3
		.amdhsa_fp16_overflow 0
		.amdhsa_workgroup_processor_mode 1
		.amdhsa_memory_ordered 1
		.amdhsa_forward_progress 1
		.amdhsa_inst_pref_size 15
		.amdhsa_round_robin_scheduling 0
		.amdhsa_exception_fp_ieee_invalid_op 0
		.amdhsa_exception_fp_denorm_src 0
		.amdhsa_exception_fp_ieee_div_zero 0
		.amdhsa_exception_fp_ieee_overflow 0
		.amdhsa_exception_fp_ieee_underflow 0
		.amdhsa_exception_fp_ieee_inexact 0
		.amdhsa_exception_int_div_zero 0
	.end_amdhsa_kernel
	.section	.text._ZL40rocblas_trsm_block_backward_substitutionIffPKPKfPKPfLb1ELb1ELb0EEv18rocblas_operation_llT0_T1_lllT2_lllib,"axG",@progbits,_ZL40rocblas_trsm_block_backward_substitutionIffPKPKfPKPfLb1ELb1ELb0EEv18rocblas_operation_llT0_T1_lllT2_lllib,comdat
.Lfunc_end55:
	.size	_ZL40rocblas_trsm_block_backward_substitutionIffPKPKfPKPfLb1ELb1ELb0EEv18rocblas_operation_llT0_T1_lllT2_lllib, .Lfunc_end55-_ZL40rocblas_trsm_block_backward_substitutionIffPKPKfPKPfLb1ELb1ELb0EEv18rocblas_operation_llT0_T1_lllT2_lllib
                                        ; -- End function
	.set _ZL40rocblas_trsm_block_backward_substitutionIffPKPKfPKPfLb1ELb1ELb0EEv18rocblas_operation_llT0_T1_lllT2_lllib.num_vgpr, 26
	.set _ZL40rocblas_trsm_block_backward_substitutionIffPKPKfPKPfLb1ELb1ELb0EEv18rocblas_operation_llT0_T1_lllT2_lllib.num_agpr, 0
	.set _ZL40rocblas_trsm_block_backward_substitutionIffPKPKfPKPfLb1ELb1ELb0EEv18rocblas_operation_llT0_T1_lllT2_lllib.numbered_sgpr, 44
	.set _ZL40rocblas_trsm_block_backward_substitutionIffPKPKfPKPfLb1ELb1ELb0EEv18rocblas_operation_llT0_T1_lllT2_lllib.num_named_barrier, 0
	.set _ZL40rocblas_trsm_block_backward_substitutionIffPKPKfPKPfLb1ELb1ELb0EEv18rocblas_operation_llT0_T1_lllT2_lllib.private_seg_size, 0
	.set _ZL40rocblas_trsm_block_backward_substitutionIffPKPKfPKPfLb1ELb1ELb0EEv18rocblas_operation_llT0_T1_lllT2_lllib.uses_vcc, 1
	.set _ZL40rocblas_trsm_block_backward_substitutionIffPKPKfPKPfLb1ELb1ELb0EEv18rocblas_operation_llT0_T1_lllT2_lllib.uses_flat_scratch, 0
	.set _ZL40rocblas_trsm_block_backward_substitutionIffPKPKfPKPfLb1ELb1ELb0EEv18rocblas_operation_llT0_T1_lllT2_lllib.has_dyn_sized_stack, 0
	.set _ZL40rocblas_trsm_block_backward_substitutionIffPKPKfPKPfLb1ELb1ELb0EEv18rocblas_operation_llT0_T1_lllT2_lllib.has_recursion, 0
	.set _ZL40rocblas_trsm_block_backward_substitutionIffPKPKfPKPfLb1ELb1ELb0EEv18rocblas_operation_llT0_T1_lllT2_lllib.has_indirect_call, 0
	.section	.AMDGPU.csdata,"",@progbits
; Kernel info:
; codeLenInByte = 1836
; TotalNumSgprs: 46
; NumVgprs: 26
; ScratchSize: 0
; MemoryBound: 0
; FloatMode: 240
; IeeeMode: 1
; LDSByteSize: 0 bytes/workgroup (compile time only)
; SGPRBlocks: 0
; VGPRBlocks: 3
; NumSGPRsForWavesPerEU: 46
; NumVGPRsForWavesPerEU: 26
; Occupancy: 16
; WaveLimiterHint : 1
; COMPUTE_PGM_RSRC2:SCRATCH_EN: 0
; COMPUTE_PGM_RSRC2:USER_SGPR: 2
; COMPUTE_PGM_RSRC2:TRAP_HANDLER: 0
; COMPUTE_PGM_RSRC2:TGID_X_EN: 1
; COMPUTE_PGM_RSRC2:TGID_Y_EN: 1
; COMPUTE_PGM_RSRC2:TGID_Z_EN: 1
; COMPUTE_PGM_RSRC2:TIDIG_COMP_CNT: 1
	.section	.text._ZL39rocblas_trsm_block_forward_substitutionIffPKPKfPKPfLb1ELb1ELb1EEv18rocblas_operation_llT0_T1_lllT2_lllib,"axG",@progbits,_ZL39rocblas_trsm_block_forward_substitutionIffPKPKfPKPfLb1ELb1ELb1EEv18rocblas_operation_llT0_T1_lllT2_lllib,comdat
	.globl	_ZL39rocblas_trsm_block_forward_substitutionIffPKPKfPKPfLb1ELb1ELb1EEv18rocblas_operation_llT0_T1_lllT2_lllib ; -- Begin function _ZL39rocblas_trsm_block_forward_substitutionIffPKPKfPKPfLb1ELb1ELb1EEv18rocblas_operation_llT0_T1_lllT2_lllib
	.p2align	8
	.type	_ZL39rocblas_trsm_block_forward_substitutionIffPKPKfPKPfLb1ELb1ELb1EEv18rocblas_operation_llT0_T1_lllT2_lllib,@function
_ZL39rocblas_trsm_block_forward_substitutionIffPKPKfPKPfLb1ELb1ELb1EEv18rocblas_operation_llT0_T1_lllT2_lllib: ; @_ZL39rocblas_trsm_block_forward_substitutionIffPKPKfPKPfLb1ELb1ELb1EEv18rocblas_operation_llT0_T1_lllT2_lllib
; %bb.0:
	s_load_b64 s[2:3], s[0:1], 0x60
	s_lshr_b32 s16, ttmp7, 16
	s_wait_kmcnt 0x0
	s_cmp_ge_u32 s16, s2
	s_cbranch_scc1 .LBB56_19
; %bb.1:
	s_clause 0x4
	s_load_b64 s[26:27], s[0:1], 0x50
	s_load_u16 s30, s[0:1], 0x76
	s_load_b128 s[4:7], s[0:1], 0x40
	s_load_b128 s[8:11], s[0:1], 0x8
	s_load_b32 s31, s[0:1], 0x18
	v_dual_mov_b32 v2, 0 :: v_dual_and_b32 v1, 0x3ff, v0
	v_bfe_u32 v0, v0, 10, 10
	s_bitcmp1_b32 s3, 0
	s_clause 0x1
	s_load_b128 s[12:15], s[0:1], 0x20
	s_load_b64 s[24:25], s[0:1], 0x30
	s_add_nc_u64 s[18:19], s[0:1], 0x68
	s_cselect_b32 s1, -1, 0
	s_and_b32 s0, ttmp7, 0xffff
	s_mov_b64 s[20:21], src_shared_base
	v_lshl_add_u32 v11, v0, 2, 0
	s_mov_b32 s17, 0
	s_mov_b64 s[22:23], 1
	s_wait_kmcnt 0x0
	v_mad_co_u64_u32 v[5:6], null, s26, v1, 0
	v_mad_co_u64_u32 v[7:8], null, s0, s30, v[0:1]
	s_lshl_b32 s3, s30, 2
	v_cmp_gt_i64_e64 s0, s[8:9], v[1:2]
	s_add_co_i32 s20, s3, 0
	v_cmp_gt_i64_e64 s3, s[8:9], 0
	v_dual_mov_b32 v3, v6 :: v_dual_mov_b32 v8, v2
	v_cmp_gt_i64_e64 s34, s[8:9], 1
	v_lshl_add_u32 v12, v1, 2, s20
	s_lshl_b64 s[14:15], s[14:15], 2
	v_mad_co_u64_u32 v[3:4], null, s27, v1, v[3:4]
	v_cmp_gt_i64_e32 vcc_lo, s[10:11], v[7:8]
	s_add_nc_u64 s[10:11], s[8:9], -1
	s_lshl_b64 s[6:7], s[6:7], 2
	s_and_b32 s33, vcc_lo, s0
	s_delay_alu instid0(VALU_DEP_2) | instskip(SKIP_1) | instid1(VALU_DEP_2)
	v_mov_b32_e32 v6, v3
	v_lshlrev_b64_e32 v[3:4], 2, v[7:8]
	v_lshlrev_b64_e32 v[5:6], 2, v[5:6]
	s_branch .LBB56_4
.LBB56_2:                               ;   in Loop: Header=BB56_4 Depth=1
	flat_store_b32 v[7:8], v13
.LBB56_3:                               ;   in Loop: Header=BB56_4 Depth=1
	s_or_b32 exec_lo, exec_lo, s35
	s_add_co_i32 s16, s16, 0x10000
	s_delay_alu instid0(SALU_CYCLE_1)
	s_cmp_lt_u32 s16, s2
	s_cbranch_scc0 .LBB56_19
.LBB56_4:                               ; =>This Loop Header: Depth=1
                                        ;     Child Loop BB56_9 Depth 2
                                        ;     Child Loop BB56_15 Depth 2
	s_lshl_b64 s[26:27], s[16:17], 3
	s_wait_alu 0xfffe
	s_add_nc_u64 s[28:29], s[12:13], s[26:27]
	s_add_nc_u64 s[26:27], s[4:5], s[26:27]
	global_load_b64 v[9:10], v2, s[28:29]
	s_wait_loadcnt 0x1
	global_load_b64 v[7:8], v2, s[26:27]
	s_wait_loadcnt 0x1
	v_add_co_u32 v9, vcc_lo, v9, s14
	s_wait_alu 0xfffd
	v_add_co_ci_u32_e64 v10, null, s15, v10, vcc_lo
	s_and_not1_b32 vcc_lo, exec_lo, s1
	s_wait_alu 0xfffe
	s_cbranch_vccz .LBB56_6
; %bb.5:                                ;   in Loop: Header=BB56_4 Depth=1
	s_and_saveexec_b32 s35, s33
	s_cbranch_execz .LBB56_3
	s_branch .LBB56_12
.LBB56_6:                               ;   in Loop: Header=BB56_4 Depth=1
	s_and_not1_b32 vcc_lo, exec_lo, s3
	s_wait_alu 0xfffe
	s_cbranch_vccnz .LBB56_11
; %bb.7:                                ;   in Loop: Header=BB56_4 Depth=1
	v_mad_co_u64_u32 v[13:14], null, s24, v1, 0
	s_mov_b32 s24, 0
	v_mad_co_u64_u32 v[14:15], null, s25, v1, v[14:15]
	s_delay_alu instid0(VALU_DEP_1) | instskip(NEXT) | instid1(VALU_DEP_1)
	v_lshlrev_b64_e32 v[13:14], 2, v[13:14]
	v_add_co_u32 v9, vcc_lo, v9, v13
	s_wait_alu 0xfffd
	s_delay_alu instid0(VALU_DEP_2)
	v_add_co_ci_u32_e64 v10, null, v10, v14, vcc_lo
	s_branch .LBB56_9
.LBB56_8:                               ;   in Loop: Header=BB56_9 Depth=2
	s_wait_alu 0xfffe
	s_or_b32 exec_lo, exec_lo, s25
	s_add_co_i32 s24, s24, s30
	s_wait_alu 0xfffe
	s_ashr_i32 s25, s24, 31
	s_wait_alu 0xfffe
	v_cmp_le_i64_e64 s25, s[8:9], s[24:25]
	s_and_b32 vcc_lo, exec_lo, s25
	s_wait_alu 0xfffe
	s_cbranch_vccnz .LBB56_11
.LBB56_9:                               ;   Parent Loop BB56_4 Depth=1
                                        ; =>  This Inner Loop Header: Depth=2
	s_wait_alu 0xfffe
	v_add_nc_u32_e32 v13, s24, v0
	s_delay_alu instid0(VALU_DEP_1)
	v_cmp_gt_i32_e32 vcc_lo, v1, v13
	s_and_b32 s26, s0, vcc_lo
	s_wait_alu 0xfffe
	s_and_saveexec_b32 s25, s26
	s_cbranch_execz .LBB56_8
; %bb.10:                               ;   in Loop: Header=BB56_9 Depth=2
	v_ashrrev_i32_e32 v16, 31, v13
	v_mul_lo_u32 v17, s23, v13
	v_mad_co_u64_u32 v[14:15], null, s22, v13, 0
	s_load_b32 s26, s[18:19], 0xc
	v_mul_lo_u32 v16, s22, v16
	s_delay_alu instid0(VALU_DEP_1) | instskip(NEXT) | instid1(VALU_DEP_1)
	v_add3_u32 v15, v15, v16, v17
	v_lshlrev_b64_e32 v[14:15], 2, v[14:15]
	s_wait_kmcnt 0x0
	s_and_b32 s26, s26, 0xffff
	s_delay_alu instid0(VALU_DEP_1) | instskip(SKIP_1) | instid1(VALU_DEP_2)
	v_add_co_u32 v14, vcc_lo, v9, v14
	s_wait_alu 0xfffd
	v_add_co_ci_u32_e64 v15, null, v10, v15, vcc_lo
	s_wait_alu 0xfffe
	v_mul_lo_u32 v13, v13, s26
	flat_load_b32 v14, v[14:15]
	v_lshl_add_u32 v13, v13, 2, v12
	s_wait_loadcnt_dscnt 0x0
	ds_store_b32 v13, v14
	s_branch .LBB56_8
.LBB56_11:                              ;   in Loop: Header=BB56_4 Depth=1
	s_load_b32 s22, s[18:19], 0xc
	v_dual_mov_b32 v9, s20 :: v_dual_mov_b32 v10, s21
	s_mov_b32 s23, s17
	s_mov_b64 s[24:25], 1
	s_wait_kmcnt 0x0
	s_and_b32 s22, s22, 0xffff
	s_and_saveexec_b32 s35, s33
	s_cbranch_execz .LBB56_3
.LBB56_12:                              ;   in Loop: Header=BB56_4 Depth=1
	s_wait_loadcnt 0x0
	v_add_co_u32 v7, vcc_lo, v7, s6
	s_wait_alu 0xfffd
	v_add_co_ci_u32_e64 v8, null, s7, v8, vcc_lo
	s_delay_alu instid0(VALU_DEP_2) | instskip(SKIP_1) | instid1(VALU_DEP_2)
	v_add_co_u32 v7, vcc_lo, v7, v5
	s_wait_alu 0xfffd
	v_add_co_ci_u32_e64 v8, null, v8, v6, vcc_lo
	s_delay_alu instid0(VALU_DEP_2) | instskip(SKIP_1) | instid1(VALU_DEP_2)
	v_add_co_u32 v7, vcc_lo, v7, v3
	s_wait_alu 0xfffd
	v_add_co_ci_u32_e64 v8, null, v8, v4, vcc_lo
	s_and_not1_b32 vcc_lo, exec_lo, s34
	flat_load_b32 v13, v[7:8]
	s_wait_loadcnt_dscnt 0x0
	v_mul_f32_e32 v13, s31, v13
	s_wait_alu 0xfffe
	s_cbranch_vccnz .LBB56_2
; %bb.13:                               ;   in Loop: Header=BB56_4 Depth=1
	v_mad_co_u64_u32 v[14:15], null, s24, v1, 0
	s_lshl_b64 s[26:27], s[22:23], 2
	s_mov_b64 s[28:29], 0
	v_mad_co_u64_u32 v[15:16], null, s25, v1, v[15:16]
	s_delay_alu instid0(VALU_DEP_1) | instskip(NEXT) | instid1(VALU_DEP_1)
	v_lshlrev_b64_e32 v[14:15], 2, v[14:15]
	v_add_co_u32 v9, vcc_lo, v9, v14
	s_wait_alu 0xfffd
	s_delay_alu instid0(VALU_DEP_2)
	v_add_co_ci_u32_e64 v10, null, v10, v15, vcc_lo
	s_branch .LBB56_15
.LBB56_14:                              ;   in Loop: Header=BB56_15 Depth=2
	s_or_b32 exec_lo, exec_lo, s36
	s_wait_alu 0xfffe
	v_add_co_u32 v9, vcc_lo, v9, s26
	s_wait_alu 0xfffd
	v_add_co_ci_u32_e64 v10, null, s27, v10, vcc_lo
	s_add_nc_u64 s[28:29], s[28:29], 1
	s_wait_alu 0xfffe
	s_cmp_eq_u64 s[10:11], s[28:29]
	s_cbranch_scc1 .LBB56_2
.LBB56_15:                              ;   Parent Loop BB56_4 Depth=1
                                        ; =>  This Inner Loop Header: Depth=2
	s_mov_b32 s36, exec_lo
	s_barrier_signal -1
	s_barrier_wait -1
	global_inv scope:SCOPE_SE
	s_wait_alu 0xfffe
	v_cmpx_eq_u64_e64 s[28:29], v[1:2]
; %bb.16:                               ;   in Loop: Header=BB56_15 Depth=2
	ds_store_b32 v11, v13
; %bb.17:                               ;   in Loop: Header=BB56_15 Depth=2
	s_or_b32 exec_lo, exec_lo, s36
	s_delay_alu instid0(SALU_CYCLE_1)
	s_mov_b32 s36, exec_lo
	s_wait_loadcnt_dscnt 0x0
	s_barrier_signal -1
	s_barrier_wait -1
	global_inv scope:SCOPE_SE
	v_cmpx_lt_u64_e64 s[28:29], v[1:2]
	s_cbranch_execz .LBB56_14
; %bb.18:                               ;   in Loop: Header=BB56_15 Depth=2
	flat_load_b32 v14, v[9:10]
	ds_load_b32 v15, v11
	s_wait_loadcnt_dscnt 0x0
	v_fma_f32 v13, -v14, v15, v13
	s_branch .LBB56_14
.LBB56_19:
	s_endpgm
	.section	.rodata,"a",@progbits
	.p2align	6, 0x0
	.amdhsa_kernel _ZL39rocblas_trsm_block_forward_substitutionIffPKPKfPKPfLb1ELb1ELb1EEv18rocblas_operation_llT0_T1_lllT2_lllib
		.amdhsa_group_segment_fixed_size 0
		.amdhsa_private_segment_fixed_size 0
		.amdhsa_kernarg_size 360
		.amdhsa_user_sgpr_count 2
		.amdhsa_user_sgpr_dispatch_ptr 0
		.amdhsa_user_sgpr_queue_ptr 0
		.amdhsa_user_sgpr_kernarg_segment_ptr 1
		.amdhsa_user_sgpr_dispatch_id 0
		.amdhsa_user_sgpr_private_segment_size 0
		.amdhsa_wavefront_size32 1
		.amdhsa_uses_dynamic_stack 0
		.amdhsa_enable_private_segment 0
		.amdhsa_system_sgpr_workgroup_id_x 1
		.amdhsa_system_sgpr_workgroup_id_y 1
		.amdhsa_system_sgpr_workgroup_id_z 1
		.amdhsa_system_sgpr_workgroup_info 0
		.amdhsa_system_vgpr_workitem_id 1
		.amdhsa_next_free_vgpr 18
		.amdhsa_next_free_sgpr 37
		.amdhsa_reserve_vcc 1
		.amdhsa_float_round_mode_32 0
		.amdhsa_float_round_mode_16_64 0
		.amdhsa_float_denorm_mode_32 3
		.amdhsa_float_denorm_mode_16_64 3
		.amdhsa_fp16_overflow 0
		.amdhsa_workgroup_processor_mode 1
		.amdhsa_memory_ordered 1
		.amdhsa_forward_progress 1
		.amdhsa_inst_pref_size 9
		.amdhsa_round_robin_scheduling 0
		.amdhsa_exception_fp_ieee_invalid_op 0
		.amdhsa_exception_fp_denorm_src 0
		.amdhsa_exception_fp_ieee_div_zero 0
		.amdhsa_exception_fp_ieee_overflow 0
		.amdhsa_exception_fp_ieee_underflow 0
		.amdhsa_exception_fp_ieee_inexact 0
		.amdhsa_exception_int_div_zero 0
	.end_amdhsa_kernel
	.section	.text._ZL39rocblas_trsm_block_forward_substitutionIffPKPKfPKPfLb1ELb1ELb1EEv18rocblas_operation_llT0_T1_lllT2_lllib,"axG",@progbits,_ZL39rocblas_trsm_block_forward_substitutionIffPKPKfPKPfLb1ELb1ELb1EEv18rocblas_operation_llT0_T1_lllT2_lllib,comdat
.Lfunc_end56:
	.size	_ZL39rocblas_trsm_block_forward_substitutionIffPKPKfPKPfLb1ELb1ELb1EEv18rocblas_operation_llT0_T1_lllT2_lllib, .Lfunc_end56-_ZL39rocblas_trsm_block_forward_substitutionIffPKPKfPKPfLb1ELb1ELb1EEv18rocblas_operation_llT0_T1_lllT2_lllib
                                        ; -- End function
	.set _ZL39rocblas_trsm_block_forward_substitutionIffPKPKfPKPfLb1ELb1ELb1EEv18rocblas_operation_llT0_T1_lllT2_lllib.num_vgpr, 18
	.set _ZL39rocblas_trsm_block_forward_substitutionIffPKPKfPKPfLb1ELb1ELb1EEv18rocblas_operation_llT0_T1_lllT2_lllib.num_agpr, 0
	.set _ZL39rocblas_trsm_block_forward_substitutionIffPKPKfPKPfLb1ELb1ELb1EEv18rocblas_operation_llT0_T1_lllT2_lllib.numbered_sgpr, 37
	.set _ZL39rocblas_trsm_block_forward_substitutionIffPKPKfPKPfLb1ELb1ELb1EEv18rocblas_operation_llT0_T1_lllT2_lllib.num_named_barrier, 0
	.set _ZL39rocblas_trsm_block_forward_substitutionIffPKPKfPKPfLb1ELb1ELb1EEv18rocblas_operation_llT0_T1_lllT2_lllib.private_seg_size, 0
	.set _ZL39rocblas_trsm_block_forward_substitutionIffPKPKfPKPfLb1ELb1ELb1EEv18rocblas_operation_llT0_T1_lllT2_lllib.uses_vcc, 1
	.set _ZL39rocblas_trsm_block_forward_substitutionIffPKPKfPKPfLb1ELb1ELb1EEv18rocblas_operation_llT0_T1_lllT2_lllib.uses_flat_scratch, 0
	.set _ZL39rocblas_trsm_block_forward_substitutionIffPKPKfPKPfLb1ELb1ELb1EEv18rocblas_operation_llT0_T1_lllT2_lllib.has_dyn_sized_stack, 0
	.set _ZL39rocblas_trsm_block_forward_substitutionIffPKPKfPKPfLb1ELb1ELb1EEv18rocblas_operation_llT0_T1_lllT2_lllib.has_recursion, 0
	.set _ZL39rocblas_trsm_block_forward_substitutionIffPKPKfPKPfLb1ELb1ELb1EEv18rocblas_operation_llT0_T1_lllT2_lllib.has_indirect_call, 0
	.section	.AMDGPU.csdata,"",@progbits
; Kernel info:
; codeLenInByte = 1060
; TotalNumSgprs: 39
; NumVgprs: 18
; ScratchSize: 0
; MemoryBound: 0
; FloatMode: 240
; IeeeMode: 1
; LDSByteSize: 0 bytes/workgroup (compile time only)
; SGPRBlocks: 0
; VGPRBlocks: 2
; NumSGPRsForWavesPerEU: 39
; NumVGPRsForWavesPerEU: 18
; Occupancy: 16
; WaveLimiterHint : 1
; COMPUTE_PGM_RSRC2:SCRATCH_EN: 0
; COMPUTE_PGM_RSRC2:USER_SGPR: 2
; COMPUTE_PGM_RSRC2:TRAP_HANDLER: 0
; COMPUTE_PGM_RSRC2:TGID_X_EN: 1
; COMPUTE_PGM_RSRC2:TGID_Y_EN: 1
; COMPUTE_PGM_RSRC2:TGID_Z_EN: 1
; COMPUTE_PGM_RSRC2:TIDIG_COMP_CNT: 1
	.section	.text._ZL40rocblas_trsm_block_backward_substitutionIffPKPKfPKPfLb1ELb1ELb1EEv18rocblas_operation_llT0_T1_lllT2_lllib,"axG",@progbits,_ZL40rocblas_trsm_block_backward_substitutionIffPKPKfPKPfLb1ELb1ELb1EEv18rocblas_operation_llT0_T1_lllT2_lllib,comdat
	.globl	_ZL40rocblas_trsm_block_backward_substitutionIffPKPKfPKPfLb1ELb1ELb1EEv18rocblas_operation_llT0_T1_lllT2_lllib ; -- Begin function _ZL40rocblas_trsm_block_backward_substitutionIffPKPKfPKPfLb1ELb1ELb1EEv18rocblas_operation_llT0_T1_lllT2_lllib
	.p2align	8
	.type	_ZL40rocblas_trsm_block_backward_substitutionIffPKPKfPKPfLb1ELb1ELb1EEv18rocblas_operation_llT0_T1_lllT2_lllib,@function
_ZL40rocblas_trsm_block_backward_substitutionIffPKPKfPKPfLb1ELb1ELb1EEv18rocblas_operation_llT0_T1_lllT2_lllib: ; @_ZL40rocblas_trsm_block_backward_substitutionIffPKPKfPKPfLb1ELb1ELb1EEv18rocblas_operation_llT0_T1_lllT2_lllib
; %bb.0:
	s_load_b64 s[2:3], s[0:1], 0x60
	s_lshr_b32 s16, ttmp7, 16
	s_wait_kmcnt 0x0
	s_cmp_ge_u32 s16, s2
	s_cbranch_scc1 .LBB57_19
; %bb.1:
	s_clause 0x1
	s_load_u16 s30, s[0:1], 0x76
	s_load_b64 s[24:25], s[0:1], 0x50
	v_bfe_u32 v1, v0, 10, 10
	s_bitcmp1_b32 s3, 0
	v_mov_b32_e32 v3, 0
	s_cselect_b32 s3, -1, 0
	s_and_b32 s4, ttmp7, 0xffff
	s_add_nc_u64 s[20:21], s[0:1], 0x68
	s_mov_b64 s[22:23], src_shared_base
	v_lshl_add_u32 v10, v1, 2, 0
	s_mov_b32 s17, 0
	s_wait_kmcnt 0x0
	v_mad_co_u64_u32 v[4:5], null, s4, s30, v[1:2]
	s_clause 0x4
	s_load_b128 s[4:7], s[0:1], 0x8
	s_load_b128 s[8:11], s[0:1], 0x40
	s_load_b32 s31, s[0:1], 0x18
	s_load_b128 s[12:15], s[0:1], 0x20
	s_load_b64 s[18:19], s[0:1], 0x30
	v_and_b32_e32 v2, 0x3ff, v0
	s_lshl_b32 s1, s30, 2
	s_delay_alu instid0(SALU_CYCLE_1) | instskip(SKIP_1) | instid1(VALU_DEP_2)
	s_add_co_i32 s22, s1, 0
	v_mad_co_u64_u32 v[6:7], null, s24, v4, 0
	v_lshlrev_b32_e32 v0, 2, v2
	v_lshlrev_b32_e32 v12, 2, v2
	s_delay_alu instid0(VALU_DEP_2) | instskip(NEXT) | instid1(VALU_DEP_4)
	v_add_nc_u32_e32 v11, s22, v0
	v_mov_b32_e32 v5, v7
	s_delay_alu instid0(VALU_DEP_1)
	v_mad_co_u64_u32 v[7:8], null, s25, v4, v[5:6]
	v_mov_b32_e32 v5, v3
	s_wait_kmcnt 0x0
	v_cmp_gt_i64_e64 s0, s[4:5], v[2:3]
	v_cmp_gt_i64_e64 s33, s[4:5], 0
	;; [unrolled: 1-line block ×3, first 2 shown]
	s_add_nc_u64 s[24:25], s[4:5], -1
	v_cmp_gt_i64_e32 vcc_lo, s[6:7], v[4:5]
	v_lshlrev_b64_e32 v[4:5], 2, v[6:7]
	s_wait_alu 0xfffe
	s_lshl_b64 s[6:7], s[24:25], 2
	s_lshl_b64 s[14:15], s[14:15], 2
	;; [unrolled: 1-line block ×3, first 2 shown]
	s_and_b32 s34, vcc_lo, s0
	s_branch .LBB57_4
.LBB57_2:                               ;   in Loop: Header=BB57_4 Depth=1
	flat_store_b32 v[6:7], v13
.LBB57_3:                               ;   in Loop: Header=BB57_4 Depth=1
	s_or_b32 exec_lo, exec_lo, s1
	s_add_co_i32 s16, s16, 0x10000
	s_delay_alu instid0(SALU_CYCLE_1)
	s_cmp_lt_u32 s16, s2
	s_cbranch_scc0 .LBB57_19
.LBB57_4:                               ; =>This Loop Header: Depth=1
                                        ;     Child Loop BB57_9 Depth 2
                                        ;     Child Loop BB57_15 Depth 2
	s_lshl_b64 s[26:27], s[16:17], 3
	s_wait_alu 0xfffe
	s_add_nc_u64 s[28:29], s[12:13], s[26:27]
	s_add_nc_u64 s[26:27], s[8:9], s[26:27]
	global_load_b64 v[8:9], v3, s[28:29]
	s_wait_loadcnt 0x1
	global_load_b64 v[6:7], v3, s[26:27]
	s_mov_b64 s[26:27], s[18:19]
	s_wait_loadcnt 0x1
	v_add_co_u32 v8, vcc_lo, v8, s14
	s_wait_alu 0xfffd
	v_add_co_ci_u32_e64 v9, null, s15, v9, vcc_lo
	s_and_not1_b32 vcc_lo, exec_lo, s3
	s_wait_alu 0xfffe
	s_cbranch_vccz .LBB57_6
; %bb.5:                                ;   in Loop: Header=BB57_4 Depth=1
	s_and_saveexec_b32 s1, s34
	s_cbranch_execz .LBB57_3
	s_branch .LBB57_12
.LBB57_6:                               ;   in Loop: Header=BB57_4 Depth=1
	s_and_not1_b32 vcc_lo, exec_lo, s33
	s_wait_alu 0xfffe
	s_cbranch_vccnz .LBB57_11
; %bb.7:                                ;   in Loop: Header=BB57_4 Depth=1
	v_add_co_u32 v13, vcc_lo, v8, v12
	s_wait_alu 0xfffd
	v_add_co_ci_u32_e64 v14, null, 0, v9, vcc_lo
	s_mov_b32 s26, 0
	s_branch .LBB57_9
.LBB57_8:                               ;   in Loop: Header=BB57_9 Depth=2
	s_or_b32 exec_lo, exec_lo, s1
	s_add_co_i32 s26, s26, s30
	s_wait_alu 0xfffe
	s_ashr_i32 s27, s26, 31
	s_wait_alu 0xfffe
	v_cmp_le_i64_e64 s1, s[4:5], s[26:27]
	s_and_b32 vcc_lo, exec_lo, s1
	s_wait_alu 0xfffe
	s_cbranch_vccnz .LBB57_11
.LBB57_9:                               ;   Parent Loop BB57_4 Depth=1
                                        ; =>  This Inner Loop Header: Depth=2
	s_wait_alu 0xfffe
	v_add_nc_u32_e32 v8, s26, v1
	s_delay_alu instid0(VALU_DEP_1) | instskip(SKIP_1) | instid1(VALU_DEP_2)
	v_ashrrev_i32_e32 v9, 31, v8
	v_cmp_lt_i32_e64 s1, v2, v8
	v_cmp_gt_i64_e32 vcc_lo, s[4:5], v[8:9]
	s_and_b32 s1, s1, vcc_lo
	s_delay_alu instid0(SALU_CYCLE_1)
	s_and_b32 s27, s0, s1
	s_wait_alu 0xfffe
	s_and_saveexec_b32 s1, s27
	s_cbranch_execz .LBB57_8
; %bb.10:                               ;   in Loop: Header=BB57_9 Depth=2
	v_mul_lo_u32 v17, s19, v8
	v_mul_lo_u32 v9, s18, v9
	v_mad_co_u64_u32 v[15:16], null, s18, v8, 0
	s_load_b32 s27, s[20:21], 0xc
	v_add3_u32 v16, v16, v9, v17
	s_delay_alu instid0(VALU_DEP_1) | instskip(NEXT) | instid1(VALU_DEP_1)
	v_lshlrev_b64_e32 v[15:16], 2, v[15:16]
	v_add_co_u32 v15, vcc_lo, v13, v15
	s_wait_alu 0xfffd
	s_delay_alu instid0(VALU_DEP_2)
	v_add_co_ci_u32_e64 v16, null, v14, v16, vcc_lo
	s_wait_kmcnt 0x0
	s_and_b32 s27, s27, 0xffff
	s_wait_alu 0xfffe
	v_mul_lo_u32 v8, v8, s27
	flat_load_b32 v9, v[15:16]
	v_lshl_add_u32 v8, v8, 2, v11
	s_wait_loadcnt_dscnt 0x0
	ds_store_b32 v8, v9
	s_branch .LBB57_8
.LBB57_11:                              ;   in Loop: Header=BB57_4 Depth=1
	s_load_b32 s1, s[20:21], 0xc
	v_dual_mov_b32 v8, s22 :: v_dual_mov_b32 v9, s23
	s_mov_b32 s27, s17
	s_wait_kmcnt 0x0
	s_and_b32 s26, s1, 0xffff
	s_and_saveexec_b32 s1, s34
	s_cbranch_execz .LBB57_3
.LBB57_12:                              ;   in Loop: Header=BB57_4 Depth=1
	s_wait_loadcnt 0x0
	v_add_co_u32 v6, vcc_lo, v6, s10
	s_wait_alu 0xfffd
	v_add_co_ci_u32_e64 v7, null, s11, v7, vcc_lo
	s_delay_alu instid0(VALU_DEP_2) | instskip(SKIP_1) | instid1(VALU_DEP_2)
	v_add_co_u32 v6, vcc_lo, v6, v4
	s_wait_alu 0xfffd
	v_add_co_ci_u32_e64 v7, null, v7, v5, vcc_lo
	s_delay_alu instid0(VALU_DEP_2) | instskip(SKIP_1) | instid1(VALU_DEP_2)
	v_add_co_u32 v6, vcc_lo, v6, v12
	s_wait_alu 0xfffd
	v_add_co_ci_u32_e64 v7, null, 0, v7, vcc_lo
	s_and_not1_b32 vcc_lo, exec_lo, s35
	flat_load_b32 v13, v[6:7]
	s_wait_loadcnt_dscnt 0x0
	v_mul_f32_e32 v13, s31, v13
	s_wait_alu 0xfffe
	s_cbranch_vccnz .LBB57_2
; %bb.13:                               ;   in Loop: Header=BB57_4 Depth=1
	v_add_co_u32 v8, vcc_lo, v8, v0
	s_wait_alu 0xfffd
	v_add_co_ci_u32_e64 v9, null, 0, v9, vcc_lo
	s_mul_i32 s28, s7, s26
	s_mul_i32 s29, s6, s27
	v_mad_co_u64_u32 v[8:9], null, s6, s26, v[8:9]
	s_lshl_b64 s[26:27], s[26:27], 2
	s_wait_alu 0xfffe
	s_sub_nc_u64 s[26:27], 0, s[26:27]
	v_add3_u32 v9, s29, s28, v9
	s_mov_b64 s[28:29], s[24:25]
	s_branch .LBB57_15
.LBB57_14:                              ;   in Loop: Header=BB57_15 Depth=2
	s_wait_alu 0xfffe
	s_or_b32 exec_lo, exec_lo, s36
	s_add_nc_u64 s[36:37], s[28:29], 1
	v_add_co_u32 v8, vcc_lo, v8, s26
	s_wait_alu 0xfffe
	v_cmp_lt_u64_e64 s36, s[36:37], 3
	s_wait_alu 0xfffd
	v_add_co_ci_u32_e64 v9, null, s27, v9, vcc_lo
	s_add_nc_u64 s[28:29], s[28:29], -1
	s_and_b32 vcc_lo, exec_lo, s36
	s_wait_alu 0xfffe
	s_cbranch_vccnz .LBB57_2
.LBB57_15:                              ;   Parent Loop BB57_4 Depth=1
                                        ; =>  This Inner Loop Header: Depth=2
	s_mov_b32 s36, exec_lo
	s_barrier_signal -1
	s_barrier_wait -1
	global_inv scope:SCOPE_SE
	s_wait_alu 0xfffe
	v_cmpx_eq_u64_e64 s[28:29], v[2:3]
; %bb.16:                               ;   in Loop: Header=BB57_15 Depth=2
	ds_store_b32 v10, v13
; %bb.17:                               ;   in Loop: Header=BB57_15 Depth=2
	s_or_b32 exec_lo, exec_lo, s36
	s_delay_alu instid0(SALU_CYCLE_1)
	s_mov_b32 s36, exec_lo
	s_wait_loadcnt_dscnt 0x0
	s_barrier_signal -1
	s_barrier_wait -1
	global_inv scope:SCOPE_SE
	v_cmpx_gt_i64_e64 s[28:29], v[2:3]
	s_cbranch_execz .LBB57_14
; %bb.18:                               ;   in Loop: Header=BB57_15 Depth=2
	flat_load_b32 v14, v[8:9]
	ds_load_b32 v15, v10
	s_wait_loadcnt_dscnt 0x0
	v_fma_f32 v13, -v14, v15, v13
	s_branch .LBB57_14
.LBB57_19:
	s_endpgm
	.section	.rodata,"a",@progbits
	.p2align	6, 0x0
	.amdhsa_kernel _ZL40rocblas_trsm_block_backward_substitutionIffPKPKfPKPfLb1ELb1ELb1EEv18rocblas_operation_llT0_T1_lllT2_lllib
		.amdhsa_group_segment_fixed_size 0
		.amdhsa_private_segment_fixed_size 0
		.amdhsa_kernarg_size 360
		.amdhsa_user_sgpr_count 2
		.amdhsa_user_sgpr_dispatch_ptr 0
		.amdhsa_user_sgpr_queue_ptr 0
		.amdhsa_user_sgpr_kernarg_segment_ptr 1
		.amdhsa_user_sgpr_dispatch_id 0
		.amdhsa_user_sgpr_private_segment_size 0
		.amdhsa_wavefront_size32 1
		.amdhsa_uses_dynamic_stack 0
		.amdhsa_enable_private_segment 0
		.amdhsa_system_sgpr_workgroup_id_x 1
		.amdhsa_system_sgpr_workgroup_id_y 1
		.amdhsa_system_sgpr_workgroup_id_z 1
		.amdhsa_system_sgpr_workgroup_info 0
		.amdhsa_system_vgpr_workitem_id 1
		.amdhsa_next_free_vgpr 18
		.amdhsa_next_free_sgpr 38
		.amdhsa_reserve_vcc 1
		.amdhsa_float_round_mode_32 0
		.amdhsa_float_round_mode_16_64 0
		.amdhsa_float_denorm_mode_32 3
		.amdhsa_float_denorm_mode_16_64 3
		.amdhsa_fp16_overflow 0
		.amdhsa_workgroup_processor_mode 1
		.amdhsa_memory_ordered 1
		.amdhsa_forward_progress 1
		.amdhsa_inst_pref_size 9
		.amdhsa_round_robin_scheduling 0
		.amdhsa_exception_fp_ieee_invalid_op 0
		.amdhsa_exception_fp_denorm_src 0
		.amdhsa_exception_fp_ieee_div_zero 0
		.amdhsa_exception_fp_ieee_overflow 0
		.amdhsa_exception_fp_ieee_underflow 0
		.amdhsa_exception_fp_ieee_inexact 0
		.amdhsa_exception_int_div_zero 0
	.end_amdhsa_kernel
	.section	.text._ZL40rocblas_trsm_block_backward_substitutionIffPKPKfPKPfLb1ELb1ELb1EEv18rocblas_operation_llT0_T1_lllT2_lllib,"axG",@progbits,_ZL40rocblas_trsm_block_backward_substitutionIffPKPKfPKPfLb1ELb1ELb1EEv18rocblas_operation_llT0_T1_lllT2_lllib,comdat
.Lfunc_end57:
	.size	_ZL40rocblas_trsm_block_backward_substitutionIffPKPKfPKPfLb1ELb1ELb1EEv18rocblas_operation_llT0_T1_lllT2_lllib, .Lfunc_end57-_ZL40rocblas_trsm_block_backward_substitutionIffPKPKfPKPfLb1ELb1ELb1EEv18rocblas_operation_llT0_T1_lllT2_lllib
                                        ; -- End function
	.set _ZL40rocblas_trsm_block_backward_substitutionIffPKPKfPKPfLb1ELb1ELb1EEv18rocblas_operation_llT0_T1_lllT2_lllib.num_vgpr, 18
	.set _ZL40rocblas_trsm_block_backward_substitutionIffPKPKfPKPfLb1ELb1ELb1EEv18rocblas_operation_llT0_T1_lllT2_lllib.num_agpr, 0
	.set _ZL40rocblas_trsm_block_backward_substitutionIffPKPKfPKPfLb1ELb1ELb1EEv18rocblas_operation_llT0_T1_lllT2_lllib.numbered_sgpr, 38
	.set _ZL40rocblas_trsm_block_backward_substitutionIffPKPKfPKPfLb1ELb1ELb1EEv18rocblas_operation_llT0_T1_lllT2_lllib.num_named_barrier, 0
	.set _ZL40rocblas_trsm_block_backward_substitutionIffPKPKfPKPfLb1ELb1ELb1EEv18rocblas_operation_llT0_T1_lllT2_lllib.private_seg_size, 0
	.set _ZL40rocblas_trsm_block_backward_substitutionIffPKPKfPKPfLb1ELb1ELb1EEv18rocblas_operation_llT0_T1_lllT2_lllib.uses_vcc, 1
	.set _ZL40rocblas_trsm_block_backward_substitutionIffPKPKfPKPfLb1ELb1ELb1EEv18rocblas_operation_llT0_T1_lllT2_lllib.uses_flat_scratch, 0
	.set _ZL40rocblas_trsm_block_backward_substitutionIffPKPKfPKPfLb1ELb1ELb1EEv18rocblas_operation_llT0_T1_lllT2_lllib.has_dyn_sized_stack, 0
	.set _ZL40rocblas_trsm_block_backward_substitutionIffPKPKfPKPfLb1ELb1ELb1EEv18rocblas_operation_llT0_T1_lllT2_lllib.has_recursion, 0
	.set _ZL40rocblas_trsm_block_backward_substitutionIffPKPKfPKPfLb1ELb1ELb1EEv18rocblas_operation_llT0_T1_lllT2_lllib.has_indirect_call, 0
	.section	.AMDGPU.csdata,"",@progbits
; Kernel info:
; codeLenInByte = 1076
; TotalNumSgprs: 40
; NumVgprs: 18
; ScratchSize: 0
; MemoryBound: 0
; FloatMode: 240
; IeeeMode: 1
; LDSByteSize: 0 bytes/workgroup (compile time only)
; SGPRBlocks: 0
; VGPRBlocks: 2
; NumSGPRsForWavesPerEU: 40
; NumVGPRsForWavesPerEU: 18
; Occupancy: 16
; WaveLimiterHint : 1
; COMPUTE_PGM_RSRC2:SCRATCH_EN: 0
; COMPUTE_PGM_RSRC2:USER_SGPR: 2
; COMPUTE_PGM_RSRC2:TRAP_HANDLER: 0
; COMPUTE_PGM_RSRC2:TGID_X_EN: 1
; COMPUTE_PGM_RSRC2:TGID_Y_EN: 1
; COMPUTE_PGM_RSRC2:TGID_Z_EN: 1
; COMPUTE_PGM_RSRC2:TIDIG_COMP_CNT: 1
	.section	.text._ZL39rocblas_trsm_block_forward_substitutionIffPKPKfPKPfLb1ELb0ELb0EEv18rocblas_operation_llT0_T1_lllT2_lllib,"axG",@progbits,_ZL39rocblas_trsm_block_forward_substitutionIffPKPKfPKPfLb1ELb0ELb0EEv18rocblas_operation_llT0_T1_lllT2_lllib,comdat
	.globl	_ZL39rocblas_trsm_block_forward_substitutionIffPKPKfPKPfLb1ELb0ELb0EEv18rocblas_operation_llT0_T1_lllT2_lllib ; -- Begin function _ZL39rocblas_trsm_block_forward_substitutionIffPKPKfPKPfLb1ELb0ELb0EEv18rocblas_operation_llT0_T1_lllT2_lllib
	.p2align	8
	.type	_ZL39rocblas_trsm_block_forward_substitutionIffPKPKfPKPfLb1ELb0ELb0EEv18rocblas_operation_llT0_T1_lllT2_lllib,@function
_ZL39rocblas_trsm_block_forward_substitutionIffPKPKfPKPfLb1ELb0ELb0EEv18rocblas_operation_llT0_T1_lllT2_lllib: ; @_ZL39rocblas_trsm_block_forward_substitutionIffPKPKfPKPfLb1ELb0ELb0EEv18rocblas_operation_llT0_T1_lllT2_lllib
; %bb.0:
	s_load_b64 s[16:17], s[0:1], 0x60
	s_lshr_b32 s18, ttmp7, 16
	s_wait_kmcnt 0x0
	s_cmp_ge_u32 s18, s16
	s_cbranch_scc1 .LBB58_27
; %bb.1:
	s_clause 0x1
	s_load_u16 s33, s[0:1], 0x76
	s_load_b64 s[26:27], s[0:1], 0x50
	v_bfe_u32 v1, v0, 10, 10
	s_bitcmp1_b32 s17, 0
	s_clause 0x2
	s_load_b128 s[4:7], s[0:1], 0x8
	s_load_b128 s[8:11], s[0:1], 0x40
	s_load_b32 s17, s[0:1], 0x18
	s_cselect_b32 s2, -1, 0
	s_and_b32 s3, ttmp7, 0xffff
	s_clause 0x1
	s_load_b128 s[12:15], s[0:1], 0x20
	s_load_b64 s[28:29], s[0:1], 0x30
	s_add_nc_u64 s[20:21], s[0:1], 0x68
	s_mov_b64 s[22:23], src_shared_base
	s_mov_b32 s19, 0
	s_mov_b64 s[24:25], 1
	v_mov_b32_e32 v3, 0
	s_wait_kmcnt 0x0
	v_mad_co_u64_u32 v[4:5], null, s3, s33, v[1:2]
	v_and_b32_e32 v2, 0x3ff, v0
	s_lshl_b32 s0, s33, 2
	v_cmp_gt_i64_e64 s34, s[4:5], 0
	v_mov_b32_e32 v5, v3
	s_add_co_i32 s22, s0, 0
	v_cmp_gt_i64_e64 s1, s[4:5], v[2:3]
	v_mad_co_u64_u32 v[6:7], null, s26, v4, 0
	s_delay_alu instid0(VALU_DEP_3)
	v_cmp_gt_i64_e64 s3, s[6:7], v[4:5]
	v_cmp_le_i64_e32 vcc_lo, s[4:5], v[2:3]
	v_lshl_add_u32 v0, v1, 2, 0
	v_lshl_add_u32 v14, v2, 2, s22
	v_lshlrev_b32_e32 v15, 2, v2
	s_lshl_b64 s[6:7], s[14:15], 2
	v_mad_co_u64_u32 v[7:8], null, s27, v4, v[7:8]
	s_add_nc_u64 s[26:27], s[4:5], -1
	s_and_b32 s1, s3, s1
	s_wait_alu 0xfffe
	v_cmp_eq_u64_e64 s0, s[26:27], v[2:3]
	v_cmp_gt_i64_e64 s3, s[4:5], 1
	s_lshl_b64 s[10:11], s[10:11], 2
	s_xor_b32 s35, vcc_lo, -1
	v_lshlrev_b64_e32 v[4:5], 2, v[6:7]
	s_branch .LBB58_4
.LBB58_2:                               ;   in Loop: Header=BB58_4 Depth=1
	s_wait_alu 0xfffe
	s_or_b32 exec_lo, exec_lo, s14
	flat_store_b32 v[8:9], v16
.LBB58_3:                               ;   in Loop: Header=BB58_4 Depth=1
	s_or_b32 exec_lo, exec_lo, s36
	s_add_co_i32 s18, s18, 0x10000
	s_delay_alu instid0(SALU_CYCLE_1)
	s_cmp_lt_u32 s18, s16
	s_cbranch_scc0 .LBB58_27
.LBB58_4:                               ; =>This Loop Header: Depth=1
                                        ;     Child Loop BB58_9 Depth 2
                                        ;     Child Loop BB58_21 Depth 2
	s_lshl_b64 s[14:15], s[18:19], 3
	s_wait_alu 0xfffe
	s_add_nc_u64 s[30:31], s[12:13], s[14:15]
	s_add_nc_u64 s[14:15], s[8:9], s[14:15]
	global_load_b64 v[6:7], v3, s[30:31]
	s_wait_loadcnt 0x1
	global_load_b64 v[8:9], v3, s[14:15]
	s_wait_loadcnt 0x1
	v_add_co_u32 v6, vcc_lo, v6, s6
	s_wait_alu 0xfffd
	v_add_co_ci_u32_e64 v7, null, s7, v7, vcc_lo
	s_and_not1_b32 vcc_lo, exec_lo, s2
	s_wait_alu 0xfffe
	s_cbranch_vccz .LBB58_6
; %bb.5:                                ;   in Loop: Header=BB58_4 Depth=1
	s_and_saveexec_b32 s36, s1
	s_cbranch_execz .LBB58_3
	s_branch .LBB58_18
.LBB58_6:                               ;   in Loop: Header=BB58_4 Depth=1
	s_and_not1_b32 vcc_lo, exec_lo, s34
	s_wait_alu 0xfffe
	s_cbranch_vccnz .LBB58_17
; %bb.7:                                ;   in Loop: Header=BB58_4 Depth=1
	v_mad_co_u64_u32 v[10:11], null, s28, v2, 0
	s_wait_dscnt 0x0
	v_mul_hi_u32_u24_e32 v13, s24, v2
	s_mov_b32 s14, s33
	s_delay_alu instid0(VALU_DEP_2) | instskip(SKIP_1) | instid1(VALU_DEP_1)
	v_mad_co_u64_u32 v[11:12], null, s29, v2, v[11:12]
	v_mul_u32_u24_e32 v12, s24, v2
	v_lshlrev_b64_e32 v[12:13], 2, v[12:13]
	s_delay_alu instid0(VALU_DEP_3) | instskip(NEXT) | instid1(VALU_DEP_1)
	v_lshlrev_b64_e32 v[10:11], 2, v[10:11]
	v_add_co_u32 v10, vcc_lo, v6, v10
	s_wait_alu 0xfffd
	s_delay_alu instid0(VALU_DEP_2) | instskip(NEXT) | instid1(VALU_DEP_2)
	v_add_co_ci_u32_e64 v11, null, v7, v11, vcc_lo
	v_add_co_u32 v6, vcc_lo, v10, v12
	s_wait_alu 0xfffd
	s_delay_alu instid0(VALU_DEP_2)
	v_add_co_ci_u32_e64 v7, null, v11, v13, vcc_lo
	v_mov_b32_e32 v12, v1
	s_branch .LBB58_9
.LBB58_8:                               ;   in Loop: Header=BB58_9 Depth=2
	s_wait_alu 0xfffe
	s_or_b32 exec_lo, exec_lo, s28
	s_ashr_i32 s15, s14, 31
	v_add_nc_u32_e32 v12, s33, v12
	s_wait_alu 0xfffe
	v_cmp_le_i64_e64 s15, s[4:5], s[14:15]
	s_add_co_i32 s14, s14, s33
	s_and_b32 vcc_lo, exec_lo, s15
	s_wait_alu 0xfffe
	s_cbranch_vccnz .LBB58_17
.LBB58_9:                               ;   Parent Loop BB58_4 Depth=1
                                        ; =>  This Inner Loop Header: Depth=2
	s_delay_alu instid0(VALU_DEP_1)
	v_cmp_gt_i32_e32 vcc_lo, v2, v12
	s_mov_b32 s15, 0
                                        ; implicit-def: $vgpr13
	s_and_b32 s28, s35, vcc_lo
	s_wait_alu 0xfffe
	s_and_saveexec_b32 s29, s28
	s_wait_alu 0xfffe
	s_xor_b32 s28, exec_lo, s29
	s_cbranch_execnz .LBB58_12
; %bb.10:                               ;   in Loop: Header=BB58_9 Depth=2
	s_wait_alu 0xfffe
	s_or_saveexec_b32 s28, s28
	v_mov_b32_e32 v16, v12
	s_wait_alu 0xfffe
	s_xor_b32 exec_lo, exec_lo, s28
	s_cbranch_execnz .LBB58_13
.LBB58_11:                              ;   in Loop: Header=BB58_9 Depth=2
	s_or_b32 exec_lo, exec_lo, s28
	s_and_saveexec_b32 s28, s15
	s_cbranch_execz .LBB58_8
	s_branch .LBB58_16
.LBB58_12:                              ;   in Loop: Header=BB58_9 Depth=2
	s_wait_loadcnt_dscnt 0x0
	v_ashrrev_i32_e32 v13, 31, v12
	v_mul_lo_u32 v18, s25, v12
	v_mad_co_u64_u32 v[16:17], null, s24, v12, 0
	s_mov_b32 s15, exec_lo
	v_mul_lo_u32 v13, s24, v13
	s_delay_alu instid0(VALU_DEP_1) | instskip(NEXT) | instid1(VALU_DEP_1)
	v_add3_u32 v17, v17, v13, v18
	v_lshlrev_b64_e32 v[16:17], 2, v[16:17]
	s_delay_alu instid0(VALU_DEP_1) | instskip(SKIP_1) | instid1(VALU_DEP_2)
	v_add_co_u32 v16, vcc_lo, v10, v16
	s_wait_alu 0xfffd
	v_add_co_ci_u32_e64 v17, null, v11, v17, vcc_lo
	flat_load_b32 v13, v[16:17]
	s_wait_alu 0xfffe
	s_or_saveexec_b32 s28, s28
	v_mov_b32_e32 v16, v12
	s_wait_alu 0xfffe
	s_xor_b32 exec_lo, exec_lo, s28
	s_cbranch_execz .LBB58_11
.LBB58_13:                              ;   in Loop: Header=BB58_9 Depth=2
	v_cmp_eq_u32_e32 vcc_lo, v2, v12
	s_mov_b32 s30, s15
                                        ; implicit-def: $vgpr13
	s_and_b32 s31, s35, vcc_lo
	s_wait_alu 0xfffe
	s_and_saveexec_b32 s29, s31
	s_cbranch_execz .LBB58_15
; %bb.14:                               ;   in Loop: Header=BB58_9 Depth=2
	s_wait_loadcnt_dscnt 0x0
	flat_load_b32 v13, v[6:7]
	s_or_b32 s30, s15, exec_lo
	s_wait_loadcnt_dscnt 0x0
	v_div_scale_f32 v16, null, v13, v13, 1.0
	s_delay_alu instid0(VALU_DEP_1) | instskip(NEXT) | instid1(TRANS32_DEP_1)
	v_rcp_f32_e32 v17, v16
	v_fma_f32 v18, -v16, v17, 1.0
	s_delay_alu instid0(VALU_DEP_1) | instskip(SKIP_1) | instid1(VALU_DEP_1)
	v_fmac_f32_e32 v17, v18, v17
	v_div_scale_f32 v18, vcc_lo, 1.0, v13, 1.0
	v_mul_f32_e32 v19, v18, v17
	s_delay_alu instid0(VALU_DEP_1) | instskip(NEXT) | instid1(VALU_DEP_1)
	v_fma_f32 v20, -v16, v19, v18
	v_fmac_f32_e32 v19, v20, v17
	s_delay_alu instid0(VALU_DEP_1) | instskip(SKIP_1) | instid1(VALU_DEP_1)
	v_fma_f32 v16, -v16, v19, v18
	s_wait_alu 0xfffd
	v_div_fmas_f32 v16, v16, v17, v19
	s_delay_alu instid0(VALU_DEP_1)
	v_div_fixup_f32 v13, v16, v13, 1.0
.LBB58_15:                              ;   in Loop: Header=BB58_9 Depth=2
	s_wait_alu 0xfffe
	s_or_b32 exec_lo, exec_lo, s29
	v_mov_b32_e32 v16, v2
	s_and_not1_b32 s15, s15, exec_lo
	s_and_b32 s29, s30, exec_lo
	s_wait_alu 0xfffe
	s_or_b32 s15, s15, s29
	s_or_b32 exec_lo, exec_lo, s28
	s_wait_alu 0xfffe
	s_and_saveexec_b32 s28, s15
	s_cbranch_execz .LBB58_8
.LBB58_16:                              ;   in Loop: Header=BB58_9 Depth=2
	s_load_b32 s15, s[20:21], 0xc
	s_wait_kmcnt 0x0
	s_and_b32 s15, s15, 0xffff
	s_wait_alu 0xfffe
	v_mul_lo_u32 v16, v16, s15
	s_delay_alu instid0(VALU_DEP_1)
	v_lshl_add_u32 v16, v16, 2, v14
	s_wait_loadcnt_dscnt 0x0
	ds_store_b32 v16, v13
	s_branch .LBB58_8
.LBB58_17:                              ;   in Loop: Header=BB58_4 Depth=1
	s_load_b32 s14, s[20:21], 0xc
	v_dual_mov_b32 v6, s22 :: v_dual_mov_b32 v7, s23
	s_mov_b32 s25, s19
	s_mov_b64 s[28:29], 1
	s_wait_kmcnt 0x0
	s_and_b32 s24, s14, 0xffff
	s_and_saveexec_b32 s36, s1
	s_cbranch_execz .LBB58_3
.LBB58_18:                              ;   in Loop: Header=BB58_4 Depth=1
	s_wait_loadcnt 0x0
	v_add_co_u32 v8, vcc_lo, v8, s10
	s_wait_alu 0xfffd
	v_add_co_ci_u32_e64 v9, null, s11, v9, vcc_lo
	s_delay_alu instid0(VALU_DEP_2) | instskip(SKIP_1) | instid1(VALU_DEP_2)
	v_add_co_u32 v8, vcc_lo, v8, v4
	s_wait_alu 0xfffd
	v_add_co_ci_u32_e64 v9, null, v9, v5, vcc_lo
	s_delay_alu instid0(VALU_DEP_2) | instskip(SKIP_1) | instid1(VALU_DEP_2)
	v_add_co_u32 v8, vcc_lo, v8, v15
	s_wait_alu 0xfffd
	v_add_co_ci_u32_e64 v9, null, 0, v9, vcc_lo
	s_and_not1_b32 vcc_lo, exec_lo, s3
	flat_load_b32 v10, v[8:9]
	s_wait_loadcnt_dscnt 0x0
	v_mul_f32_e32 v16, s17, v10
	s_wait_alu 0xfffe
	s_cbranch_vccnz .LBB58_25
; %bb.19:                               ;   in Loop: Header=BB58_4 Depth=1
	s_add_nc_u64 s[14:15], s[24:25], s[28:29]
	v_mad_co_u64_u32 v[12:13], null, s28, v2, 0
	s_wait_alu 0xfffe
	v_mad_co_u64_u32 v[10:11], null, s14, v2, 0
	s_mov_b64 s[30:31], 0
	v_mad_co_u64_u32 v[17:18], null, s15, v2, v[11:12]
	v_mad_co_u64_u32 v[18:19], null, s29, v2, v[13:14]
	s_lshl_b64 s[14:15], s[24:25], 2
	v_mov_b32_e32 v11, v17
	v_mov_b32_e32 v13, v18
	s_delay_alu instid0(VALU_DEP_2) | instskip(NEXT) | instid1(VALU_DEP_2)
	v_lshlrev_b64_e32 v[10:11], 2, v[10:11]
	v_lshlrev_b64_e32 v[12:13], 2, v[12:13]
	s_delay_alu instid0(VALU_DEP_2) | instskip(SKIP_1) | instid1(VALU_DEP_3)
	v_add_co_u32 v10, vcc_lo, v6, v10
	s_wait_alu 0xfffd
	v_add_co_ci_u32_e64 v11, null, v7, v11, vcc_lo
	s_delay_alu instid0(VALU_DEP_3)
	v_add_co_u32 v12, vcc_lo, v6, v12
	s_wait_alu 0xfffd
	v_add_co_ci_u32_e64 v13, null, v7, v13, vcc_lo
	s_branch .LBB58_21
.LBB58_20:                              ;   in Loop: Header=BB58_21 Depth=2
	s_or_b32 exec_lo, exec_lo, s37
	s_wait_alu 0xfffe
	v_add_co_u32 v12, vcc_lo, v12, s14
	s_wait_alu 0xfffd
	v_add_co_ci_u32_e64 v13, null, s15, v13, vcc_lo
	s_add_nc_u64 s[30:31], s[30:31], 1
	s_wait_alu 0xfffe
	s_cmp_eq_u64 s[26:27], s[30:31]
	s_cbranch_scc1 .LBB58_25
.LBB58_21:                              ;   Parent Loop BB58_4 Depth=1
                                        ; =>  This Inner Loop Header: Depth=2
	s_mov_b32 s37, exec_lo
	s_barrier_signal -1
	s_barrier_wait -1
	global_inv scope:SCOPE_SE
	s_wait_alu 0xfffe
	v_cmpx_eq_u64_e64 s[30:31], v[2:3]
	s_cbranch_execz .LBB58_23
; %bb.22:                               ;   in Loop: Header=BB58_21 Depth=2
	flat_load_b32 v17, v[10:11]
	s_wait_loadcnt_dscnt 0x0
	v_div_scale_f32 v18, null, v17, v17, 1.0
	s_delay_alu instid0(VALU_DEP_1) | instskip(NEXT) | instid1(TRANS32_DEP_1)
	v_rcp_f32_e32 v19, v18
	v_fma_f32 v20, -v18, v19, 1.0
	s_delay_alu instid0(VALU_DEP_1) | instskip(SKIP_1) | instid1(VALU_DEP_1)
	v_fmac_f32_e32 v19, v20, v19
	v_div_scale_f32 v20, vcc_lo, 1.0, v17, 1.0
	v_mul_f32_e32 v21, v20, v19
	s_delay_alu instid0(VALU_DEP_1) | instskip(NEXT) | instid1(VALU_DEP_1)
	v_fma_f32 v22, -v18, v21, v20
	v_fmac_f32_e32 v21, v22, v19
	s_delay_alu instid0(VALU_DEP_1) | instskip(SKIP_1) | instid1(VALU_DEP_1)
	v_fma_f32 v18, -v18, v21, v20
	s_wait_alu 0xfffd
	v_div_fmas_f32 v18, v18, v19, v21
	s_delay_alu instid0(VALU_DEP_1) | instskip(NEXT) | instid1(VALU_DEP_1)
	v_div_fixup_f32 v18, v18, v17, 1.0
	v_cndmask_b32_e64 v17, v18, v17, s2
	s_delay_alu instid0(VALU_DEP_1)
	v_mul_f32_e32 v16, v16, v17
	ds_store_b32 v0, v16
.LBB58_23:                              ;   in Loop: Header=BB58_21 Depth=2
	s_or_b32 exec_lo, exec_lo, s37
	s_delay_alu instid0(SALU_CYCLE_1)
	s_mov_b32 s37, exec_lo
	s_wait_loadcnt_dscnt 0x0
	s_barrier_signal -1
	s_barrier_wait -1
	global_inv scope:SCOPE_SE
	v_cmpx_lt_u64_e64 s[30:31], v[2:3]
	s_cbranch_execz .LBB58_20
; %bb.24:                               ;   in Loop: Header=BB58_21 Depth=2
	flat_load_b32 v17, v[12:13]
	ds_load_b32 v18, v0
	s_wait_loadcnt_dscnt 0x0
	v_fma_f32 v16, -v17, v18, v16
	s_branch .LBB58_20
.LBB58_25:                              ;   in Loop: Header=BB58_4 Depth=1
	s_and_saveexec_b32 s14, s0
	s_cbranch_execz .LBB58_2
; %bb.26:                               ;   in Loop: Header=BB58_4 Depth=1
	s_add_nc_u64 s[30:31], s[24:25], s[28:29]
	s_wait_alu 0xfffe
	v_mad_co_u64_u32 v[10:11], null, s30, v2, 0
	s_delay_alu instid0(VALU_DEP_1) | instskip(NEXT) | instid1(VALU_DEP_1)
	v_mad_co_u64_u32 v[11:12], null, s31, v2, v[11:12]
	v_lshlrev_b64_e32 v[10:11], 2, v[10:11]
	s_delay_alu instid0(VALU_DEP_1) | instskip(SKIP_1) | instid1(VALU_DEP_2)
	v_add_co_u32 v6, vcc_lo, v6, v10
	s_wait_alu 0xfffd
	v_add_co_ci_u32_e64 v7, null, v7, v11, vcc_lo
	flat_load_b32 v6, v[6:7]
	s_wait_loadcnt_dscnt 0x0
	v_div_scale_f32 v7, null, v6, v6, 1.0
	s_delay_alu instid0(VALU_DEP_1) | instskip(NEXT) | instid1(TRANS32_DEP_1)
	v_rcp_f32_e32 v10, v7
	v_fma_f32 v11, -v7, v10, 1.0
	s_delay_alu instid0(VALU_DEP_1) | instskip(SKIP_1) | instid1(VALU_DEP_1)
	v_fmac_f32_e32 v10, v11, v10
	v_div_scale_f32 v11, vcc_lo, 1.0, v6, 1.0
	v_mul_f32_e32 v12, v11, v10
	s_delay_alu instid0(VALU_DEP_1) | instskip(NEXT) | instid1(VALU_DEP_1)
	v_fma_f32 v13, -v7, v12, v11
	v_fmac_f32_e32 v12, v13, v10
	s_delay_alu instid0(VALU_DEP_1) | instskip(SKIP_1) | instid1(VALU_DEP_1)
	v_fma_f32 v7, -v7, v12, v11
	s_wait_alu 0xfffd
	v_div_fmas_f32 v7, v7, v10, v12
	s_delay_alu instid0(VALU_DEP_1) | instskip(NEXT) | instid1(VALU_DEP_1)
	v_div_fixup_f32 v7, v7, v6, 1.0
	v_cndmask_b32_e64 v6, v7, v6, s2
	s_delay_alu instid0(VALU_DEP_1)
	v_mul_f32_e32 v16, v16, v6
	s_branch .LBB58_2
.LBB58_27:
	s_endpgm
	.section	.rodata,"a",@progbits
	.p2align	6, 0x0
	.amdhsa_kernel _ZL39rocblas_trsm_block_forward_substitutionIffPKPKfPKPfLb1ELb0ELb0EEv18rocblas_operation_llT0_T1_lllT2_lllib
		.amdhsa_group_segment_fixed_size 0
		.amdhsa_private_segment_fixed_size 0
		.amdhsa_kernarg_size 360
		.amdhsa_user_sgpr_count 2
		.amdhsa_user_sgpr_dispatch_ptr 0
		.amdhsa_user_sgpr_queue_ptr 0
		.amdhsa_user_sgpr_kernarg_segment_ptr 1
		.amdhsa_user_sgpr_dispatch_id 0
		.amdhsa_user_sgpr_private_segment_size 0
		.amdhsa_wavefront_size32 1
		.amdhsa_uses_dynamic_stack 0
		.amdhsa_enable_private_segment 0
		.amdhsa_system_sgpr_workgroup_id_x 1
		.amdhsa_system_sgpr_workgroup_id_y 1
		.amdhsa_system_sgpr_workgroup_id_z 1
		.amdhsa_system_sgpr_workgroup_info 0
		.amdhsa_system_vgpr_workitem_id 1
		.amdhsa_next_free_vgpr 23
		.amdhsa_next_free_sgpr 38
		.amdhsa_reserve_vcc 1
		.amdhsa_float_round_mode_32 0
		.amdhsa_float_round_mode_16_64 0
		.amdhsa_float_denorm_mode_32 3
		.amdhsa_float_denorm_mode_16_64 3
		.amdhsa_fp16_overflow 0
		.amdhsa_workgroup_processor_mode 1
		.amdhsa_memory_ordered 1
		.amdhsa_forward_progress 1
		.amdhsa_inst_pref_size 14
		.amdhsa_round_robin_scheduling 0
		.amdhsa_exception_fp_ieee_invalid_op 0
		.amdhsa_exception_fp_denorm_src 0
		.amdhsa_exception_fp_ieee_div_zero 0
		.amdhsa_exception_fp_ieee_overflow 0
		.amdhsa_exception_fp_ieee_underflow 0
		.amdhsa_exception_fp_ieee_inexact 0
		.amdhsa_exception_int_div_zero 0
	.end_amdhsa_kernel
	.section	.text._ZL39rocblas_trsm_block_forward_substitutionIffPKPKfPKPfLb1ELb0ELb0EEv18rocblas_operation_llT0_T1_lllT2_lllib,"axG",@progbits,_ZL39rocblas_trsm_block_forward_substitutionIffPKPKfPKPfLb1ELb0ELb0EEv18rocblas_operation_llT0_T1_lllT2_lllib,comdat
.Lfunc_end58:
	.size	_ZL39rocblas_trsm_block_forward_substitutionIffPKPKfPKPfLb1ELb0ELb0EEv18rocblas_operation_llT0_T1_lllT2_lllib, .Lfunc_end58-_ZL39rocblas_trsm_block_forward_substitutionIffPKPKfPKPfLb1ELb0ELb0EEv18rocblas_operation_llT0_T1_lllT2_lllib
                                        ; -- End function
	.set _ZL39rocblas_trsm_block_forward_substitutionIffPKPKfPKPfLb1ELb0ELb0EEv18rocblas_operation_llT0_T1_lllT2_lllib.num_vgpr, 23
	.set _ZL39rocblas_trsm_block_forward_substitutionIffPKPKfPKPfLb1ELb0ELb0EEv18rocblas_operation_llT0_T1_lllT2_lllib.num_agpr, 0
	.set _ZL39rocblas_trsm_block_forward_substitutionIffPKPKfPKPfLb1ELb0ELb0EEv18rocblas_operation_llT0_T1_lllT2_lllib.numbered_sgpr, 38
	.set _ZL39rocblas_trsm_block_forward_substitutionIffPKPKfPKPfLb1ELb0ELb0EEv18rocblas_operation_llT0_T1_lllT2_lllib.num_named_barrier, 0
	.set _ZL39rocblas_trsm_block_forward_substitutionIffPKPKfPKPfLb1ELb0ELb0EEv18rocblas_operation_llT0_T1_lllT2_lllib.private_seg_size, 0
	.set _ZL39rocblas_trsm_block_forward_substitutionIffPKPKfPKPfLb1ELb0ELb0EEv18rocblas_operation_llT0_T1_lllT2_lllib.uses_vcc, 1
	.set _ZL39rocblas_trsm_block_forward_substitutionIffPKPKfPKPfLb1ELb0ELb0EEv18rocblas_operation_llT0_T1_lllT2_lllib.uses_flat_scratch, 0
	.set _ZL39rocblas_trsm_block_forward_substitutionIffPKPKfPKPfLb1ELb0ELb0EEv18rocblas_operation_llT0_T1_lllT2_lllib.has_dyn_sized_stack, 0
	.set _ZL39rocblas_trsm_block_forward_substitutionIffPKPKfPKPfLb1ELb0ELb0EEv18rocblas_operation_llT0_T1_lllT2_lllib.has_recursion, 0
	.set _ZL39rocblas_trsm_block_forward_substitutionIffPKPKfPKPfLb1ELb0ELb0EEv18rocblas_operation_llT0_T1_lllT2_lllib.has_indirect_call, 0
	.section	.AMDGPU.csdata,"",@progbits
; Kernel info:
; codeLenInByte = 1792
; TotalNumSgprs: 40
; NumVgprs: 23
; ScratchSize: 0
; MemoryBound: 0
; FloatMode: 240
; IeeeMode: 1
; LDSByteSize: 0 bytes/workgroup (compile time only)
; SGPRBlocks: 0
; VGPRBlocks: 2
; NumSGPRsForWavesPerEU: 40
; NumVGPRsForWavesPerEU: 23
; Occupancy: 16
; WaveLimiterHint : 1
; COMPUTE_PGM_RSRC2:SCRATCH_EN: 0
; COMPUTE_PGM_RSRC2:USER_SGPR: 2
; COMPUTE_PGM_RSRC2:TRAP_HANDLER: 0
; COMPUTE_PGM_RSRC2:TGID_X_EN: 1
; COMPUTE_PGM_RSRC2:TGID_Y_EN: 1
; COMPUTE_PGM_RSRC2:TGID_Z_EN: 1
; COMPUTE_PGM_RSRC2:TIDIG_COMP_CNT: 1
	.section	.text._ZL40rocblas_trsm_block_backward_substitutionIffPKPKfPKPfLb1ELb0ELb0EEv18rocblas_operation_llT0_T1_lllT2_lllib,"axG",@progbits,_ZL40rocblas_trsm_block_backward_substitutionIffPKPKfPKPfLb1ELb0ELb0EEv18rocblas_operation_llT0_T1_lllT2_lllib,comdat
	.globl	_ZL40rocblas_trsm_block_backward_substitutionIffPKPKfPKPfLb1ELb0ELb0EEv18rocblas_operation_llT0_T1_lllT2_lllib ; -- Begin function _ZL40rocblas_trsm_block_backward_substitutionIffPKPKfPKPfLb1ELb0ELb0EEv18rocblas_operation_llT0_T1_lllT2_lllib
	.p2align	8
	.type	_ZL40rocblas_trsm_block_backward_substitutionIffPKPKfPKPfLb1ELb0ELb0EEv18rocblas_operation_llT0_T1_lllT2_lllib,@function
_ZL40rocblas_trsm_block_backward_substitutionIffPKPKfPKPfLb1ELb0ELb0EEv18rocblas_operation_llT0_T1_lllT2_lllib: ; @_ZL40rocblas_trsm_block_backward_substitutionIffPKPKfPKPfLb1ELb0ELb0EEv18rocblas_operation_llT0_T1_lllT2_lllib
; %bb.0:
	s_load_b64 s[16:17], s[0:1], 0x60
	s_lshr_b32 s18, ttmp7, 16
	s_wait_kmcnt 0x0
	s_cmp_ge_u32 s18, s16
	s_cbranch_scc1 .LBB59_29
; %bb.1:
	s_clause 0x6
	s_load_b64 s[2:3], s[0:1], 0x50
	s_load_b64 s[20:21], s[0:1], 0x30
	s_load_b128 s[4:7], s[0:1], 0x20
	s_load_b128 s[8:11], s[0:1], 0x40
	s_load_u16 s33, s[0:1], 0x76
	s_load_b128 s[12:15], s[0:1], 0x8
	s_load_b32 s36, s[0:1], 0x18
	v_dual_mov_b32 v2, 0 :: v_dual_and_b32 v1, 0x3ff, v0
	v_bfe_u32 v0, v0, 10, 10
	s_bitcmp1_b32 s17, 0
	s_add_nc_u64 s[22:23], s[0:1], 0x68
	s_cselect_b32 s0, -1, 0
	s_and_b32 s17, ttmp7, 0xffff
	s_mov_b64 s[24:25], src_shared_base
	v_lshlrev_b32_e32 v17, 2, v1
	v_lshl_add_u32 v18, v0, 2, 0
	v_cmp_eq_u32_e64 s1, 0, v1
	v_lshlrev_b32_e32 v20, 2, v1
	s_mov_b32 s19, 0
	s_wait_kmcnt 0x0
	v_mad_co_u64_u32 v[5:6], null, s2, v1, 0
	v_mad_co_u64_u32 v[3:4], null, s20, v1, 0
	;; [unrolled: 1-line block ×3, first 2 shown]
	s_lshl_b32 s24, s33, 2
	v_mov_b32_e32 v8, v2
	s_add_co_i32 s24, s24, 0
	v_cmp_le_i64_e64 s17, s[12:13], v[1:2]
	v_cmp_gt_i64_e64 s2, s[12:13], v[1:2]
	v_cmp_gt_i64_e64 s38, s[12:13], 0
	v_mad_co_u64_u32 v[9:10], null, s3, v1, v[6:7]
	v_mad_co_u64_u32 v[10:11], null, s21, v1, v[4:5]
	v_add_nc_u32_e32 v19, s24, v17
	v_cmp_gt_i64_e32 vcc_lo, s[14:15], v[7:8]
	v_lshlrev_b64_e32 v[7:8], 2, v[7:8]
	v_cmp_gt_i64_e64 s39, s[12:13], 1
	v_mov_b32_e32 v6, v9
	s_add_nc_u64 s[14:15], s[12:13], -1
	v_mov_b32_e32 v4, v10
	s_and_b32 s37, vcc_lo, s2
	s_wait_alu 0xfffe
	s_lshl_b64 s[26:27], s[14:15], 2
	v_lshlrev_b64_e32 v[5:6], 2, v[5:6]
	s_lshl_b64 s[6:7], s[6:7], 2
	v_lshlrev_b64_e32 v[3:4], 2, v[3:4]
	s_xor_b32 s40, s17, -1
	s_lshl_b64 s[10:11], s[10:11], 2
	s_branch .LBB59_4
.LBB59_2:                               ;   in Loop: Header=BB59_4 Depth=1
	s_wait_alu 0xfffe
	s_or_b32 exec_lo, exec_lo, s30
	flat_store_b32 v[9:10], v21
.LBB59_3:                               ;   in Loop: Header=BB59_4 Depth=1
	s_wait_alu 0xfffe
	s_or_b32 exec_lo, exec_lo, s3
	s_add_co_i32 s18, s18, 0x10000
	s_delay_alu instid0(SALU_CYCLE_1)
	s_cmp_lt_u32 s18, s16
	s_cbranch_scc0 .LBB59_29
.LBB59_4:                               ; =>This Loop Header: Depth=1
                                        ;     Child Loop BB59_9 Depth 2
                                        ;     Child Loop BB59_23 Depth 2
	s_lshl_b64 s[28:29], s[18:19], 3
	s_wait_alu 0xfffe
	s_add_nc_u64 s[30:31], s[4:5], s[28:29]
	s_add_nc_u64 s[28:29], s[8:9], s[28:29]
	global_load_b64 v[11:12], v2, s[30:31]
	s_wait_loadcnt 0x1
	global_load_b64 v[9:10], v2, s[28:29]
	s_mov_b64 s[28:29], s[20:21]
	s_wait_loadcnt 0x1
	v_add_co_u32 v11, vcc_lo, v11, s6
	s_wait_alu 0xfffd
	v_add_co_ci_u32_e64 v12, null, s7, v12, vcc_lo
	s_and_not1_b32 vcc_lo, exec_lo, s0
	s_wait_alu 0xfffe
	s_cbranch_vccz .LBB59_6
; %bb.5:                                ;   in Loop: Header=BB59_4 Depth=1
	s_and_saveexec_b32 s3, s37
	s_cbranch_execz .LBB59_3
	s_branch .LBB59_20
.LBB59_6:                               ;   in Loop: Header=BB59_4 Depth=1
	s_and_not1_b32 vcc_lo, exec_lo, s38
	s_wait_alu 0xfffe
	s_cbranch_vccnz .LBB59_19
; %bb.7:                                ;   in Loop: Header=BB59_4 Depth=1
	v_add_co_u32 v15, vcc_lo, v11, v20
	s_wait_alu 0xfffd
	v_add_co_ci_u32_e64 v16, null, 0, v12, vcc_lo
	v_mov_b32_e32 v13, v0
	s_delay_alu instid0(VALU_DEP_3) | instskip(SKIP_1) | instid1(VALU_DEP_3)
	v_add_co_u32 v11, vcc_lo, v15, v3
	s_wait_alu 0xfffd
	v_add_co_ci_u32_e64 v12, null, v16, v4, vcc_lo
	s_mov_b32 s28, s33
	s_branch .LBB59_9
.LBB59_8:                               ;   in Loop: Header=BB59_9 Depth=2
	s_wait_alu 0xfffe
	s_or_b32 exec_lo, exec_lo, s29
	s_ashr_i32 s29, s28, 31
	v_add_nc_u32_e32 v13, s33, v13
	s_wait_alu 0xfffe
	v_cmp_le_i64_e64 s3, s[12:13], s[28:29]
	s_add_co_i32 s28, s28, s33
	s_and_b32 vcc_lo, exec_lo, s3
	s_wait_alu 0xfffe
	s_cbranch_vccnz .LBB59_19
.LBB59_9:                               ;   Parent Loop BB59_4 Depth=1
                                        ; =>  This Inner Loop Header: Depth=2
	s_mov_b32 s3, 0
	s_mov_b32 s30, s17
                                        ; implicit-def: $vgpr21
	s_and_saveexec_b32 s29, s2
	s_cbranch_execnz .LBB59_12
; %bb.10:                               ;   in Loop: Header=BB59_9 Depth=2
	s_wait_alu 0xfffe
	s_or_b32 exec_lo, exec_lo, s29
	v_mov_b32_e32 v14, v13
	s_and_saveexec_b32 s29, s30
	s_cbranch_execnz .LBB59_15
.LBB59_11:                              ;   in Loop: Header=BB59_9 Depth=2
	s_wait_alu 0xfffe
	s_or_b32 exec_lo, exec_lo, s29
	s_and_saveexec_b32 s29, s3
	s_cbranch_execz .LBB59_8
	s_branch .LBB59_18
.LBB59_12:                              ;   in Loop: Header=BB59_9 Depth=2
	v_ashrrev_i32_e32 v14, 31, v13
	v_cmp_lt_i32_e64 s3, v1, v13
	s_mov_b32 s31, -1
                                        ; implicit-def: $vgpr21
	v_cmp_gt_i64_e32 vcc_lo, s[12:13], v[13:14]
	s_wait_alu 0xfffe
	s_and_b32 s34, s3, vcc_lo
	s_mov_b32 s3, 0
	s_wait_alu 0xfffe
	s_and_saveexec_b32 s30, s34
	s_cbranch_execz .LBB59_14
; %bb.13:                               ;   in Loop: Header=BB59_9 Depth=2
	v_mul_lo_u32 v23, s21, v13
	v_mul_lo_u32 v14, s20, v14
	s_wait_loadcnt_dscnt 0x0
	v_mad_co_u64_u32 v[21:22], null, s20, v13, 0
	s_mov_b32 s3, exec_lo
	s_xor_b32 s31, exec_lo, -1
	v_add3_u32 v22, v22, v14, v23
	s_delay_alu instid0(VALU_DEP_1) | instskip(NEXT) | instid1(VALU_DEP_1)
	v_lshlrev_b64_e32 v[21:22], 2, v[21:22]
	v_add_co_u32 v21, vcc_lo, v15, v21
	s_wait_alu 0xfffd
	s_delay_alu instid0(VALU_DEP_2)
	v_add_co_ci_u32_e64 v22, null, v16, v22, vcc_lo
	flat_load_b32 v21, v[21:22]
.LBB59_14:                              ;   in Loop: Header=BB59_9 Depth=2
	s_wait_alu 0xfffe
	s_or_b32 exec_lo, exec_lo, s30
	s_delay_alu instid0(SALU_CYCLE_1)
	s_and_not1_b32 s30, s17, exec_lo
	s_and_b32 s31, s31, exec_lo
	s_and_b32 s3, s3, exec_lo
	s_wait_alu 0xfffe
	s_or_b32 s30, s30, s31
	s_or_b32 exec_lo, exec_lo, s29
	v_mov_b32_e32 v14, v13
	s_wait_alu 0xfffe
	s_and_saveexec_b32 s29, s30
	s_cbranch_execz .LBB59_11
.LBB59_15:                              ;   in Loop: Header=BB59_9 Depth=2
	v_cmp_eq_u32_e32 vcc_lo, v1, v13
	s_wait_alu 0xfffe
	s_mov_b32 s31, s3
                                        ; implicit-def: $vgpr21
	s_and_b32 s34, s40, vcc_lo
	s_wait_alu 0xfffe
	s_and_saveexec_b32 s30, s34
	s_cbranch_execz .LBB59_17
; %bb.16:                               ;   in Loop: Header=BB59_9 Depth=2
	flat_load_b32 v14, v[11:12]
	s_or_b32 s31, s3, exec_lo
	s_wait_loadcnt_dscnt 0x0
	v_div_scale_f32 v21, null, v14, v14, 1.0
	s_delay_alu instid0(VALU_DEP_1) | instskip(NEXT) | instid1(TRANS32_DEP_1)
	v_rcp_f32_e32 v22, v21
	v_fma_f32 v23, -v21, v22, 1.0
	s_delay_alu instid0(VALU_DEP_1) | instskip(SKIP_1) | instid1(VALU_DEP_1)
	v_fmac_f32_e32 v22, v23, v22
	v_div_scale_f32 v23, vcc_lo, 1.0, v14, 1.0
	v_mul_f32_e32 v24, v23, v22
	s_delay_alu instid0(VALU_DEP_1) | instskip(NEXT) | instid1(VALU_DEP_1)
	v_fma_f32 v25, -v21, v24, v23
	v_fmac_f32_e32 v24, v25, v22
	s_delay_alu instid0(VALU_DEP_1) | instskip(SKIP_1) | instid1(VALU_DEP_1)
	v_fma_f32 v21, -v21, v24, v23
	s_wait_alu 0xfffd
	v_div_fmas_f32 v21, v21, v22, v24
	s_delay_alu instid0(VALU_DEP_1)
	v_div_fixup_f32 v21, v21, v14, 1.0
.LBB59_17:                              ;   in Loop: Header=BB59_9 Depth=2
	s_wait_alu 0xfffe
	s_or_b32 exec_lo, exec_lo, s30
	v_mov_b32_e32 v14, v1
	s_and_not1_b32 s3, s3, exec_lo
	s_and_b32 s30, s31, exec_lo
	s_wait_alu 0xfffe
	s_or_b32 s3, s3, s30
	s_or_b32 exec_lo, exec_lo, s29
	s_wait_alu 0xfffe
	s_and_saveexec_b32 s29, s3
	s_cbranch_execz .LBB59_8
.LBB59_18:                              ;   in Loop: Header=BB59_9 Depth=2
	s_load_b32 s3, s[22:23], 0xc
	s_wait_kmcnt 0x0
	s_and_b32 s3, s3, 0xffff
	s_wait_alu 0xfffe
	v_mul_lo_u32 v14, v14, s3
	s_delay_alu instid0(VALU_DEP_1)
	v_lshl_add_u32 v14, v14, 2, v19
	s_wait_loadcnt_dscnt 0x0
	ds_store_b32 v14, v21
	s_branch .LBB59_8
.LBB59_19:                              ;   in Loop: Header=BB59_4 Depth=1
	s_load_b32 s3, s[22:23], 0xc
	v_dual_mov_b32 v11, s24 :: v_dual_mov_b32 v12, s25
	s_mov_b32 s29, s19
	s_wait_kmcnt 0x0
	s_and_b32 s28, s3, 0xffff
	s_and_saveexec_b32 s3, s37
	s_cbranch_execz .LBB59_3
.LBB59_20:                              ;   in Loop: Header=BB59_4 Depth=1
	s_wait_loadcnt 0x0
	v_add_co_u32 v9, vcc_lo, v9, s10
	s_wait_alu 0xfffd
	v_add_co_ci_u32_e64 v10, null, s11, v10, vcc_lo
	s_delay_alu instid0(VALU_DEP_2) | instskip(SKIP_1) | instid1(VALU_DEP_2)
	v_add_co_u32 v9, vcc_lo, v9, v5
	s_wait_alu 0xfffd
	v_add_co_ci_u32_e64 v10, null, v10, v6, vcc_lo
	s_delay_alu instid0(VALU_DEP_2) | instskip(SKIP_1) | instid1(VALU_DEP_2)
	v_add_co_u32 v9, vcc_lo, v9, v7
	s_wait_alu 0xfffd
	v_add_co_ci_u32_e64 v10, null, v10, v8, vcc_lo
	s_and_not1_b32 vcc_lo, exec_lo, s39
	flat_load_b32 v13, v[9:10]
	s_wait_loadcnt_dscnt 0x0
	v_mul_f32_e32 v21, s36, v13
	s_wait_alu 0xfffe
	s_cbranch_vccnz .LBB59_27
; %bb.21:                               ;   in Loop: Header=BB59_4 Depth=1
	v_mad_co_u64_u32 v[15:16], null, v1, s28, v[1:2]
	v_add_co_u32 v22, vcc_lo, v11, v17
	s_wait_alu 0xfffd
	v_add_co_ci_u32_e64 v23, null, 0, v12, vcc_lo
	s_mul_i32 s30, s27, s28
	s_mul_i32 s31, s26, s29
	v_mov_b32_e32 v13, v16
	s_mov_b64 s[34:35], s[14:15]
	s_delay_alu instid0(VALU_DEP_1) | instskip(NEXT) | instid1(VALU_DEP_1)
	v_mad_co_u64_u32 v[13:14], null, v1, s29, v[13:14]
	v_mov_b32_e32 v16, v13
	v_mad_co_u64_u32 v[13:14], null, s26, s28, v[22:23]
	s_delay_alu instid0(VALU_DEP_2) | instskip(SKIP_1) | instid1(VALU_DEP_2)
	v_lshlrev_b64_e32 v[15:16], 2, v[15:16]
	s_wait_alu 0xfffe
	v_add3_u32 v14, s31, s30, v14
	s_lshl_b64 s[30:31], s[28:29], 2
	s_delay_alu instid0(VALU_DEP_2)
	v_add_co_u32 v15, vcc_lo, v11, v15
	s_wait_alu 0xfffd
	v_add_co_ci_u32_e64 v16, null, v12, v16, vcc_lo
	s_wait_alu 0xfffe
	s_sub_nc_u64 s[30:31], 0, s[30:31]
	s_branch .LBB59_23
.LBB59_22:                              ;   in Loop: Header=BB59_23 Depth=2
	s_or_b32 exec_lo, exec_lo, s41
	s_add_nc_u64 s[42:43], s[34:35], 1
	s_wait_alu 0xfffe
	v_add_co_u32 v13, vcc_lo, v13, s30
	v_cmp_lt_u64_e64 s41, s[42:43], 3
	s_wait_alu 0xfffd
	v_add_co_ci_u32_e64 v14, null, s31, v14, vcc_lo
	s_add_nc_u64 s[34:35], s[34:35], -1
	s_and_b32 vcc_lo, exec_lo, s41
	s_wait_alu 0xfffe
	s_cbranch_vccnz .LBB59_27
.LBB59_23:                              ;   Parent Loop BB59_4 Depth=1
                                        ; =>  This Inner Loop Header: Depth=2
	s_mov_b32 s41, exec_lo
	s_barrier_signal -1
	s_barrier_wait -1
	global_inv scope:SCOPE_SE
	v_cmpx_eq_u64_e64 s[34:35], v[1:2]
	s_cbranch_execz .LBB59_25
; %bb.24:                               ;   in Loop: Header=BB59_23 Depth=2
	flat_load_b32 v22, v[15:16]
	s_wait_loadcnt_dscnt 0x0
	v_div_scale_f32 v23, null, v22, v22, 1.0
	s_delay_alu instid0(VALU_DEP_1) | instskip(NEXT) | instid1(TRANS32_DEP_1)
	v_rcp_f32_e32 v24, v23
	v_fma_f32 v25, -v23, v24, 1.0
	s_delay_alu instid0(VALU_DEP_1) | instskip(SKIP_1) | instid1(VALU_DEP_1)
	v_fmac_f32_e32 v24, v25, v24
	v_div_scale_f32 v25, vcc_lo, 1.0, v22, 1.0
	v_mul_f32_e32 v26, v25, v24
	s_delay_alu instid0(VALU_DEP_1) | instskip(NEXT) | instid1(VALU_DEP_1)
	v_fma_f32 v27, -v23, v26, v25
	v_fmac_f32_e32 v26, v27, v24
	s_delay_alu instid0(VALU_DEP_1) | instskip(SKIP_1) | instid1(VALU_DEP_1)
	v_fma_f32 v23, -v23, v26, v25
	s_wait_alu 0xfffd
	v_div_fmas_f32 v23, v23, v24, v26
	s_delay_alu instid0(VALU_DEP_1) | instskip(NEXT) | instid1(VALU_DEP_1)
	v_div_fixup_f32 v23, v23, v22, 1.0
	v_cndmask_b32_e64 v22, v23, v22, s0
	s_delay_alu instid0(VALU_DEP_1)
	v_mul_f32_e32 v21, v21, v22
	ds_store_b32 v18, v21
.LBB59_25:                              ;   in Loop: Header=BB59_23 Depth=2
	s_or_b32 exec_lo, exec_lo, s41
	s_delay_alu instid0(SALU_CYCLE_1)
	s_mov_b32 s41, exec_lo
	s_wait_loadcnt_dscnt 0x0
	s_barrier_signal -1
	s_barrier_wait -1
	global_inv scope:SCOPE_SE
	v_cmpx_gt_i64_e64 s[34:35], v[1:2]
	s_cbranch_execz .LBB59_22
; %bb.26:                               ;   in Loop: Header=BB59_23 Depth=2
	flat_load_b32 v22, v[13:14]
	ds_load_b32 v23, v18
	s_wait_loadcnt_dscnt 0x0
	v_fma_f32 v21, -v22, v23, v21
	s_branch .LBB59_22
.LBB59_27:                              ;   in Loop: Header=BB59_4 Depth=1
	s_and_saveexec_b32 s30, s1
	s_cbranch_execz .LBB59_2
; %bb.28:                               ;   in Loop: Header=BB59_4 Depth=1
	v_mad_co_u64_u32 v[13:14], null, v1, s28, v[1:2]
	s_delay_alu instid0(VALU_DEP_1) | instskip(NEXT) | instid1(VALU_DEP_1)
	v_mad_co_u64_u32 v[14:15], null, v1, s29, v[14:15]
	v_lshlrev_b64_e32 v[13:14], 2, v[13:14]
	s_delay_alu instid0(VALU_DEP_1) | instskip(SKIP_1) | instid1(VALU_DEP_2)
	v_add_co_u32 v11, vcc_lo, v11, v13
	s_wait_alu 0xfffd
	v_add_co_ci_u32_e64 v12, null, v12, v14, vcc_lo
	flat_load_b32 v11, v[11:12]
	s_wait_loadcnt_dscnt 0x0
	v_div_scale_f32 v12, null, v11, v11, 1.0
	s_delay_alu instid0(VALU_DEP_1) | instskip(NEXT) | instid1(TRANS32_DEP_1)
	v_rcp_f32_e32 v13, v12
	v_fma_f32 v14, -v12, v13, 1.0
	s_delay_alu instid0(VALU_DEP_1) | instskip(SKIP_1) | instid1(VALU_DEP_1)
	v_fmac_f32_e32 v13, v14, v13
	v_div_scale_f32 v14, vcc_lo, 1.0, v11, 1.0
	v_mul_f32_e32 v15, v14, v13
	s_delay_alu instid0(VALU_DEP_1) | instskip(NEXT) | instid1(VALU_DEP_1)
	v_fma_f32 v16, -v12, v15, v14
	v_fmac_f32_e32 v15, v16, v13
	s_delay_alu instid0(VALU_DEP_1) | instskip(SKIP_1) | instid1(VALU_DEP_1)
	v_fma_f32 v12, -v12, v15, v14
	s_wait_alu 0xfffd
	v_div_fmas_f32 v12, v12, v13, v15
	s_delay_alu instid0(VALU_DEP_1) | instskip(NEXT) | instid1(VALU_DEP_1)
	v_div_fixup_f32 v12, v12, v11, 1.0
	v_cndmask_b32_e64 v11, v12, v11, s0
	s_delay_alu instid0(VALU_DEP_1)
	v_mul_f32_e32 v21, v21, v11
	s_branch .LBB59_2
.LBB59_29:
	s_endpgm
	.section	.rodata,"a",@progbits
	.p2align	6, 0x0
	.amdhsa_kernel _ZL40rocblas_trsm_block_backward_substitutionIffPKPKfPKPfLb1ELb0ELb0EEv18rocblas_operation_llT0_T1_lllT2_lllib
		.amdhsa_group_segment_fixed_size 0
		.amdhsa_private_segment_fixed_size 0
		.amdhsa_kernarg_size 360
		.amdhsa_user_sgpr_count 2
		.amdhsa_user_sgpr_dispatch_ptr 0
		.amdhsa_user_sgpr_queue_ptr 0
		.amdhsa_user_sgpr_kernarg_segment_ptr 1
		.amdhsa_user_sgpr_dispatch_id 0
		.amdhsa_user_sgpr_private_segment_size 0
		.amdhsa_wavefront_size32 1
		.amdhsa_uses_dynamic_stack 0
		.amdhsa_enable_private_segment 0
		.amdhsa_system_sgpr_workgroup_id_x 1
		.amdhsa_system_sgpr_workgroup_id_y 1
		.amdhsa_system_sgpr_workgroup_id_z 1
		.amdhsa_system_sgpr_workgroup_info 0
		.amdhsa_system_vgpr_workitem_id 1
		.amdhsa_next_free_vgpr 28
		.amdhsa_next_free_sgpr 44
		.amdhsa_reserve_vcc 1
		.amdhsa_float_round_mode_32 0
		.amdhsa_float_round_mode_16_64 0
		.amdhsa_float_denorm_mode_32 3
		.amdhsa_float_denorm_mode_16_64 3
		.amdhsa_fp16_overflow 0
		.amdhsa_workgroup_processor_mode 1
		.amdhsa_memory_ordered 1
		.amdhsa_forward_progress 1
		.amdhsa_inst_pref_size 15
		.amdhsa_round_robin_scheduling 0
		.amdhsa_exception_fp_ieee_invalid_op 0
		.amdhsa_exception_fp_denorm_src 0
		.amdhsa_exception_fp_ieee_div_zero 0
		.amdhsa_exception_fp_ieee_overflow 0
		.amdhsa_exception_fp_ieee_underflow 0
		.amdhsa_exception_fp_ieee_inexact 0
		.amdhsa_exception_int_div_zero 0
	.end_amdhsa_kernel
	.section	.text._ZL40rocblas_trsm_block_backward_substitutionIffPKPKfPKPfLb1ELb0ELb0EEv18rocblas_operation_llT0_T1_lllT2_lllib,"axG",@progbits,_ZL40rocblas_trsm_block_backward_substitutionIffPKPKfPKPfLb1ELb0ELb0EEv18rocblas_operation_llT0_T1_lllT2_lllib,comdat
.Lfunc_end59:
	.size	_ZL40rocblas_trsm_block_backward_substitutionIffPKPKfPKPfLb1ELb0ELb0EEv18rocblas_operation_llT0_T1_lllT2_lllib, .Lfunc_end59-_ZL40rocblas_trsm_block_backward_substitutionIffPKPKfPKPfLb1ELb0ELb0EEv18rocblas_operation_llT0_T1_lllT2_lllib
                                        ; -- End function
	.set _ZL40rocblas_trsm_block_backward_substitutionIffPKPKfPKPfLb1ELb0ELb0EEv18rocblas_operation_llT0_T1_lllT2_lllib.num_vgpr, 28
	.set _ZL40rocblas_trsm_block_backward_substitutionIffPKPKfPKPfLb1ELb0ELb0EEv18rocblas_operation_llT0_T1_lllT2_lllib.num_agpr, 0
	.set _ZL40rocblas_trsm_block_backward_substitutionIffPKPKfPKPfLb1ELb0ELb0EEv18rocblas_operation_llT0_T1_lllT2_lllib.numbered_sgpr, 44
	.set _ZL40rocblas_trsm_block_backward_substitutionIffPKPKfPKPfLb1ELb0ELb0EEv18rocblas_operation_llT0_T1_lllT2_lllib.num_named_barrier, 0
	.set _ZL40rocblas_trsm_block_backward_substitutionIffPKPKfPKPfLb1ELb0ELb0EEv18rocblas_operation_llT0_T1_lllT2_lllib.private_seg_size, 0
	.set _ZL40rocblas_trsm_block_backward_substitutionIffPKPKfPKPfLb1ELb0ELb0EEv18rocblas_operation_llT0_T1_lllT2_lllib.uses_vcc, 1
	.set _ZL40rocblas_trsm_block_backward_substitutionIffPKPKfPKPfLb1ELb0ELb0EEv18rocblas_operation_llT0_T1_lllT2_lllib.uses_flat_scratch, 0
	.set _ZL40rocblas_trsm_block_backward_substitutionIffPKPKfPKPfLb1ELb0ELb0EEv18rocblas_operation_llT0_T1_lllT2_lllib.has_dyn_sized_stack, 0
	.set _ZL40rocblas_trsm_block_backward_substitutionIffPKPKfPKPfLb1ELb0ELb0EEv18rocblas_operation_llT0_T1_lllT2_lllib.has_recursion, 0
	.set _ZL40rocblas_trsm_block_backward_substitutionIffPKPKfPKPfLb1ELb0ELb0EEv18rocblas_operation_llT0_T1_lllT2_lllib.has_indirect_call, 0
	.section	.AMDGPU.csdata,"",@progbits
; Kernel info:
; codeLenInByte = 1828
; TotalNumSgprs: 46
; NumVgprs: 28
; ScratchSize: 0
; MemoryBound: 0
; FloatMode: 240
; IeeeMode: 1
; LDSByteSize: 0 bytes/workgroup (compile time only)
; SGPRBlocks: 0
; VGPRBlocks: 3
; NumSGPRsForWavesPerEU: 46
; NumVGPRsForWavesPerEU: 28
; Occupancy: 16
; WaveLimiterHint : 1
; COMPUTE_PGM_RSRC2:SCRATCH_EN: 0
; COMPUTE_PGM_RSRC2:USER_SGPR: 2
; COMPUTE_PGM_RSRC2:TRAP_HANDLER: 0
; COMPUTE_PGM_RSRC2:TGID_X_EN: 1
; COMPUTE_PGM_RSRC2:TGID_Y_EN: 1
; COMPUTE_PGM_RSRC2:TGID_Z_EN: 1
; COMPUTE_PGM_RSRC2:TIDIG_COMP_CNT: 1
	.section	.text._ZL39rocblas_trsm_block_forward_substitutionIffPKPKfPKPfLb1ELb0ELb1EEv18rocblas_operation_llT0_T1_lllT2_lllib,"axG",@progbits,_ZL39rocblas_trsm_block_forward_substitutionIffPKPKfPKPfLb1ELb0ELb1EEv18rocblas_operation_llT0_T1_lllT2_lllib,comdat
	.globl	_ZL39rocblas_trsm_block_forward_substitutionIffPKPKfPKPfLb1ELb0ELb1EEv18rocblas_operation_llT0_T1_lllT2_lllib ; -- Begin function _ZL39rocblas_trsm_block_forward_substitutionIffPKPKfPKPfLb1ELb0ELb1EEv18rocblas_operation_llT0_T1_lllT2_lllib
	.p2align	8
	.type	_ZL39rocblas_trsm_block_forward_substitutionIffPKPKfPKPfLb1ELb0ELb1EEv18rocblas_operation_llT0_T1_lllT2_lllib,@function
_ZL39rocblas_trsm_block_forward_substitutionIffPKPKfPKPfLb1ELb0ELb1EEv18rocblas_operation_llT0_T1_lllT2_lllib: ; @_ZL39rocblas_trsm_block_forward_substitutionIffPKPKfPKPfLb1ELb0ELb1EEv18rocblas_operation_llT0_T1_lllT2_lllib
; %bb.0:
	s_load_b64 s[2:3], s[0:1], 0x60
	s_lshr_b32 s16, ttmp7, 16
	s_wait_kmcnt 0x0
	s_cmp_ge_u32 s16, s2
	s_cbranch_scc1 .LBB60_19
; %bb.1:
	s_clause 0x1
	s_load_u16 s30, s[0:1], 0x76
	s_load_b64 s[26:27], s[0:1], 0x50
	v_bfe_u32 v1, v0, 10, 10
	s_bitcmp1_b32 s3, 0
	s_clause 0x3
	s_load_b128 s[8:11], s[0:1], 0x40
	s_load_b32 s31, s[0:1], 0x18
	s_load_b128 s[12:15], s[0:1], 0x20
	s_load_b64 s[24:25], s[0:1], 0x30
	s_cselect_b32 s3, -1, 0
	s_and_b32 s4, ttmp7, 0xffff
	v_mov_b32_e32 v3, 0
	s_add_nc_u64 s[18:19], s[0:1], 0x68
	s_mov_b64 s[20:21], src_shared_base
	s_mov_b32 s17, 0
	s_mov_b64 s[22:23], 1
	s_wait_kmcnt 0x0
	v_mad_co_u64_u32 v[4:5], null, s4, s30, v[1:2]
	s_load_b128 s[4:7], s[0:1], 0x8
	v_and_b32_e32 v2, 0x3ff, v0
	s_lshl_b32 s1, s30, 2
	v_lshl_add_u32 v0, v1, 2, 0
	s_add_co_i32 s20, s1, 0
	s_lshl_b64 s[14:15], s[14:15], 2
	v_mad_co_u64_u32 v[6:7], null, s26, v4, 0
	v_lshl_add_u32 v10, v2, 2, s20
	v_lshlrev_b32_e32 v11, 2, v2
	s_lshl_b64 s[10:11], s[10:11], 2
	s_delay_alu instid0(VALU_DEP_3) | instskip(NEXT) | instid1(VALU_DEP_1)
	v_mov_b32_e32 v5, v7
	v_mad_co_u64_u32 v[7:8], null, s27, v4, v[5:6]
	v_mov_b32_e32 v5, v3
	s_wait_kmcnt 0x0
	v_cmp_gt_i64_e64 s0, s[4:5], v[2:3]
	v_cmp_gt_i64_e64 s1, s[4:5], 0
	;; [unrolled: 1-line block ×3, first 2 shown]
	v_cmp_gt_i64_e32 vcc_lo, s[6:7], v[4:5]
	v_lshlrev_b64_e32 v[4:5], 2, v[6:7]
	s_add_nc_u64 s[6:7], s[4:5], -1
	s_and_b32 s33, vcc_lo, s0
	s_branch .LBB60_4
.LBB60_2:                               ;   in Loop: Header=BB60_4 Depth=1
	flat_store_b32 v[6:7], v12
.LBB60_3:                               ;   in Loop: Header=BB60_4 Depth=1
	s_or_b32 exec_lo, exec_lo, s35
	s_add_co_i32 s16, s16, 0x10000
	s_delay_alu instid0(SALU_CYCLE_1)
	s_cmp_lt_u32 s16, s2
	s_cbranch_scc0 .LBB60_19
.LBB60_4:                               ; =>This Loop Header: Depth=1
                                        ;     Child Loop BB60_9 Depth 2
                                        ;     Child Loop BB60_15 Depth 2
	s_lshl_b64 s[26:27], s[16:17], 3
	s_wait_alu 0xfffe
	s_add_nc_u64 s[28:29], s[12:13], s[26:27]
	s_add_nc_u64 s[26:27], s[8:9], s[26:27]
	global_load_b64 v[8:9], v3, s[28:29]
	s_wait_loadcnt 0x1
	global_load_b64 v[6:7], v3, s[26:27]
	s_wait_loadcnt 0x1
	v_add_co_u32 v8, vcc_lo, v8, s14
	s_wait_alu 0xfffd
	v_add_co_ci_u32_e64 v9, null, s15, v9, vcc_lo
	s_and_not1_b32 vcc_lo, exec_lo, s3
	s_wait_alu 0xfffe
	s_cbranch_vccz .LBB60_6
; %bb.5:                                ;   in Loop: Header=BB60_4 Depth=1
	s_and_saveexec_b32 s35, s33
	s_cbranch_execz .LBB60_3
	s_branch .LBB60_12
.LBB60_6:                               ;   in Loop: Header=BB60_4 Depth=1
	s_and_not1_b32 vcc_lo, exec_lo, s1
	s_wait_alu 0xfffe
	s_cbranch_vccnz .LBB60_11
; %bb.7:                                ;   in Loop: Header=BB60_4 Depth=1
	v_mad_co_u64_u32 v[12:13], null, s24, v2, 0
	s_mov_b32 s24, 0
	v_mad_co_u64_u32 v[13:14], null, s25, v2, v[13:14]
	s_delay_alu instid0(VALU_DEP_1) | instskip(NEXT) | instid1(VALU_DEP_1)
	v_lshlrev_b64_e32 v[12:13], 2, v[12:13]
	v_add_co_u32 v8, vcc_lo, v8, v12
	s_wait_alu 0xfffd
	s_delay_alu instid0(VALU_DEP_2)
	v_add_co_ci_u32_e64 v9, null, v9, v13, vcc_lo
	s_branch .LBB60_9
.LBB60_8:                               ;   in Loop: Header=BB60_9 Depth=2
	s_wait_alu 0xfffe
	s_or_b32 exec_lo, exec_lo, s25
	s_add_co_i32 s24, s24, s30
	s_wait_alu 0xfffe
	s_ashr_i32 s25, s24, 31
	s_wait_alu 0xfffe
	v_cmp_le_i64_e64 s25, s[4:5], s[24:25]
	s_and_b32 vcc_lo, exec_lo, s25
	s_wait_alu 0xfffe
	s_cbranch_vccnz .LBB60_11
.LBB60_9:                               ;   Parent Loop BB60_4 Depth=1
                                        ; =>  This Inner Loop Header: Depth=2
	s_wait_alu 0xfffe
	v_add_nc_u32_e32 v12, s24, v1
	s_delay_alu instid0(VALU_DEP_1)
	v_cmp_gt_i32_e32 vcc_lo, v2, v12
	s_and_b32 s26, s0, vcc_lo
	s_wait_alu 0xfffe
	s_and_saveexec_b32 s25, s26
	s_cbranch_execz .LBB60_8
; %bb.10:                               ;   in Loop: Header=BB60_9 Depth=2
	v_ashrrev_i32_e32 v15, 31, v12
	v_mul_lo_u32 v16, s23, v12
	v_mad_co_u64_u32 v[13:14], null, s22, v12, 0
	s_load_b32 s26, s[18:19], 0xc
	v_mul_lo_u32 v15, s22, v15
	s_delay_alu instid0(VALU_DEP_1) | instskip(NEXT) | instid1(VALU_DEP_1)
	v_add3_u32 v14, v14, v15, v16
	v_lshlrev_b64_e32 v[13:14], 2, v[13:14]
	s_wait_kmcnt 0x0
	s_and_b32 s26, s26, 0xffff
	s_delay_alu instid0(VALU_DEP_1) | instskip(SKIP_1) | instid1(VALU_DEP_2)
	v_add_co_u32 v13, vcc_lo, v8, v13
	s_wait_alu 0xfffd
	v_add_co_ci_u32_e64 v14, null, v9, v14, vcc_lo
	s_wait_alu 0xfffe
	v_mul_lo_u32 v12, v12, s26
	flat_load_b32 v13, v[13:14]
	v_lshl_add_u32 v12, v12, 2, v10
	s_wait_loadcnt_dscnt 0x0
	ds_store_b32 v12, v13
	s_branch .LBB60_8
.LBB60_11:                              ;   in Loop: Header=BB60_4 Depth=1
	s_load_b32 s22, s[18:19], 0xc
	v_dual_mov_b32 v8, s20 :: v_dual_mov_b32 v9, s21
	s_mov_b32 s23, s17
	s_mov_b64 s[24:25], 1
	s_wait_kmcnt 0x0
	s_and_b32 s22, s22, 0xffff
	s_and_saveexec_b32 s35, s33
	s_cbranch_execz .LBB60_3
.LBB60_12:                              ;   in Loop: Header=BB60_4 Depth=1
	s_wait_loadcnt 0x0
	v_add_co_u32 v6, vcc_lo, v6, s10
	s_wait_alu 0xfffd
	v_add_co_ci_u32_e64 v7, null, s11, v7, vcc_lo
	s_delay_alu instid0(VALU_DEP_2) | instskip(SKIP_1) | instid1(VALU_DEP_2)
	v_add_co_u32 v6, vcc_lo, v6, v4
	s_wait_alu 0xfffd
	v_add_co_ci_u32_e64 v7, null, v7, v5, vcc_lo
	s_delay_alu instid0(VALU_DEP_2) | instskip(SKIP_1) | instid1(VALU_DEP_2)
	v_add_co_u32 v6, vcc_lo, v6, v11
	s_wait_alu 0xfffd
	v_add_co_ci_u32_e64 v7, null, 0, v7, vcc_lo
	s_and_not1_b32 vcc_lo, exec_lo, s34
	flat_load_b32 v12, v[6:7]
	s_wait_loadcnt_dscnt 0x0
	v_mul_f32_e32 v12, s31, v12
	s_wait_alu 0xfffe
	s_cbranch_vccnz .LBB60_2
; %bb.13:                               ;   in Loop: Header=BB60_4 Depth=1
	v_mad_co_u64_u32 v[13:14], null, s24, v2, 0
	s_lshl_b64 s[26:27], s[22:23], 2
	s_mov_b64 s[28:29], 0
	v_mad_co_u64_u32 v[14:15], null, s25, v2, v[14:15]
	s_delay_alu instid0(VALU_DEP_1) | instskip(NEXT) | instid1(VALU_DEP_1)
	v_lshlrev_b64_e32 v[13:14], 2, v[13:14]
	v_add_co_u32 v8, vcc_lo, v8, v13
	s_wait_alu 0xfffd
	s_delay_alu instid0(VALU_DEP_2)
	v_add_co_ci_u32_e64 v9, null, v9, v14, vcc_lo
	s_branch .LBB60_15
.LBB60_14:                              ;   in Loop: Header=BB60_15 Depth=2
	s_or_b32 exec_lo, exec_lo, s36
	s_wait_alu 0xfffe
	v_add_co_u32 v8, vcc_lo, v8, s26
	s_wait_alu 0xfffd
	v_add_co_ci_u32_e64 v9, null, s27, v9, vcc_lo
	s_add_nc_u64 s[28:29], s[28:29], 1
	s_wait_alu 0xfffe
	s_cmp_eq_u64 s[6:7], s[28:29]
	s_cbranch_scc1 .LBB60_2
.LBB60_15:                              ;   Parent Loop BB60_4 Depth=1
                                        ; =>  This Inner Loop Header: Depth=2
	s_mov_b32 s36, exec_lo
	s_barrier_signal -1
	s_barrier_wait -1
	global_inv scope:SCOPE_SE
	s_wait_alu 0xfffe
	v_cmpx_eq_u64_e64 s[28:29], v[2:3]
; %bb.16:                               ;   in Loop: Header=BB60_15 Depth=2
	ds_store_b32 v0, v12
; %bb.17:                               ;   in Loop: Header=BB60_15 Depth=2
	s_or_b32 exec_lo, exec_lo, s36
	s_delay_alu instid0(SALU_CYCLE_1)
	s_mov_b32 s36, exec_lo
	s_wait_loadcnt_dscnt 0x0
	s_barrier_signal -1
	s_barrier_wait -1
	global_inv scope:SCOPE_SE
	v_cmpx_lt_u64_e64 s[28:29], v[2:3]
	s_cbranch_execz .LBB60_14
; %bb.18:                               ;   in Loop: Header=BB60_15 Depth=2
	flat_load_b32 v13, v[8:9]
	ds_load_b32 v14, v0
	s_wait_loadcnt_dscnt 0x0
	v_fma_f32 v12, -v13, v14, v12
	s_branch .LBB60_14
.LBB60_19:
	s_endpgm
	.section	.rodata,"a",@progbits
	.p2align	6, 0x0
	.amdhsa_kernel _ZL39rocblas_trsm_block_forward_substitutionIffPKPKfPKPfLb1ELb0ELb1EEv18rocblas_operation_llT0_T1_lllT2_lllib
		.amdhsa_group_segment_fixed_size 0
		.amdhsa_private_segment_fixed_size 0
		.amdhsa_kernarg_size 360
		.amdhsa_user_sgpr_count 2
		.amdhsa_user_sgpr_dispatch_ptr 0
		.amdhsa_user_sgpr_queue_ptr 0
		.amdhsa_user_sgpr_kernarg_segment_ptr 1
		.amdhsa_user_sgpr_dispatch_id 0
		.amdhsa_user_sgpr_private_segment_size 0
		.amdhsa_wavefront_size32 1
		.amdhsa_uses_dynamic_stack 0
		.amdhsa_enable_private_segment 0
		.amdhsa_system_sgpr_workgroup_id_x 1
		.amdhsa_system_sgpr_workgroup_id_y 1
		.amdhsa_system_sgpr_workgroup_id_z 1
		.amdhsa_system_sgpr_workgroup_info 0
		.amdhsa_system_vgpr_workitem_id 1
		.amdhsa_next_free_vgpr 17
		.amdhsa_next_free_sgpr 37
		.amdhsa_reserve_vcc 1
		.amdhsa_float_round_mode_32 0
		.amdhsa_float_round_mode_16_64 0
		.amdhsa_float_denorm_mode_32 3
		.amdhsa_float_denorm_mode_16_64 3
		.amdhsa_fp16_overflow 0
		.amdhsa_workgroup_processor_mode 1
		.amdhsa_memory_ordered 1
		.amdhsa_forward_progress 1
		.amdhsa_inst_pref_size 9
		.amdhsa_round_robin_scheduling 0
		.amdhsa_exception_fp_ieee_invalid_op 0
		.amdhsa_exception_fp_denorm_src 0
		.amdhsa_exception_fp_ieee_div_zero 0
		.amdhsa_exception_fp_ieee_overflow 0
		.amdhsa_exception_fp_ieee_underflow 0
		.amdhsa_exception_fp_ieee_inexact 0
		.amdhsa_exception_int_div_zero 0
	.end_amdhsa_kernel
	.section	.text._ZL39rocblas_trsm_block_forward_substitutionIffPKPKfPKPfLb1ELb0ELb1EEv18rocblas_operation_llT0_T1_lllT2_lllib,"axG",@progbits,_ZL39rocblas_trsm_block_forward_substitutionIffPKPKfPKPfLb1ELb0ELb1EEv18rocblas_operation_llT0_T1_lllT2_lllib,comdat
.Lfunc_end60:
	.size	_ZL39rocblas_trsm_block_forward_substitutionIffPKPKfPKPfLb1ELb0ELb1EEv18rocblas_operation_llT0_T1_lllT2_lllib, .Lfunc_end60-_ZL39rocblas_trsm_block_forward_substitutionIffPKPKfPKPfLb1ELb0ELb1EEv18rocblas_operation_llT0_T1_lllT2_lllib
                                        ; -- End function
	.set _ZL39rocblas_trsm_block_forward_substitutionIffPKPKfPKPfLb1ELb0ELb1EEv18rocblas_operation_llT0_T1_lllT2_lllib.num_vgpr, 17
	.set _ZL39rocblas_trsm_block_forward_substitutionIffPKPKfPKPfLb1ELb0ELb1EEv18rocblas_operation_llT0_T1_lllT2_lllib.num_agpr, 0
	.set _ZL39rocblas_trsm_block_forward_substitutionIffPKPKfPKPfLb1ELb0ELb1EEv18rocblas_operation_llT0_T1_lllT2_lllib.numbered_sgpr, 37
	.set _ZL39rocblas_trsm_block_forward_substitutionIffPKPKfPKPfLb1ELb0ELb1EEv18rocblas_operation_llT0_T1_lllT2_lllib.num_named_barrier, 0
	.set _ZL39rocblas_trsm_block_forward_substitutionIffPKPKfPKPfLb1ELb0ELb1EEv18rocblas_operation_llT0_T1_lllT2_lllib.private_seg_size, 0
	.set _ZL39rocblas_trsm_block_forward_substitutionIffPKPKfPKPfLb1ELb0ELb1EEv18rocblas_operation_llT0_T1_lllT2_lllib.uses_vcc, 1
	.set _ZL39rocblas_trsm_block_forward_substitutionIffPKPKfPKPfLb1ELb0ELb1EEv18rocblas_operation_llT0_T1_lllT2_lllib.uses_flat_scratch, 0
	.set _ZL39rocblas_trsm_block_forward_substitutionIffPKPKfPKPfLb1ELb0ELb1EEv18rocblas_operation_llT0_T1_lllT2_lllib.has_dyn_sized_stack, 0
	.set _ZL39rocblas_trsm_block_forward_substitutionIffPKPKfPKPfLb1ELb0ELb1EEv18rocblas_operation_llT0_T1_lllT2_lllib.has_recursion, 0
	.set _ZL39rocblas_trsm_block_forward_substitutionIffPKPKfPKPfLb1ELb0ELb1EEv18rocblas_operation_llT0_T1_lllT2_lllib.has_indirect_call, 0
	.section	.AMDGPU.csdata,"",@progbits
; Kernel info:
; codeLenInByte = 1060
; TotalNumSgprs: 39
; NumVgprs: 17
; ScratchSize: 0
; MemoryBound: 0
; FloatMode: 240
; IeeeMode: 1
; LDSByteSize: 0 bytes/workgroup (compile time only)
; SGPRBlocks: 0
; VGPRBlocks: 2
; NumSGPRsForWavesPerEU: 39
; NumVGPRsForWavesPerEU: 17
; Occupancy: 16
; WaveLimiterHint : 1
; COMPUTE_PGM_RSRC2:SCRATCH_EN: 0
; COMPUTE_PGM_RSRC2:USER_SGPR: 2
; COMPUTE_PGM_RSRC2:TRAP_HANDLER: 0
; COMPUTE_PGM_RSRC2:TGID_X_EN: 1
; COMPUTE_PGM_RSRC2:TGID_Y_EN: 1
; COMPUTE_PGM_RSRC2:TGID_Z_EN: 1
; COMPUTE_PGM_RSRC2:TIDIG_COMP_CNT: 1
	.section	.text._ZL40rocblas_trsm_block_backward_substitutionIffPKPKfPKPfLb1ELb0ELb1EEv18rocblas_operation_llT0_T1_lllT2_lllib,"axG",@progbits,_ZL40rocblas_trsm_block_backward_substitutionIffPKPKfPKPfLb1ELb0ELb1EEv18rocblas_operation_llT0_T1_lllT2_lllib,comdat
	.globl	_ZL40rocblas_trsm_block_backward_substitutionIffPKPKfPKPfLb1ELb0ELb1EEv18rocblas_operation_llT0_T1_lllT2_lllib ; -- Begin function _ZL40rocblas_trsm_block_backward_substitutionIffPKPKfPKPfLb1ELb0ELb1EEv18rocblas_operation_llT0_T1_lllT2_lllib
	.p2align	8
	.type	_ZL40rocblas_trsm_block_backward_substitutionIffPKPKfPKPfLb1ELb0ELb1EEv18rocblas_operation_llT0_T1_lllT2_lllib,@function
_ZL40rocblas_trsm_block_backward_substitutionIffPKPKfPKPfLb1ELb0ELb1EEv18rocblas_operation_llT0_T1_lllT2_lllib: ; @_ZL40rocblas_trsm_block_backward_substitutionIffPKPKfPKPfLb1ELb0ELb1EEv18rocblas_operation_llT0_T1_lllT2_lllib
; %bb.0:
	s_load_b64 s[2:3], s[0:1], 0x60
	s_lshr_b32 s16, ttmp7, 16
	s_wait_kmcnt 0x0
	s_cmp_ge_u32 s16, s2
	s_cbranch_scc1 .LBB61_19
; %bb.1:
	s_clause 0x4
	s_load_b64 s[24:25], s[0:1], 0x50
	s_load_b128 s[4:7], s[0:1], 0x40
	s_load_u16 s30, s[0:1], 0x76
	s_load_b128 s[8:11], s[0:1], 0x8
	s_load_b32 s31, s[0:1], 0x18
	v_dual_mov_b32 v2, 0 :: v_dual_and_b32 v1, 0x3ff, v0
	v_bfe_u32 v0, v0, 10, 10
	s_bitcmp1_b32 s3, 0
	s_clause 0x1
	s_load_b128 s[12:15], s[0:1], 0x20
	s_load_b64 s[18:19], s[0:1], 0x30
	s_add_nc_u64 s[20:21], s[0:1], 0x68
	s_cselect_b32 s3, -1, 0
	s_and_b32 s0, ttmp7, 0xffff
	s_mov_b64 s[22:23], src_shared_base
	v_lshl_add_u32 v12, v0, 2, 0
	v_lshlrev_b32_e32 v14, 2, v1
	s_mov_b32 s17, 0
	s_wait_kmcnt 0x0
	v_mad_co_u64_u32 v[5:6], null, s24, v1, 0
	v_mad_co_u64_u32 v[7:8], null, s0, s30, v[0:1]
	s_lshl_b32 s1, s30, 2
	v_cmp_gt_i64_e64 s0, s[8:9], v[1:2]
	s_wait_alu 0xfffe
	s_add_co_i32 s22, s1, 0
	v_cmp_gt_i64_e64 s33, s[8:9], 0
	v_dual_mov_b32 v3, v6 :: v_dual_mov_b32 v8, v2
	v_cmp_gt_i64_e64 s35, s[8:9], 1
	s_lshl_b64 s[14:15], s[14:15], 2
	s_lshl_b64 s[6:7], s[6:7], 2
	v_mad_co_u64_u32 v[3:4], null, s25, v1, v[3:4]
	v_lshlrev_b32_e32 v11, 2, v1
	v_cmp_gt_i64_e32 vcc_lo, s[10:11], v[7:8]
	s_add_nc_u64 s[24:25], s[8:9], -1
	s_wait_alu 0xfffe
	s_lshl_b64 s[10:11], s[24:25], 2
	s_delay_alu instid0(VALU_DEP_3) | instskip(SKIP_3) | instid1(VALU_DEP_3)
	v_mov_b32_e32 v6, v3
	v_lshlrev_b64_e32 v[3:4], 2, v[7:8]
	v_add_nc_u32_e32 v13, s22, v11
	s_and_b32 s34, vcc_lo, s0
	v_lshlrev_b64_e32 v[5:6], 2, v[5:6]
	s_branch .LBB61_4
.LBB61_2:                               ;   in Loop: Header=BB61_4 Depth=1
	flat_store_b32 v[7:8], v15
.LBB61_3:                               ;   in Loop: Header=BB61_4 Depth=1
	s_wait_alu 0xfffe
	s_or_b32 exec_lo, exec_lo, s1
	s_add_co_i32 s16, s16, 0x10000
	s_delay_alu instid0(SALU_CYCLE_1)
	s_cmp_lt_u32 s16, s2
	s_cbranch_scc0 .LBB61_19
.LBB61_4:                               ; =>This Loop Header: Depth=1
                                        ;     Child Loop BB61_9 Depth 2
                                        ;     Child Loop BB61_15 Depth 2
	s_lshl_b64 s[26:27], s[16:17], 3
	s_wait_alu 0xfffe
	s_add_nc_u64 s[28:29], s[12:13], s[26:27]
	s_add_nc_u64 s[26:27], s[4:5], s[26:27]
	global_load_b64 v[9:10], v2, s[28:29]
	s_wait_loadcnt 0x1
	global_load_b64 v[7:8], v2, s[26:27]
	s_mov_b64 s[26:27], s[18:19]
	s_wait_loadcnt 0x1
	v_add_co_u32 v9, vcc_lo, v9, s14
	s_wait_alu 0xfffd
	v_add_co_ci_u32_e64 v10, null, s15, v10, vcc_lo
	s_and_not1_b32 vcc_lo, exec_lo, s3
	s_wait_alu 0xfffe
	s_cbranch_vccz .LBB61_6
; %bb.5:                                ;   in Loop: Header=BB61_4 Depth=1
	s_and_saveexec_b32 s1, s34
	s_cbranch_execz .LBB61_3
	s_branch .LBB61_12
.LBB61_6:                               ;   in Loop: Header=BB61_4 Depth=1
	s_and_not1_b32 vcc_lo, exec_lo, s33
	s_wait_alu 0xfffe
	s_cbranch_vccnz .LBB61_11
; %bb.7:                                ;   in Loop: Header=BB61_4 Depth=1
	v_add_co_u32 v15, vcc_lo, v9, v14
	s_wait_alu 0xfffd
	v_add_co_ci_u32_e64 v16, null, 0, v10, vcc_lo
	s_mov_b32 s26, 0
	s_branch .LBB61_9
.LBB61_8:                               ;   in Loop: Header=BB61_9 Depth=2
	s_wait_alu 0xfffe
	s_or_b32 exec_lo, exec_lo, s1
	s_add_co_i32 s26, s26, s30
	s_wait_alu 0xfffe
	s_ashr_i32 s27, s26, 31
	s_wait_alu 0xfffe
	v_cmp_le_i64_e64 s1, s[8:9], s[26:27]
	s_and_b32 vcc_lo, exec_lo, s1
	s_wait_alu 0xfffe
	s_cbranch_vccnz .LBB61_11
.LBB61_9:                               ;   Parent Loop BB61_4 Depth=1
                                        ; =>  This Inner Loop Header: Depth=2
	s_wait_alu 0xfffe
	v_add_nc_u32_e32 v9, s26, v0
	s_delay_alu instid0(VALU_DEP_1) | instskip(SKIP_1) | instid1(VALU_DEP_2)
	v_ashrrev_i32_e32 v10, 31, v9
	v_cmp_lt_i32_e64 s1, v1, v9
	v_cmp_gt_i64_e32 vcc_lo, s[8:9], v[9:10]
	s_and_b32 s1, s1, vcc_lo
	s_wait_alu 0xfffe
	s_and_b32 s27, s0, s1
	s_wait_alu 0xfffe
	s_and_saveexec_b32 s1, s27
	s_cbranch_execz .LBB61_8
; %bb.10:                               ;   in Loop: Header=BB61_9 Depth=2
	v_mul_lo_u32 v19, s19, v9
	v_mul_lo_u32 v10, s18, v10
	v_mad_co_u64_u32 v[17:18], null, s18, v9, 0
	s_load_b32 s27, s[20:21], 0xc
	v_add3_u32 v18, v18, v10, v19
	s_delay_alu instid0(VALU_DEP_1) | instskip(NEXT) | instid1(VALU_DEP_1)
	v_lshlrev_b64_e32 v[17:18], 2, v[17:18]
	v_add_co_u32 v17, vcc_lo, v15, v17
	s_wait_alu 0xfffd
	s_delay_alu instid0(VALU_DEP_2)
	v_add_co_ci_u32_e64 v18, null, v16, v18, vcc_lo
	s_wait_kmcnt 0x0
	s_and_b32 s27, s27, 0xffff
	s_wait_alu 0xfffe
	v_mul_lo_u32 v9, v9, s27
	flat_load_b32 v10, v[17:18]
	v_lshl_add_u32 v9, v9, 2, v13
	s_wait_loadcnt_dscnt 0x0
	ds_store_b32 v9, v10
	s_branch .LBB61_8
.LBB61_11:                              ;   in Loop: Header=BB61_4 Depth=1
	s_load_b32 s1, s[20:21], 0xc
	v_dual_mov_b32 v9, s22 :: v_dual_mov_b32 v10, s23
	s_mov_b32 s27, s17
	s_wait_kmcnt 0x0
	s_and_b32 s26, s1, 0xffff
	s_and_saveexec_b32 s1, s34
	s_cbranch_execz .LBB61_3
.LBB61_12:                              ;   in Loop: Header=BB61_4 Depth=1
	s_wait_loadcnt 0x0
	v_add_co_u32 v7, vcc_lo, v7, s6
	s_wait_alu 0xfffd
	v_add_co_ci_u32_e64 v8, null, s7, v8, vcc_lo
	s_delay_alu instid0(VALU_DEP_2) | instskip(SKIP_1) | instid1(VALU_DEP_2)
	v_add_co_u32 v7, vcc_lo, v7, v5
	s_wait_alu 0xfffd
	v_add_co_ci_u32_e64 v8, null, v8, v6, vcc_lo
	s_delay_alu instid0(VALU_DEP_2) | instskip(SKIP_1) | instid1(VALU_DEP_2)
	v_add_co_u32 v7, vcc_lo, v7, v3
	s_wait_alu 0xfffd
	v_add_co_ci_u32_e64 v8, null, v8, v4, vcc_lo
	s_and_not1_b32 vcc_lo, exec_lo, s35
	flat_load_b32 v15, v[7:8]
	s_wait_loadcnt_dscnt 0x0
	v_mul_f32_e32 v15, s31, v15
	s_wait_alu 0xfffe
	s_cbranch_vccnz .LBB61_2
; %bb.13:                               ;   in Loop: Header=BB61_4 Depth=1
	v_add_co_u32 v9, vcc_lo, v9, v11
	s_wait_alu 0xfffd
	v_add_co_ci_u32_e64 v10, null, 0, v10, vcc_lo
	s_mul_i32 s28, s11, s26
	s_mul_i32 s29, s10, s27
	v_mad_co_u64_u32 v[9:10], null, s10, s26, v[9:10]
	s_lshl_b64 s[26:27], s[26:27], 2
	s_wait_alu 0xfffe
	s_sub_nc_u64 s[26:27], 0, s[26:27]
	v_add3_u32 v10, s29, s28, v10
	s_mov_b64 s[28:29], s[24:25]
	s_branch .LBB61_15
.LBB61_14:                              ;   in Loop: Header=BB61_15 Depth=2
	s_wait_alu 0xfffe
	s_or_b32 exec_lo, exec_lo, s36
	s_add_nc_u64 s[36:37], s[28:29], 1
	v_add_co_u32 v9, vcc_lo, v9, s26
	s_wait_alu 0xfffe
	v_cmp_lt_u64_e64 s36, s[36:37], 3
	s_wait_alu 0xfffd
	v_add_co_ci_u32_e64 v10, null, s27, v10, vcc_lo
	s_add_nc_u64 s[28:29], s[28:29], -1
	s_and_b32 vcc_lo, exec_lo, s36
	s_wait_alu 0xfffe
	s_cbranch_vccnz .LBB61_2
.LBB61_15:                              ;   Parent Loop BB61_4 Depth=1
                                        ; =>  This Inner Loop Header: Depth=2
	s_mov_b32 s36, exec_lo
	s_barrier_signal -1
	s_barrier_wait -1
	global_inv scope:SCOPE_SE
	s_wait_alu 0xfffe
	v_cmpx_eq_u64_e64 s[28:29], v[1:2]
; %bb.16:                               ;   in Loop: Header=BB61_15 Depth=2
	ds_store_b32 v12, v15
; %bb.17:                               ;   in Loop: Header=BB61_15 Depth=2
	s_or_b32 exec_lo, exec_lo, s36
	s_delay_alu instid0(SALU_CYCLE_1)
	s_mov_b32 s36, exec_lo
	s_wait_loadcnt_dscnt 0x0
	s_barrier_signal -1
	s_barrier_wait -1
	global_inv scope:SCOPE_SE
	v_cmpx_gt_i64_e64 s[28:29], v[1:2]
	s_cbranch_execz .LBB61_14
; %bb.18:                               ;   in Loop: Header=BB61_15 Depth=2
	flat_load_b32 v16, v[9:10]
	ds_load_b32 v17, v12
	s_wait_loadcnt_dscnt 0x0
	v_fma_f32 v15, -v16, v17, v15
	s_branch .LBB61_14
.LBB61_19:
	s_endpgm
	.section	.rodata,"a",@progbits
	.p2align	6, 0x0
	.amdhsa_kernel _ZL40rocblas_trsm_block_backward_substitutionIffPKPKfPKPfLb1ELb0ELb1EEv18rocblas_operation_llT0_T1_lllT2_lllib
		.amdhsa_group_segment_fixed_size 0
		.amdhsa_private_segment_fixed_size 0
		.amdhsa_kernarg_size 360
		.amdhsa_user_sgpr_count 2
		.amdhsa_user_sgpr_dispatch_ptr 0
		.amdhsa_user_sgpr_queue_ptr 0
		.amdhsa_user_sgpr_kernarg_segment_ptr 1
		.amdhsa_user_sgpr_dispatch_id 0
		.amdhsa_user_sgpr_private_segment_size 0
		.amdhsa_wavefront_size32 1
		.amdhsa_uses_dynamic_stack 0
		.amdhsa_enable_private_segment 0
		.amdhsa_system_sgpr_workgroup_id_x 1
		.amdhsa_system_sgpr_workgroup_id_y 1
		.amdhsa_system_sgpr_workgroup_id_z 1
		.amdhsa_system_sgpr_workgroup_info 0
		.amdhsa_system_vgpr_workitem_id 1
		.amdhsa_next_free_vgpr 20
		.amdhsa_next_free_sgpr 38
		.amdhsa_reserve_vcc 1
		.amdhsa_float_round_mode_32 0
		.amdhsa_float_round_mode_16_64 0
		.amdhsa_float_denorm_mode_32 3
		.amdhsa_float_denorm_mode_16_64 3
		.amdhsa_fp16_overflow 0
		.amdhsa_workgroup_processor_mode 1
		.amdhsa_memory_ordered 1
		.amdhsa_forward_progress 1
		.amdhsa_inst_pref_size 9
		.amdhsa_round_robin_scheduling 0
		.amdhsa_exception_fp_ieee_invalid_op 0
		.amdhsa_exception_fp_denorm_src 0
		.amdhsa_exception_fp_ieee_div_zero 0
		.amdhsa_exception_fp_ieee_overflow 0
		.amdhsa_exception_fp_ieee_underflow 0
		.amdhsa_exception_fp_ieee_inexact 0
		.amdhsa_exception_int_div_zero 0
	.end_amdhsa_kernel
	.section	.text._ZL40rocblas_trsm_block_backward_substitutionIffPKPKfPKPfLb1ELb0ELb1EEv18rocblas_operation_llT0_T1_lllT2_lllib,"axG",@progbits,_ZL40rocblas_trsm_block_backward_substitutionIffPKPKfPKPfLb1ELb0ELb1EEv18rocblas_operation_llT0_T1_lllT2_lllib,comdat
.Lfunc_end61:
	.size	_ZL40rocblas_trsm_block_backward_substitutionIffPKPKfPKPfLb1ELb0ELb1EEv18rocblas_operation_llT0_T1_lllT2_lllib, .Lfunc_end61-_ZL40rocblas_trsm_block_backward_substitutionIffPKPKfPKPfLb1ELb0ELb1EEv18rocblas_operation_llT0_T1_lllT2_lllib
                                        ; -- End function
	.set _ZL40rocblas_trsm_block_backward_substitutionIffPKPKfPKPfLb1ELb0ELb1EEv18rocblas_operation_llT0_T1_lllT2_lllib.num_vgpr, 20
	.set _ZL40rocblas_trsm_block_backward_substitutionIffPKPKfPKPfLb1ELb0ELb1EEv18rocblas_operation_llT0_T1_lllT2_lllib.num_agpr, 0
	.set _ZL40rocblas_trsm_block_backward_substitutionIffPKPKfPKPfLb1ELb0ELb1EEv18rocblas_operation_llT0_T1_lllT2_lllib.numbered_sgpr, 38
	.set _ZL40rocblas_trsm_block_backward_substitutionIffPKPKfPKPfLb1ELb0ELb1EEv18rocblas_operation_llT0_T1_lllT2_lllib.num_named_barrier, 0
	.set _ZL40rocblas_trsm_block_backward_substitutionIffPKPKfPKPfLb1ELb0ELb1EEv18rocblas_operation_llT0_T1_lllT2_lllib.private_seg_size, 0
	.set _ZL40rocblas_trsm_block_backward_substitutionIffPKPKfPKPfLb1ELb0ELb1EEv18rocblas_operation_llT0_T1_lllT2_lllib.uses_vcc, 1
	.set _ZL40rocblas_trsm_block_backward_substitutionIffPKPKfPKPfLb1ELb0ELb1EEv18rocblas_operation_llT0_T1_lllT2_lllib.uses_flat_scratch, 0
	.set _ZL40rocblas_trsm_block_backward_substitutionIffPKPKfPKPfLb1ELb0ELb1EEv18rocblas_operation_llT0_T1_lllT2_lllib.has_dyn_sized_stack, 0
	.set _ZL40rocblas_trsm_block_backward_substitutionIffPKPKfPKPfLb1ELb0ELb1EEv18rocblas_operation_llT0_T1_lllT2_lllib.has_recursion, 0
	.set _ZL40rocblas_trsm_block_backward_substitutionIffPKPKfPKPfLb1ELb0ELb1EEv18rocblas_operation_llT0_T1_lllT2_lllib.has_indirect_call, 0
	.section	.AMDGPU.csdata,"",@progbits
; Kernel info:
; codeLenInByte = 1084
; TotalNumSgprs: 40
; NumVgprs: 20
; ScratchSize: 0
; MemoryBound: 0
; FloatMode: 240
; IeeeMode: 1
; LDSByteSize: 0 bytes/workgroup (compile time only)
; SGPRBlocks: 0
; VGPRBlocks: 2
; NumSGPRsForWavesPerEU: 40
; NumVGPRsForWavesPerEU: 20
; Occupancy: 16
; WaveLimiterHint : 1
; COMPUTE_PGM_RSRC2:SCRATCH_EN: 0
; COMPUTE_PGM_RSRC2:USER_SGPR: 2
; COMPUTE_PGM_RSRC2:TRAP_HANDLER: 0
; COMPUTE_PGM_RSRC2:TGID_X_EN: 1
; COMPUTE_PGM_RSRC2:TGID_Y_EN: 1
; COMPUTE_PGM_RSRC2:TGID_Z_EN: 1
; COMPUTE_PGM_RSRC2:TIDIG_COMP_CNT: 1
	.section	.text._ZL26setup_batched_array_kernelILi128EfEvPT0_lPS1_,"axG",@progbits,_ZL26setup_batched_array_kernelILi128EfEvPT0_lPS1_,comdat
	.globl	_ZL26setup_batched_array_kernelILi128EfEvPT0_lPS1_ ; -- Begin function _ZL26setup_batched_array_kernelILi128EfEvPT0_lPS1_
	.p2align	8
	.type	_ZL26setup_batched_array_kernelILi128EfEvPT0_lPS1_,@function
_ZL26setup_batched_array_kernelILi128EfEvPT0_lPS1_: ; @_ZL26setup_batched_array_kernelILi128EfEvPT0_lPS1_
; %bb.0:
	s_clause 0x1
	s_load_b128 s[4:7], s[0:1], 0x0
	s_load_b64 s[0:1], s[0:1], 0x10
	s_mov_b32 s2, ttmp9
	s_mov_b32 s3, 0
	s_wait_kmcnt 0x0
	s_mul_u64 s[6:7], s[6:7], s[2:3]
	s_lshl_b64 s[2:3], s[2:3], 3
	s_lshl_b64 s[6:7], s[6:7], 2
	s_add_nc_u64 s[0:1], s[0:1], s[2:3]
	s_add_nc_u64 s[4:5], s[4:5], s[6:7]
	v_mov_b32_e32 v2, 0
	v_dual_mov_b32 v0, s4 :: v_dual_mov_b32 v1, s5
	global_store_b64 v2, v[0:1], s[0:1]
	s_endpgm
	.section	.rodata,"a",@progbits
	.p2align	6, 0x0
	.amdhsa_kernel _ZL26setup_batched_array_kernelILi128EfEvPT0_lPS1_
		.amdhsa_group_segment_fixed_size 0
		.amdhsa_private_segment_fixed_size 0
		.amdhsa_kernarg_size 24
		.amdhsa_user_sgpr_count 2
		.amdhsa_user_sgpr_dispatch_ptr 0
		.amdhsa_user_sgpr_queue_ptr 0
		.amdhsa_user_sgpr_kernarg_segment_ptr 1
		.amdhsa_user_sgpr_dispatch_id 0
		.amdhsa_user_sgpr_private_segment_size 0
		.amdhsa_wavefront_size32 1
		.amdhsa_uses_dynamic_stack 0
		.amdhsa_enable_private_segment 0
		.amdhsa_system_sgpr_workgroup_id_x 1
		.amdhsa_system_sgpr_workgroup_id_y 0
		.amdhsa_system_sgpr_workgroup_id_z 0
		.amdhsa_system_sgpr_workgroup_info 0
		.amdhsa_system_vgpr_workitem_id 0
		.amdhsa_next_free_vgpr 3
		.amdhsa_next_free_sgpr 8
		.amdhsa_reserve_vcc 0
		.amdhsa_float_round_mode_32 0
		.amdhsa_float_round_mode_16_64 0
		.amdhsa_float_denorm_mode_32 3
		.amdhsa_float_denorm_mode_16_64 3
		.amdhsa_fp16_overflow 0
		.amdhsa_workgroup_processor_mode 1
		.amdhsa_memory_ordered 1
		.amdhsa_forward_progress 1
		.amdhsa_inst_pref_size 1
		.amdhsa_round_robin_scheduling 0
		.amdhsa_exception_fp_ieee_invalid_op 0
		.amdhsa_exception_fp_denorm_src 0
		.amdhsa_exception_fp_ieee_div_zero 0
		.amdhsa_exception_fp_ieee_overflow 0
		.amdhsa_exception_fp_ieee_underflow 0
		.amdhsa_exception_fp_ieee_inexact 0
		.amdhsa_exception_int_div_zero 0
	.end_amdhsa_kernel
	.section	.text._ZL26setup_batched_array_kernelILi128EfEvPT0_lPS1_,"axG",@progbits,_ZL26setup_batched_array_kernelILi128EfEvPT0_lPS1_,comdat
.Lfunc_end62:
	.size	_ZL26setup_batched_array_kernelILi128EfEvPT0_lPS1_, .Lfunc_end62-_ZL26setup_batched_array_kernelILi128EfEvPT0_lPS1_
                                        ; -- End function
	.set _ZL26setup_batched_array_kernelILi128EfEvPT0_lPS1_.num_vgpr, 3
	.set _ZL26setup_batched_array_kernelILi128EfEvPT0_lPS1_.num_agpr, 0
	.set _ZL26setup_batched_array_kernelILi128EfEvPT0_lPS1_.numbered_sgpr, 8
	.set _ZL26setup_batched_array_kernelILi128EfEvPT0_lPS1_.num_named_barrier, 0
	.set _ZL26setup_batched_array_kernelILi128EfEvPT0_lPS1_.private_seg_size, 0
	.set _ZL26setup_batched_array_kernelILi128EfEvPT0_lPS1_.uses_vcc, 0
	.set _ZL26setup_batched_array_kernelILi128EfEvPT0_lPS1_.uses_flat_scratch, 0
	.set _ZL26setup_batched_array_kernelILi128EfEvPT0_lPS1_.has_dyn_sized_stack, 0
	.set _ZL26setup_batched_array_kernelILi128EfEvPT0_lPS1_.has_recursion, 0
	.set _ZL26setup_batched_array_kernelILi128EfEvPT0_lPS1_.has_indirect_call, 0
	.section	.AMDGPU.csdata,"",@progbits
; Kernel info:
; codeLenInByte = 80
; TotalNumSgprs: 8
; NumVgprs: 3
; ScratchSize: 0
; MemoryBound: 0
; FloatMode: 240
; IeeeMode: 1
; LDSByteSize: 0 bytes/workgroup (compile time only)
; SGPRBlocks: 0
; VGPRBlocks: 0
; NumSGPRsForWavesPerEU: 8
; NumVGPRsForWavesPerEU: 3
; Occupancy: 16
; WaveLimiterHint : 0
; COMPUTE_PGM_RSRC2:SCRATCH_EN: 0
; COMPUTE_PGM_RSRC2:USER_SGPR: 2
; COMPUTE_PGM_RSRC2:TRAP_HANDLER: 0
; COMPUTE_PGM_RSRC2:TGID_X_EN: 1
; COMPUTE_PGM_RSRC2:TGID_Y_EN: 0
; COMPUTE_PGM_RSRC2:TGID_Z_EN: 0
; COMPUTE_PGM_RSRC2:TIDIG_COMP_CNT: 0
	.section	.text._ZL25rocblas_trtri_trsm_kernelILi128ELi16ELi8EfPKPKfPKPfEv13rocblas_fill_17rocblas_diagonal_T3_lilT4_lli,"axG",@progbits,_ZL25rocblas_trtri_trsm_kernelILi128ELi16ELi8EfPKPKfPKPfEv13rocblas_fill_17rocblas_diagonal_T3_lilT4_lli,comdat
	.globl	_ZL25rocblas_trtri_trsm_kernelILi128ELi16ELi8EfPKPKfPKPfEv13rocblas_fill_17rocblas_diagonal_T3_lilT4_lli ; -- Begin function _ZL25rocblas_trtri_trsm_kernelILi128ELi16ELi8EfPKPKfPKPfEv13rocblas_fill_17rocblas_diagonal_T3_lilT4_lli
	.p2align	8
	.type	_ZL25rocblas_trtri_trsm_kernelILi128ELi16ELi8EfPKPKfPKPfEv13rocblas_fill_17rocblas_diagonal_T3_lilT4_lli,@function
_ZL25rocblas_trtri_trsm_kernelILi128ELi16ELi8EfPKPKfPKPfEv13rocblas_fill_17rocblas_diagonal_T3_lilT4_lli: ; @_ZL25rocblas_trtri_trsm_kernelILi128ELi16ELi8EfPKPKfPKPfEv13rocblas_fill_17rocblas_diagonal_T3_lilT4_lli
; %bb.0:
	s_load_b32 s90, s[0:1], 0x40
	s_lshr_b32 s48, ttmp7, 16
	s_wait_kmcnt 0x0
	s_cmp_ge_u32 s48, s90
	s_cbranch_scc1 .LBB63_143
; %bb.1:
	s_clause 0x3
	s_load_b32 s38, s[0:1], 0x18
	s_load_b64 s[4:5], s[0:1], 0x0
	s_load_b128 s[40:43], s[0:1], 0x8
	s_load_b128 s[44:47], s[0:1], 0x28
	v_cmp_gt_u32_e64 s1, 32, v0
	v_cmp_gt_u32_e32 vcc_lo, 16, v0
	v_dual_mov_b32 v3, 0 :: v_dual_and_b32 v4, 15, v0
	v_lshrrev_b32_e32 v5, 4, v0
	s_delay_alu instid0(VALU_DEP_4) | instskip(SKIP_1) | instid1(VALU_DEP_4)
	v_cndmask_b32_e64 v2, 0xffffffe0, -16, s1
	v_cndmask_b32_e64 v1, 0, 0xc00, s1
	v_xor_b32_e32 v9, 15, v4
	v_lshlrev_b32_e32 v12, 2, v4
	v_bfi_b32 v8, v0, 0, 0xf0
	v_cndmask_b32_e64 v2, v2, 0, vcc_lo
	v_cndmask_b32_e64 v1, v1, 0x800, vcc_lo
	v_lshlrev_b32_e32 v9, 2, v9
	v_lshlrev_b32_e32 v41, 6, v4
	s_lshl_b32 s50, ttmp9, 1
	v_add_nc_u32_e32 v2, v0, v2
	s_wait_kmcnt 0x0
	s_ashr_i32 s39, s38, 31
	s_mov_b32 s51, 0
	s_lshl_b64 s[52:53], s[38:39], 4
	s_and_b32 s3, s50, 6
	v_sub_nc_u32_e32 v11, 0xffffff10, v2
	v_lshlrev_b32_e32 v33, 6, v2
	v_lshlrev_b32_e32 v14, 2, v2
	s_add_nc_u64 s[6:7], s[52:53], 16
	v_lshl_or_b32 v10, v5, 7, v4
	v_lshl_add_u32 v15, v11, 2, v1
	v_sub_nc_u32_e32 v11, 0xffffff30, v2
	s_mul_u64 s[88:89], s[6:7], s[50:51]
	s_bfe_u32 s50, ttmp9, 0x1d0002
	v_cndmask_b32_e64 v7, s7, 0, vcc_lo
	v_cndmask_b32_e64 v6, s6, 0, vcc_lo
	v_lshl_add_u32 v17, v11, 2, v1
	v_sub_nc_u32_e32 v11, 0xffffff50, v2
	s_lshl_b64 s[66:67], s[50:51], 16
	v_sub_nc_u32_e32 v16, 0xffffff20, v2
	v_sub_nc_u32_e32 v18, 0xffffff40, v2
	;; [unrolled: 1-line block ×3, first 2 shown]
	v_lshl_add_u32 v19, v11, 2, v1
	v_sub_nc_u32_e32 v11, 0xffffff70, v2
	v_sub_nc_u32_e32 v22, 0xffffff80, v2
	;; [unrolled: 1-line block ×5, first 2 shown]
	v_lshl_add_u32 v21, v11, 2, v1
	v_sub_nc_u32_e32 v11, 0xffffff90, v2
	v_sub_nc_u32_e32 v29, -16, v2
	v_sub_nc_u32_e32 v30, v1, v14
	v_mad_i32_i24 v32, 0x44, v2, v1
	v_lshlrev_b32_e32 v42, 2, v5
	v_lshl_add_u32 v23, v11, 2, v1
	v_sub_nc_u32_e32 v11, 0xffffffb0, v2
	v_lshl_or_b32 v39, v8, 2, 0xc3c
	v_sub_nc_u32_e32 v8, v9, v41
	s_cmp_lg_u32 s4, 0x7a
	v_add_nc_u32_e32 v38, 1, v5
	v_lshl_add_u32 v25, v11, 2, v1
	v_sub_nc_u32_e32 v11, 0xffffffd0, v2
	s_cselect_b32 s91, -1, 0
	s_lshl_b64 s[70:71], s[38:39], 6
	s_lshl_b64 s[72:73], s[38:39], 5
	;; [unrolled: 1-line block ×3, first 2 shown]
	v_lshl_add_u32 v27, v11, 2, v1
	v_mul_i32_i24_e32 v11, 0x44, v2
	s_cmp_lg_u32 s5, 0x84
	v_add_nc_u32_e32 v41, -1, v5
	v_add_nc_u32_e32 v43, -1, v4
	v_add_nc_u32_e32 v46, 1, v4
	v_sub_nc_u32_e32 v11, v11, v33
	v_lshlrev_b64_e32 v[6:7], 2, v[6:7]
	v_cmp_lt_u32_e64 s0, 31, v0
	v_cmp_gt_u32_e64 s2, 48, v0
	s_mul_i32 s49, s3, 0x810
	v_add_nc_u32_e32 v11, v11, v1
	v_cmp_gt_u32_e64 s3, 0x100, v0
	v_lshl_or_b32 v0, v0, 2, 0x400
	v_cndmask_b32_e64 v13, 0x810, 0, vcc_lo
	v_cmp_gt_u32_e64 s4, 16, v2
	v_add_nc_u32_e32 v34, 64, v11
	v_add_nc_u32_e32 v37, 0x80, v11
	v_lshlrev_b32_e32 v11, 6, v5
	v_lshlrev_b64_e32 v[4:5], 2, v[2:3]
	v_cmp_gt_u32_e64 s5, 15, v2
	v_lshl_add_u32 v16, v16, 2, v1
	v_cmp_gt_u32_e64 s6, 14, v2
	v_or_b32_e32 v40, v11, v12
	v_cmp_gt_u32_e64 s7, 13, v2
	v_lshl_add_u32 v18, v18, 2, v1
	v_cmp_gt_u32_e64 s8, 12, v2
	v_cmp_gt_u32_e64 s9, 11, v2
	v_lshl_add_u32 v20, v20, 2, v1
	v_cmp_gt_u32_e64 s10, 10, v2
	;; [unrolled: 3-line block ×6, first 2 shown]
	v_lshl_add_u32 v29, v29, 2, v1
	v_cmp_eq_u32_e64 s19, 0, v2
	v_cmp_ne_u32_e64 s20, 0, v2
	v_add_nc_u32_e32 v31, v1, v14
	v_cmp_lt_u32_e64 s21, 1, v2
	v_cmp_lt_u32_e64 s22, 2, v2
	;; [unrolled: 1-line block ×14, first 2 shown]
	v_sub_nc_u32_e32 v33, v32, v33
	v_cmp_gt_i32_e64 s36, 16, v2
	v_cmp_lt_i32_e64 s37, -1, v2
	v_or_b32_e32 v35, 4, v1
	v_or_b32_e32 v36, 0x48, v1
	v_or3_b32 v42, v11, v42, 0x800
	v_or_b32_e32 v44, 0x400, v40
	v_add_nc_u32_e32 v45, 0xbc0, v8
	v_or_b32_e32 v47, 0x400, v11
	v_or_b32_e32 v48, 0xc00, v12
	v_add_nc_u32_e32 v49, 60, v30
	v_add_nc_u32_e32 v50, 1, v2
	v_lshlrev_b32_e32 v51, 2, v10
	s_cselect_b32 s92, -1, 0
	s_lshl_b64 s[84:85], s[38:39], 2
	s_mul_u64 s[54:55], s[38:39], 60
	s_mul_u64 s[56:57], s[38:39], 56
	;; [unrolled: 1-line block ×11, first 2 shown]
	s_sub_nc_u64 s[86:87], 0, s[84:85]
	s_lshl_b64 s[88:89], s[88:89], 2
	s_lshl_b64 s[42:43], s[42:43], 2
	s_lshl_b32 s93, s49, 2
	s_lshl_b64 s[46:47], s[46:47], 2
	s_branch .LBB63_3
.LBB63_2:                               ;   in Loop: Header=BB63_3 Depth=1
	s_wait_alu 0xfffe
	s_or_b32 exec_lo, exec_lo, s39
	s_add_co_i32 s48, s48, 0x10000
	s_wait_alu 0xfffe
	s_cmp_lt_u32 s48, s90
	s_cbranch_scc0 .LBB63_143
.LBB63_3:                               ; =>This Loop Header: Depth=1
                                        ;     Child Loop BB63_86 Depth 2
                                        ;       Child Loop BB63_92 Depth 3
                                        ;       Child Loop BB63_101 Depth 3
                                        ;     Child Loop BB63_108 Depth 2
                                        ;     Child Loop BB63_114 Depth 2
	;; [unrolled: 1-line block ×6, first 2 shown]
	s_mov_b32 s49, s51
	s_wait_alu 0xfffe
	s_lshl_b64 s[38:39], s[48:49], 3
	s_wait_alu 0xfffe
	s_add_nc_u64 s[94:95], s[40:41], s[38:39]
	s_add_nc_u64 s[38:39], s[44:45], s[38:39]
	s_clause 0x1
	global_load_b64 v[10:11], v3, s[94:95]
	global_load_b64 v[8:9], v3, s[38:39]
	s_wait_loadcnt 0x1
	v_add_co_u32 v10, vcc_lo, v10, s88
	s_wait_alu 0xfffd
	v_add_co_ci_u32_e64 v11, null, s89, v11, vcc_lo
	s_delay_alu instid0(VALU_DEP_2) | instskip(SKIP_1) | instid1(VALU_DEP_2)
	v_add_co_u32 v10, vcc_lo, v10, s42
	s_wait_alu 0xfffd
	v_add_co_ci_u32_e64 v11, null, s43, v11, vcc_lo
	s_and_saveexec_b32 s38, s0
	s_wait_alu 0xfffe
	s_xor_b32 s38, exec_lo, s38
	s_cbranch_execz .LBB63_10
; %bb.4:                                ;   in Loop: Header=BB63_3 Depth=1
	s_and_saveexec_b32 s39, s2
	s_cbranch_execz .LBB63_9
; %bb.5:                                ;   in Loop: Header=BB63_3 Depth=1
	s_and_not1_b32 vcc_lo, exec_lo, s91
	s_mov_b32 s49, -1
	s_wait_alu 0xfffe
	s_cbranch_vccnz .LBB63_7
; %bb.6:                                ;   in Loop: Header=BB63_3 Depth=1
	v_add_co_u32 v52, vcc_lo, v10, s70
	s_wait_alu 0xfffd
	v_add_co_ci_u32_e64 v53, null, s71, v11, vcc_lo
	s_mov_b32 s49, 0
	v_add_co_u32 v52, vcc_lo, v52, v4
	s_wait_alu 0xfffd
	v_add_co_ci_u32_e64 v53, null, v53, v5, vcc_lo
	s_delay_alu instid0(VALU_DEP_2) | instskip(SKIP_1) | instid1(VALU_DEP_2)
	v_add_co_u32 v54, vcc_lo, v52, s54
	s_wait_alu 0xfffd
	v_add_co_ci_u32_e64 v55, null, s55, v53, vcc_lo
	flat_load_b32 v56, v[54:55]
	v_add_co_u32 v54, vcc_lo, v54, s86
	s_wait_alu 0xfffd
	v_add_co_ci_u32_e64 v55, null, s87, v55, vcc_lo
	s_wait_loadcnt_dscnt 0x0
	ds_store_b32 v14, v56 offset:960
	flat_load_b32 v56, v[54:55]
	v_add_co_u32 v54, vcc_lo, v54, s86
	s_wait_alu 0xfffd
	v_add_co_ci_u32_e64 v55, null, s87, v55, vcc_lo
	s_wait_loadcnt_dscnt 0x0
	ds_store_b32 v14, v56 offset:896
	;; [unrolled: 6-line block ×14, first 2 shown]
	flat_load_b32 v54, v[54:55]
	s_wait_loadcnt_dscnt 0x0
	ds_store_b32 v14, v54 offset:64
	flat_load_b32 v52, v[52:53]
	s_wait_loadcnt_dscnt 0x0
	ds_store_b32 v14, v52
.LBB63_7:                               ;   in Loop: Header=BB63_3 Depth=1
	s_wait_alu 0xfffe
	s_and_not1_b32 vcc_lo, exec_lo, s49
	s_wait_alu 0xfffe
	s_cbranch_vccnz .LBB63_9
; %bb.8:                                ;   in Loop: Header=BB63_3 Depth=1
	v_add_co_u32 v10, vcc_lo, v10, v4
	s_wait_alu 0xfffd
	v_add_co_ci_u32_e64 v11, null, v11, v5, vcc_lo
	flat_load_b32 v52, v[10:11] offset:64
	v_add_co_u32 v10, vcc_lo, v10, s84
	s_wait_alu 0xfffd
	v_add_co_ci_u32_e64 v11, null, s85, v11, vcc_lo
	s_wait_loadcnt_dscnt 0x0
	ds_store_b32 v14, v52
	flat_load_b32 v52, v[10:11] offset:64
	v_add_co_u32 v10, vcc_lo, v10, s84
	s_wait_alu 0xfffd
	v_add_co_ci_u32_e64 v11, null, s85, v11, vcc_lo
	s_wait_loadcnt_dscnt 0x0
	ds_store_b32 v14, v52 offset:64
	flat_load_b32 v52, v[10:11] offset:64
	v_add_co_u32 v10, vcc_lo, v10, s84
	s_wait_alu 0xfffd
	v_add_co_ci_u32_e64 v11, null, s85, v11, vcc_lo
	s_wait_loadcnt_dscnt 0x0
	ds_store_b32 v14, v52 offset:128
	;; [unrolled: 6-line block ×14, first 2 shown]
	flat_load_b32 v10, v[10:11] offset:64
	s_wait_loadcnt_dscnt 0x0
	ds_store_b32 v14, v10 offset:960
.LBB63_9:                               ;   in Loop: Header=BB63_3 Depth=1
	s_wait_alu 0xfffe
	s_or_b32 exec_lo, exec_lo, s39
                                        ; implicit-def: $vgpr10
                                        ; implicit-def: $vgpr11
.LBB63_10:                              ;   in Loop: Header=BB63_3 Depth=1
	s_wait_alu 0xfffe
	s_and_not1_saveexec_b32 s38, s38
	s_cbranch_execz .LBB63_77
; %bb.11:                               ;   in Loop: Header=BB63_3 Depth=1
	v_add_co_u32 v52, vcc_lo, v10, v6
	s_wait_alu 0xfffd
	v_add_co_ci_u32_e64 v53, null, v11, v7, vcc_lo
	s_and_not1_b32 vcc_lo, exec_lo, s91
	s_mov_b32 s39, -1
	s_wait_alu 0xfffe
	s_cbranch_vccnz .LBB63_45
; %bb.12:                               ;   in Loop: Header=BB63_3 Depth=1
	v_add_co_u32 v10, vcc_lo, v52, v4
	s_wait_alu 0xfffd
	v_add_co_ci_u32_e64 v11, null, v53, v5, vcc_lo
	v_dual_mov_b32 v54, 0 :: v_dual_mov_b32 v55, 0
	s_and_saveexec_b32 s39, s4
	s_cbranch_execz .LBB63_14
; %bb.13:                               ;   in Loop: Header=BB63_3 Depth=1
	v_add_co_u32 v55, vcc_lo, v10, s54
	s_wait_alu 0xfffd
	v_add_co_ci_u32_e64 v56, null, s55, v11, vcc_lo
	flat_load_b32 v55, v[55:56]
.LBB63_14:                              ;   in Loop: Header=BB63_3 Depth=1
	s_wait_alu 0xfffe
	s_or_b32 exec_lo, exec_lo, s39
	s_wait_loadcnt_dscnt 0x0
	ds_store_b32 v15, v55 offset:1020
	s_and_saveexec_b32 s39, s5
	s_cbranch_execz .LBB63_16
; %bb.15:                               ;   in Loop: Header=BB63_3 Depth=1
	v_add_co_u32 v54, vcc_lo, v10, s56
	s_wait_alu 0xfffd
	v_add_co_ci_u32_e64 v55, null, s57, v11, vcc_lo
	flat_load_b32 v54, v[54:55]
.LBB63_16:                              ;   in Loop: Header=BB63_3 Depth=1
	s_wait_alu 0xfffe
	s_or_b32 exec_lo, exec_lo, s39
	v_dual_mov_b32 v55, 0 :: v_dual_mov_b32 v56, 0
	s_wait_loadcnt_dscnt 0x0
	ds_store_b32 v16, v54 offset:1020
	s_and_saveexec_b32 s39, s6
	s_cbranch_execz .LBB63_18
; %bb.17:                               ;   in Loop: Header=BB63_3 Depth=1
	v_add_co_u32 v56, vcc_lo, v10, s58
	s_wait_alu 0xfffd
	v_add_co_ci_u32_e64 v57, null, s59, v11, vcc_lo
	flat_load_b32 v56, v[56:57]
.LBB63_18:                              ;   in Loop: Header=BB63_3 Depth=1
	s_wait_alu 0xfffe
	s_or_b32 exec_lo, exec_lo, s39
	s_wait_loadcnt_dscnt 0x0
	ds_store_b32 v17, v56 offset:1020
	s_and_saveexec_b32 s39, s7
	s_cbranch_execz .LBB63_20
; %bb.19:                               ;   in Loop: Header=BB63_3 Depth=1
	v_add_co_u32 v54, vcc_lo, v10, s60
	s_wait_alu 0xfffd
	v_add_co_ci_u32_e64 v55, null, s61, v11, vcc_lo
	flat_load_b32 v55, v[54:55]
.LBB63_20:                              ;   in Loop: Header=BB63_3 Depth=1
	s_wait_alu 0xfffe
	s_or_b32 exec_lo, exec_lo, s39
	v_mov_b32_e32 v54, 0
	v_mov_b32_e32 v56, 0
	s_wait_loadcnt_dscnt 0x0
	ds_store_b32 v18, v55 offset:1020
	s_and_saveexec_b32 s39, s8
	s_cbranch_execz .LBB63_22
; %bb.21:                               ;   in Loop: Header=BB63_3 Depth=1
	v_add_co_u32 v55, vcc_lo, v10, s62
	s_wait_alu 0xfffd
	v_add_co_ci_u32_e64 v56, null, s63, v11, vcc_lo
	flat_load_b32 v56, v[55:56]
.LBB63_22:                              ;   in Loop: Header=BB63_3 Depth=1
	s_wait_alu 0xfffe
	s_or_b32 exec_lo, exec_lo, s39
	s_wait_loadcnt_dscnt 0x0
	ds_store_b32 v19, v56 offset:1020
	s_and_saveexec_b32 s39, s9
	s_cbranch_execz .LBB63_24
; %bb.23:                               ;   in Loop: Header=BB63_3 Depth=1
	v_add_co_u32 v54, vcc_lo, v10, s64
	s_wait_alu 0xfffd
	v_add_co_ci_u32_e64 v55, null, s65, v11, vcc_lo
	flat_load_b32 v54, v[54:55]
.LBB63_24:                              ;   in Loop: Header=BB63_3 Depth=1
	s_wait_alu 0xfffe
	s_or_b32 exec_lo, exec_lo, s39
	v_dual_mov_b32 v55, 0 :: v_dual_mov_b32 v56, 0
	s_wait_loadcnt_dscnt 0x0
	ds_store_b32 v20, v54 offset:1020
	s_and_saveexec_b32 s39, s10
	s_cbranch_execz .LBB63_26
; %bb.25:                               ;   in Loop: Header=BB63_3 Depth=1
	v_add_co_u32 v56, vcc_lo, v10, s68
	s_wait_alu 0xfffd
	v_add_co_ci_u32_e64 v57, null, s69, v11, vcc_lo
	flat_load_b32 v56, v[56:57]
.LBB63_26:                              ;   in Loop: Header=BB63_3 Depth=1
	s_wait_alu 0xfffe
	s_or_b32 exec_lo, exec_lo, s39
	s_wait_loadcnt_dscnt 0x0
	ds_store_b32 v21, v56 offset:1020
	s_and_saveexec_b32 s39, s11
	s_cbranch_execz .LBB63_28
; %bb.27:                               ;   in Loop: Header=BB63_3 Depth=1
	v_add_co_u32 v54, vcc_lo, v10, s72
	s_wait_alu 0xfffd
	v_add_co_ci_u32_e64 v55, null, s73, v11, vcc_lo
	flat_load_b32 v55, v[54:55]
.LBB63_28:                              ;   in Loop: Header=BB63_3 Depth=1
	s_wait_alu 0xfffe
	s_or_b32 exec_lo, exec_lo, s39
	v_mov_b32_e32 v54, 0
	v_mov_b32_e32 v56, 0
	s_wait_loadcnt_dscnt 0x0
	ds_store_b32 v22, v55 offset:1020
	;; [unrolled: 51-line block ×3, first 2 shown]
	s_and_saveexec_b32 s39, s16
	s_cbranch_execz .LBB63_38
; %bb.37:                               ;   in Loop: Header=BB63_3 Depth=1
	v_add_co_u32 v55, vcc_lo, v10, s80
	s_wait_alu 0xfffd
	v_add_co_ci_u32_e64 v56, null, s81, v11, vcc_lo
	flat_load_b32 v56, v[55:56]
.LBB63_38:                              ;   in Loop: Header=BB63_3 Depth=1
	s_wait_alu 0xfffe
	s_or_b32 exec_lo, exec_lo, s39
	s_wait_loadcnt_dscnt 0x0
	ds_store_b32 v27, v56 offset:1020
	s_and_saveexec_b32 s39, s17
	s_cbranch_execz .LBB63_40
; %bb.39:                               ;   in Loop: Header=BB63_3 Depth=1
	v_add_co_u32 v54, vcc_lo, v10, s82
	s_wait_alu 0xfffd
	v_add_co_ci_u32_e64 v55, null, s83, v11, vcc_lo
	flat_load_b32 v54, v[54:55]
.LBB63_40:                              ;   in Loop: Header=BB63_3 Depth=1
	s_wait_alu 0xfffe
	s_or_b32 exec_lo, exec_lo, s39
	v_dual_mov_b32 v55, 0 :: v_dual_mov_b32 v56, 0
	s_wait_loadcnt_dscnt 0x0
	ds_store_b32 v28, v54 offset:1020
	s_and_saveexec_b32 s39, s18
	s_cbranch_execz .LBB63_42
; %bb.41:                               ;   in Loop: Header=BB63_3 Depth=1
	v_add_co_u32 v56, vcc_lo, v10, s84
	s_wait_alu 0xfffd
	v_add_co_ci_u32_e64 v57, null, s85, v11, vcc_lo
	flat_load_b32 v56, v[56:57]
.LBB63_42:                              ;   in Loop: Header=BB63_3 Depth=1
	s_wait_alu 0xfffe
	s_or_b32 exec_lo, exec_lo, s39
	s_wait_loadcnt_dscnt 0x0
	ds_store_b32 v29, v56 offset:1020
	s_and_saveexec_b32 s39, s19
	s_cbranch_execz .LBB63_44
; %bb.43:                               ;   in Loop: Header=BB63_3 Depth=1
	flat_load_b32 v55, v[10:11]
.LBB63_44:                              ;   in Loop: Header=BB63_3 Depth=1
	s_wait_alu 0xfffe
	s_or_b32 exec_lo, exec_lo, s39
	s_mov_b32 s39, 0
	s_wait_loadcnt_dscnt 0x0
	ds_store_b32 v30, v55 offset:1020
.LBB63_45:                              ;   in Loop: Header=BB63_3 Depth=1
	s_wait_alu 0xfffe
	s_and_b32 vcc_lo, exec_lo, s39
	s_wait_alu 0xfffe
	s_cbranch_vccz .LBB63_77
; %bb.46:                               ;   in Loop: Header=BB63_3 Depth=1
	v_add_co_u32 v10, vcc_lo, v52, v4
	s_wait_alu 0xfffd
	v_add_co_ci_u32_e64 v11, null, v53, v5, vcc_lo
	v_dual_mov_b32 v52, 0 :: v_dual_mov_b32 v53, 0
	flat_load_b32 v54, v[10:11]
	s_wait_loadcnt_dscnt 0x0
	ds_store_b32 v31, v54
	s_and_saveexec_b32 s39, s20
	s_cbranch_execz .LBB63_48
; %bb.47:                               ;   in Loop: Header=BB63_3 Depth=1
	v_add_co_u32 v53, vcc_lo, v10, s84
	s_wait_alu 0xfffd
	v_add_co_ci_u32_e64 v54, null, s85, v11, vcc_lo
	flat_load_b32 v53, v[53:54]
.LBB63_48:                              ;   in Loop: Header=BB63_3 Depth=1
	s_wait_alu 0xfffe
	s_or_b32 exec_lo, exec_lo, s39
	s_wait_loadcnt_dscnt 0x0
	ds_store_b32 v31, v53 offset:64
	s_and_saveexec_b32 s39, s21
	s_cbranch_execz .LBB63_50
; %bb.49:                               ;   in Loop: Header=BB63_3 Depth=1
	v_add_co_u32 v52, vcc_lo, v10, s82
	s_wait_alu 0xfffd
	v_add_co_ci_u32_e64 v53, null, s83, v11, vcc_lo
	flat_load_b32 v52, v[52:53]
.LBB63_50:                              ;   in Loop: Header=BB63_3 Depth=1
	s_wait_alu 0xfffe
	s_or_b32 exec_lo, exec_lo, s39
	v_dual_mov_b32 v53, 0 :: v_dual_mov_b32 v54, 0
	s_wait_loadcnt_dscnt 0x0
	ds_store_b32 v31, v52 offset:128
	s_and_saveexec_b32 s39, s22
	s_cbranch_execz .LBB63_52
; %bb.51:                               ;   in Loop: Header=BB63_3 Depth=1
	v_add_co_u32 v54, vcc_lo, v10, s80
	s_wait_alu 0xfffd
	v_add_co_ci_u32_e64 v55, null, s81, v11, vcc_lo
	flat_load_b32 v54, v[54:55]
.LBB63_52:                              ;   in Loop: Header=BB63_3 Depth=1
	s_wait_alu 0xfffe
	s_or_b32 exec_lo, exec_lo, s39
	s_wait_loadcnt_dscnt 0x0
	ds_store_b32 v31, v54 offset:192
	s_and_saveexec_b32 s39, s23
	s_cbranch_execz .LBB63_54
; %bb.53:                               ;   in Loop: Header=BB63_3 Depth=1
	v_add_co_u32 v52, vcc_lo, v10, s52
	s_wait_alu 0xfffd
	v_add_co_ci_u32_e64 v53, null, s53, v11, vcc_lo
	flat_load_b32 v53, v[52:53]
.LBB63_54:                              ;   in Loop: Header=BB63_3 Depth=1
	s_wait_alu 0xfffe
	s_or_b32 exec_lo, exec_lo, s39
	v_mov_b32_e32 v52, 0
	v_mov_b32_e32 v54, 0
	s_wait_loadcnt_dscnt 0x0
	ds_store_b32 v31, v53 offset:256
	s_and_saveexec_b32 s39, s24
	s_cbranch_execz .LBB63_56
; %bb.55:                               ;   in Loop: Header=BB63_3 Depth=1
	v_add_co_u32 v53, vcc_lo, v10, s78
	s_wait_alu 0xfffd
	v_add_co_ci_u32_e64 v54, null, s79, v11, vcc_lo
	flat_load_b32 v54, v[53:54]
.LBB63_56:                              ;   in Loop: Header=BB63_3 Depth=1
	s_wait_alu 0xfffe
	s_or_b32 exec_lo, exec_lo, s39
	s_wait_loadcnt_dscnt 0x0
	ds_store_b32 v31, v54 offset:320
	s_and_saveexec_b32 s39, s25
	s_cbranch_execz .LBB63_58
; %bb.57:                               ;   in Loop: Header=BB63_3 Depth=1
	v_add_co_u32 v52, vcc_lo, v10, s76
	s_wait_alu 0xfffd
	v_add_co_ci_u32_e64 v53, null, s77, v11, vcc_lo
	flat_load_b32 v52, v[52:53]
.LBB63_58:                              ;   in Loop: Header=BB63_3 Depth=1
	s_wait_alu 0xfffe
	s_or_b32 exec_lo, exec_lo, s39
	v_dual_mov_b32 v53, 0 :: v_dual_mov_b32 v54, 0
	s_wait_loadcnt_dscnt 0x0
	ds_store_b32 v31, v52 offset:384
	s_and_saveexec_b32 s39, s26
	s_cbranch_execz .LBB63_60
; %bb.59:                               ;   in Loop: Header=BB63_3 Depth=1
	v_add_co_u32 v54, vcc_lo, v10, s74
	s_wait_alu 0xfffd
	v_add_co_ci_u32_e64 v55, null, s75, v11, vcc_lo
	flat_load_b32 v54, v[54:55]
.LBB63_60:                              ;   in Loop: Header=BB63_3 Depth=1
	s_wait_alu 0xfffe
	s_or_b32 exec_lo, exec_lo, s39
	s_wait_loadcnt_dscnt 0x0
	ds_store_b32 v31, v54 offset:448
	s_and_saveexec_b32 s39, s27
	s_cbranch_execz .LBB63_62
; %bb.61:                               ;   in Loop: Header=BB63_3 Depth=1
	v_add_co_u32 v52, vcc_lo, v10, s72
	s_wait_alu 0xfffd
	v_add_co_ci_u32_e64 v53, null, s73, v11, vcc_lo
	flat_load_b32 v53, v[52:53]
.LBB63_62:                              ;   in Loop: Header=BB63_3 Depth=1
	s_wait_alu 0xfffe
	s_or_b32 exec_lo, exec_lo, s39
	v_mov_b32_e32 v52, 0
	v_mov_b32_e32 v54, 0
	s_wait_loadcnt_dscnt 0x0
	ds_store_b32 v31, v53 offset:512
	;; [unrolled: 51-line block ×3, first 2 shown]
	s_and_saveexec_b32 s39, s33
	s_cbranch_execz .LBB63_72
; %bb.71:                               ;   in Loop: Header=BB63_3 Depth=1
	v_add_co_u32 v53, vcc_lo, v10, s58
	s_wait_alu 0xfffd
	v_add_co_ci_u32_e64 v54, null, s59, v11, vcc_lo
	flat_load_b32 v54, v[53:54]
.LBB63_72:                              ;   in Loop: Header=BB63_3 Depth=1
	s_wait_alu 0xfffe
	s_or_b32 exec_lo, exec_lo, s39
	s_wait_loadcnt_dscnt 0x0
	ds_store_b32 v31, v54 offset:832
	s_and_saveexec_b32 s39, s34
	s_cbranch_execz .LBB63_74
; %bb.73:                               ;   in Loop: Header=BB63_3 Depth=1
	v_add_co_u32 v52, vcc_lo, v10, s56
	s_wait_alu 0xfffd
	v_add_co_ci_u32_e64 v53, null, s57, v11, vcc_lo
	flat_load_b32 v52, v[52:53]
.LBB63_74:                              ;   in Loop: Header=BB63_3 Depth=1
	s_wait_alu 0xfffe
	s_or_b32 exec_lo, exec_lo, s39
	v_mov_b32_e32 v53, 0
	s_wait_loadcnt_dscnt 0x0
	ds_store_b32 v31, v52 offset:896
	s_and_saveexec_b32 s39, s35
	s_cbranch_execz .LBB63_76
; %bb.75:                               ;   in Loop: Header=BB63_3 Depth=1
	v_add_co_u32 v10, vcc_lo, v10, s54
	s_wait_alu 0xfffd
	v_add_co_ci_u32_e64 v11, null, s55, v11, vcc_lo
	flat_load_b32 v53, v[10:11]
.LBB63_76:                              ;   in Loop: Header=BB63_3 Depth=1
	s_wait_alu 0xfffe
	s_or_b32 exec_lo, exec_lo, s39
	s_wait_loadcnt_dscnt 0x0
	ds_store_b32 v31, v53 offset:960
.LBB63_77:                              ;   in Loop: Header=BB63_3 Depth=1
	s_wait_alu 0xfffe
	s_or_b32 exec_lo, exec_lo, s38
	s_wait_loadcnt_dscnt 0x0
	s_barrier_signal -1
	s_barrier_wait -1
	global_inv scope:SCOPE_SE
	s_and_saveexec_b32 s38, s1
	s_cbranch_execz .LBB63_83
; %bb.78:                               ;   in Loop: Header=BB63_3 Depth=1
	v_mov_b32_e32 v11, 1.0
	s_and_not1_b32 vcc_lo, exec_lo, s92
	s_wait_alu 0xfffe
	s_cbranch_vccnz .LBB63_82
; %bb.79:                               ;   in Loop: Header=BB63_3 Depth=1
	ds_load_b32 v10, v32
	v_mov_b32_e32 v11, 1.0
	s_mov_b32 s39, exec_lo
	s_wait_dscnt 0x0
	v_cmpx_neq_f32_e32 0, v10
	s_cbranch_execz .LBB63_81
; %bb.80:                               ;   in Loop: Header=BB63_3 Depth=1
	v_div_scale_f32 v11, null, v10, v10, 1.0
	s_delay_alu instid0(VALU_DEP_1) | instskip(NEXT) | instid1(TRANS32_DEP_1)
	v_rcp_f32_e32 v52, v11
	v_fma_f32 v53, -v11, v52, 1.0
	s_delay_alu instid0(VALU_DEP_1) | instskip(SKIP_1) | instid1(VALU_DEP_1)
	v_fmac_f32_e32 v52, v53, v52
	v_div_scale_f32 v53, vcc_lo, 1.0, v10, 1.0
	v_mul_f32_e32 v54, v53, v52
	s_delay_alu instid0(VALU_DEP_1) | instskip(NEXT) | instid1(VALU_DEP_1)
	v_fma_f32 v55, -v11, v54, v53
	v_fmac_f32_e32 v54, v55, v52
	s_delay_alu instid0(VALU_DEP_1) | instskip(SKIP_1) | instid1(VALU_DEP_1)
	v_fma_f32 v11, -v11, v54, v53
	s_wait_alu 0xfffd
	v_div_fmas_f32 v11, v11, v52, v54
	s_delay_alu instid0(VALU_DEP_1)
	v_div_fixup_f32 v11, v11, v10, 1.0
.LBB63_81:                              ;   in Loop: Header=BB63_3 Depth=1
	s_wait_alu 0xfffe
	s_or_b32 exec_lo, exec_lo, s39
.LBB63_82:                              ;   in Loop: Header=BB63_3 Depth=1
	ds_store_b32 v32, v11
.LBB63_83:                              ;   in Loop: Header=BB63_3 Depth=1
	s_wait_alu 0xfffe
	s_or_b32 exec_lo, exec_lo, s38
	s_wait_loadcnt_dscnt 0x0
	s_barrier_signal -1
	s_barrier_wait -1
	global_inv scope:SCOPE_SE
	s_and_saveexec_b32 s38, s1
	s_cbranch_execz .LBB63_105
; %bb.84:                               ;   in Loop: Header=BB63_3 Depth=1
	v_dual_mov_b32 v10, v37 :: v_dual_mov_b32 v11, v36
	v_dual_mov_b32 v52, v35 :: v_dual_mov_b32 v53, v34
	s_mov_b32 s39, 0
	s_branch .LBB63_86
.LBB63_85:                              ;   in Loop: Header=BB63_86 Depth=2
	v_add_nc_u32_e32 v53, 0x80, v53
	v_add_nc_u32_e32 v52, 0x88, v52
	;; [unrolled: 1-line block ×4, first 2 shown]
	s_wait_alu 0xfffe
	s_cmp_eq_u32 s39, 16
	s_cbranch_scc1 .LBB63_105
.LBB63_86:                              ;   Parent Loop BB63_3 Depth=1
                                        ; =>  This Loop Header: Depth=2
                                        ;       Child Loop BB63_92 Depth 3
                                        ;       Child Loop BB63_101 Depth 3
	s_mov_b32 s49, exec_lo
                                        ; implicit-def: $sgpr50
	s_wait_alu 0xfffe
	v_cmpx_ge_i32_e64 s39, v2
	s_xor_b32 s49, exec_lo, s49
; %bb.87:                               ;   in Loop: Header=BB63_86 Depth=2
	s_lshl_b32 s50, s39, 6
; %bb.88:                               ;   in Loop: Header=BB63_86 Depth=2
	s_wait_alu 0xfffe
	s_or_saveexec_b32 s49, s49
	v_dual_mov_b32 v54, 0 :: v_dual_mov_b32 v55, s50
	s_wait_alu 0xfffe
	s_xor_b32 exec_lo, exec_lo, s49
	s_cbranch_execz .LBB63_90
; %bb.89:                               ;   in Loop: Header=BB63_86 Depth=2
	v_mad_co_u64_u32 v[54:55], null, 0x44, s39, v[1:2]
	s_lshl_b32 s50, s39, 6
	s_wait_alu 0xfffe
	v_add_nc_u32_e32 v55, s50, v33
	ds_load_b32 v55, v55
	ds_load_b32 v54, v54
	s_wait_dscnt 0x0
	v_fma_f32 v54, v55, v54, 0
	v_mov_b32_e32 v55, s50
.LBB63_90:                              ;   in Loop: Header=BB63_86 Depth=2
	s_or_b32 exec_lo, exec_lo, s49
	s_delay_alu instid0(VALU_DEP_1)
	v_dual_mov_b32 v56, v52 :: v_dual_add_nc_u32 v55, v33, v55
	v_mov_b32_e32 v57, v53
	s_or_b32 s49, s39, 1
	s_wait_alu 0xfffe
	s_mov_b32 s50, s49
	s_branch .LBB63_92
.LBB63_91:                              ;   in Loop: Header=BB63_92 Depth=3
	s_or_b32 exec_lo, exec_lo, s94
	v_add_nc_u32_e32 v57, 64, v57
	v_add_nc_u32_e32 v56, 4, v56
	s_add_co_i32 s50, s50, 1
	s_wait_alu 0xfffe
	s_cmp_eq_u32 s50, 16
	s_cbranch_scc1 .LBB63_96
.LBB63_92:                              ;   Parent Loop BB63_3 Depth=1
                                        ;     Parent Loop BB63_86 Depth=2
                                        ; =>    This Inner Loop Header: Depth=3
	s_mov_b32 s94, exec_lo
	s_wait_alu 0xfffe
	v_cmpx_eq_u32_e64 s50, v2
	s_cbranch_execz .LBB63_94
; %bb.93:                               ;   in Loop: Header=BB63_92 Depth=3
	ds_load_b32 v58, v32
	s_wait_dscnt 0x0
	v_mul_f32_e64 v58, -v54, v58
	ds_store_b32 v55, v58
.LBB63_94:                              ;   in Loop: Header=BB63_92 Depth=3
	s_or_b32 exec_lo, exec_lo, s94
	s_delay_alu instid0(SALU_CYCLE_1)
	s_mov_b32 s94, exec_lo
	v_cmpx_lt_i32_e64 s50, v2
	s_cbranch_execz .LBB63_91
; %bb.95:                               ;   in Loop: Header=BB63_92 Depth=3
	ds_load_b32 v58, v57
	ds_load_b32 v59, v56
	s_wait_dscnt 0x0
	v_fmac_f32_e32 v54, v58, v59
	s_branch .LBB63_91
.LBB63_96:                              ;   in Loop: Header=BB63_86 Depth=2
	v_mov_b32_e32 v54, 0
	s_mov_b32 s50, exec_lo
	v_cmpx_lt_i32_e64 s49, v2
	s_cbranch_execz .LBB63_98
; %bb.97:                               ;   in Loop: Header=BB63_86 Depth=2
	v_mad_co_u64_u32 v[54:55], null, 0x44, s49, v[1:2]
	v_lshl_add_u32 v55, s49, 6, v33
	ds_load_b32 v55, v55
	ds_load_b32 v54, v54
	s_wait_dscnt 0x0
	v_fma_f32 v54, v55, v54, 0
.LBB63_98:                              ;   in Loop: Header=BB63_86 Depth=2
	s_wait_alu 0xfffe
	s_or_b32 exec_lo, exec_lo, s50
	s_add_co_i32 s39, s39, 2
	s_cmp_gt_u32 s49, 14
	s_cbranch_scc1 .LBB63_85
; %bb.99:                               ;   in Loop: Header=BB63_86 Depth=2
	v_dual_mov_b32 v55, v10 :: v_dual_mov_b32 v56, v11
	s_lshl_b32 s49, s49, 6
	s_wait_alu 0xfffe
	s_mov_b32 s50, s39
	s_branch .LBB63_101
.LBB63_100:                             ;   in Loop: Header=BB63_101 Depth=3
	s_or_b32 exec_lo, exec_lo, s94
	v_add_nc_u32_e32 v56, 4, v56
	v_add_nc_u32_e32 v55, 64, v55
	s_add_co_i32 s50, s50, 1
	s_wait_alu 0xfffe
	s_cmp_lg_u32 s50, 16
	s_cbranch_scc0 .LBB63_85
.LBB63_101:                             ;   Parent Loop BB63_3 Depth=1
                                        ;     Parent Loop BB63_86 Depth=2
                                        ; =>    This Inner Loop Header: Depth=3
	s_mov_b32 s94, exec_lo
	s_wait_alu 0xfffe
	v_cmpx_eq_u32_e64 s50, v2
	s_cbranch_execz .LBB63_103
; %bb.102:                              ;   in Loop: Header=BB63_101 Depth=3
	ds_load_b32 v57, v32
	v_add_nc_u32_e32 v58, s49, v33
	s_wait_dscnt 0x0
	v_mul_f32_e64 v57, -v54, v57
	ds_store_b32 v58, v57
.LBB63_103:                             ;   in Loop: Header=BB63_101 Depth=3
	s_or_b32 exec_lo, exec_lo, s94
	s_delay_alu instid0(SALU_CYCLE_1)
	s_mov_b32 s94, exec_lo
	v_cmpx_lt_i32_e64 s50, v2
	s_cbranch_execz .LBB63_100
; %bb.104:                              ;   in Loop: Header=BB63_101 Depth=3
	ds_load_b32 v57, v55
	ds_load_b32 v58, v56
	s_wait_dscnt 0x0
	v_fmac_f32_e32 v54, v57, v58
	s_branch .LBB63_100
.LBB63_105:                             ;   in Loop: Header=BB63_3 Depth=1
	s_wait_alu 0xfffe
	s_or_b32 exec_lo, exec_lo, s38
	s_delay_alu instid0(SALU_CYCLE_1)
	s_and_b32 vcc_lo, exec_lo, s91
	s_wait_loadcnt_dscnt 0x0
	s_barrier_signal -1
	s_barrier_wait -1
	global_inv scope:SCOPE_SE
	s_wait_alu 0xfffe
	s_cbranch_vccz .LBB63_110
; %bb.106:                              ;   in Loop: Header=BB63_3 Depth=1
	s_mov_b32 s39, 0
	s_mov_b32 s38, 0
                                        ; implicit-def: $vgpr10
	s_and_saveexec_b32 s49, s3
	s_cbranch_execz .LBB63_111
; %bb.107:                              ;   in Loop: Header=BB63_3 Depth=1
	v_dual_mov_b32 v10, 0 :: v_dual_mov_b32 v11, v12
	v_dual_mov_b32 v52, v39 :: v_dual_mov_b32 v53, v38
.LBB63_108:                             ;   Parent Loop BB63_3 Depth=1
                                        ; =>  This Inner Loop Header: Depth=2
	ds_load_b32 v54, v11
	ds_load_b32 v55, v52
	v_add_nc_u32_e32 v53, -1, v53
	v_add_nc_u32_e32 v52, -4, v52
	v_add_nc_u32_e32 v11, 64, v11
	s_wait_dscnt 0x0
	v_fmac_f32_e32 v10, v54, v55
	v_cmp_eq_u32_e32 vcc_lo, 0, v53
	s_wait_alu 0xfffe
	s_or_b32 s38, vcc_lo, s38
	s_wait_alu 0xfffe
	s_and_not1_b32 exec_lo, exec_lo, s38
	s_cbranch_execnz .LBB63_108
; %bb.109:                              ;   in Loop: Header=BB63_3 Depth=1
	s_or_b32 exec_lo, exec_lo, s38
	s_delay_alu instid0(SALU_CYCLE_1) | instskip(SKIP_1) | instid1(SALU_CYCLE_1)
	s_mov_b32 s38, exec_lo
	s_or_b32 exec_lo, exec_lo, s49
	s_and_b32 vcc_lo, exec_lo, s39
	s_wait_alu 0xfffe
	s_cbranch_vccnz .LBB63_112
	s_branch .LBB63_117
.LBB63_110:                             ;   in Loop: Header=BB63_3 Depth=1
	s_mov_b32 s38, 0
                                        ; implicit-def: $vgpr10
	s_cbranch_execnz .LBB63_112
	s_branch .LBB63_117
.LBB63_111:                             ;   in Loop: Header=BB63_3 Depth=1
	s_wait_alu 0xfffe
	s_or_b32 exec_lo, exec_lo, s49
	s_delay_alu instid0(SALU_CYCLE_1)
	s_and_b32 vcc_lo, exec_lo, s39
	s_wait_alu 0xfffe
	s_cbranch_vccz .LBB63_117
.LBB63_112:                             ;   in Loop: Header=BB63_3 Depth=1
                                        ; implicit-def: $vgpr10
	s_and_saveexec_b32 s39, s3
	s_cbranch_execz .LBB63_116
; %bb.113:                              ;   in Loop: Header=BB63_3 Depth=1
	v_dual_mov_b32 v10, 0 :: v_dual_mov_b32 v11, v40
	v_dual_mov_b32 v52, v42 :: v_dual_mov_b32 v53, v41
	s_mov_b32 s49, 0
.LBB63_114:                             ;   Parent Loop BB63_3 Depth=1
                                        ; =>  This Inner Loop Header: Depth=2
	ds_load_b32 v54, v11
	ds_load_b32 v55, v52
	v_add_nc_u32_e32 v53, 1, v53
	v_add_nc_u32_e32 v52, 4, v52
	;; [unrolled: 1-line block ×3, first 2 shown]
	s_wait_dscnt 0x0
	v_fmac_f32_e32 v10, v54, v55
	v_cmp_lt_u32_e32 vcc_lo, 14, v53
	s_wait_alu 0xfffe
	s_or_b32 s49, vcc_lo, s49
	s_wait_alu 0xfffe
	s_and_not1_b32 exec_lo, exec_lo, s49
	s_cbranch_execnz .LBB63_114
; %bb.115:                              ;   in Loop: Header=BB63_3 Depth=1
	s_or_b32 exec_lo, exec_lo, s49
	s_delay_alu instid0(SALU_CYCLE_1)
	s_or_b32 s38, s38, exec_lo
.LBB63_116:                             ;   in Loop: Header=BB63_3 Depth=1
	s_wait_alu 0xfffe
	s_or_b32 exec_lo, exec_lo, s39
.LBB63_117:                             ;   in Loop: Header=BB63_3 Depth=1
	s_wait_alu 0xfffe
	s_and_saveexec_b32 s39, s38
; %bb.118:                              ;   in Loop: Header=BB63_3 Depth=1
	ds_store_b32 v0, v10
; %bb.119:                              ;   in Loop: Header=BB63_3 Depth=1
	s_wait_alu 0xfffe
	s_or_b32 exec_lo, exec_lo, s39
	s_delay_alu instid0(SALU_CYCLE_1)
	s_and_b32 vcc_lo, exec_lo, s91
	s_wait_loadcnt_dscnt 0x0
	s_barrier_signal -1
	s_barrier_wait -1
	global_inv scope:SCOPE_SE
	s_wait_alu 0xfffe
	s_cbranch_vccz .LBB63_125
; %bb.120:                              ;   in Loop: Header=BB63_3 Depth=1
	s_mov_b32 s50, 0
	s_mov_b32 s49, 0
                                        ; implicit-def: $vgpr10
	s_and_saveexec_b32 s38, s3
	s_cbranch_execz .LBB63_124
; %bb.121:                              ;   in Loop: Header=BB63_3 Depth=1
	v_dual_mov_b32 v10, 0 :: v_dual_mov_b32 v11, v45
	v_dual_mov_b32 v52, v44 :: v_dual_mov_b32 v53, v43
	s_mov_b32 s39, 0
.LBB63_122:                             ;   Parent Loop BB63_3 Depth=1
                                        ; =>  This Inner Loop Header: Depth=2
	ds_load_b32 v54, v11
	ds_load_b32 v55, v52
	v_add_nc_u32_e32 v53, 1, v53
	v_add_nc_u32_e32 v52, 4, v52
	v_subrev_nc_u32_e32 v11, 64, v11
	s_delay_alu instid0(VALU_DEP_3)
	v_cmp_lt_u32_e32 vcc_lo, 14, v53
	s_wait_alu 0xfffe
	s_or_b32 s39, vcc_lo, s39
	s_wait_dscnt 0x0
	v_fma_f32 v10, -v54, v55, v10
	s_wait_alu 0xfffe
	s_and_not1_b32 exec_lo, exec_lo, s39
	s_cbranch_execnz .LBB63_122
; %bb.123:                              ;   in Loop: Header=BB63_3 Depth=1
	s_or_b32 exec_lo, exec_lo, s39
	s_delay_alu instid0(SALU_CYCLE_1)
	s_mov_b32 s49, exec_lo
.LBB63_124:                             ;   in Loop: Header=BB63_3 Depth=1
	s_wait_alu 0xfffe
	s_or_b32 exec_lo, exec_lo, s38
	s_mov_b64 s[38:39], 0x2000
	s_and_b32 vcc_lo, exec_lo, s50
	s_wait_alu 0xfffe
	s_cbranch_vccnz .LBB63_126
	s_branch .LBB63_131
.LBB63_125:                             ;   in Loop: Header=BB63_3 Depth=1
	s_mov_b32 s49, 0
                                        ; implicit-def: $vgpr10
	s_mov_b64 s[38:39], 0x2000
	s_cbranch_execz .LBB63_131
.LBB63_126:                             ;   in Loop: Header=BB63_3 Depth=1
                                        ; implicit-def: $vgpr10
	s_and_saveexec_b32 s38, s3
	s_cbranch_execz .LBB63_130
; %bb.127:                              ;   in Loop: Header=BB63_3 Depth=1
	v_dual_mov_b32 v10, 0 :: v_dual_mov_b32 v11, v48
	v_dual_mov_b32 v52, v47 :: v_dual_mov_b32 v53, v46
	s_mov_b32 s39, 0
.LBB63_128:                             ;   Parent Loop BB63_3 Depth=1
                                        ; =>  This Inner Loop Header: Depth=2
	ds_load_b32 v54, v11
	ds_load_b32 v55, v52
	v_add_nc_u32_e32 v53, -1, v53
	v_add_nc_u32_e32 v52, 4, v52
	v_add_nc_u32_e32 v11, 64, v11
	s_delay_alu instid0(VALU_DEP_3)
	v_cmp_eq_u32_e32 vcc_lo, 0, v53
	s_wait_alu 0xfffe
	s_or_b32 s39, vcc_lo, s39
	s_wait_dscnt 0x0
	v_fma_f32 v10, -v54, v55, v10
	s_wait_alu 0xfffe
	s_and_not1_b32 exec_lo, exec_lo, s39
	s_cbranch_execnz .LBB63_128
; %bb.129:                              ;   in Loop: Header=BB63_3 Depth=1
	s_or_b32 exec_lo, exec_lo, s39
	s_delay_alu instid0(SALU_CYCLE_1)
	s_or_b32 s49, s49, exec_lo
.LBB63_130:                             ;   in Loop: Header=BB63_3 Depth=1
	s_wait_alu 0xfffe
	s_or_b32 exec_lo, exec_lo, s38
	s_mov_b64 s[38:39], 64
.LBB63_131:                             ;   in Loop: Header=BB63_3 Depth=1
	v_add_co_u32 v8, vcc_lo, v8, s66
	s_wait_alu 0xfffd
	v_add_co_ci_u32_e64 v9, null, s67, v9, vcc_lo
	s_delay_alu instid0(VALU_DEP_2) | instskip(SKIP_1) | instid1(VALU_DEP_2)
	v_add_co_u32 v8, vcc_lo, v8, s93
	s_wait_alu 0xfffd
	v_add_co_ci_u32_e64 v9, null, 0, v9, vcc_lo
	s_delay_alu instid0(VALU_DEP_2) | instskip(SKIP_1) | instid1(VALU_DEP_2)
	v_add_co_u32 v8, vcc_lo, v8, s46
	s_wait_alu 0xfffd
	v_add_co_ci_u32_e64 v9, null, s47, v9, vcc_lo
	s_wait_alu 0xfffe
	s_and_saveexec_b32 s50, s49
	s_cbranch_execz .LBB63_133
; %bb.132:                              ;   in Loop: Header=BB63_3 Depth=1
	v_add_co_u32 v11, vcc_lo, v8, v51
	s_wait_alu 0xfffd
	v_add_co_ci_u32_e64 v53, null, 0, v9, vcc_lo
	s_delay_alu instid0(VALU_DEP_2) | instskip(SKIP_1) | instid1(VALU_DEP_2)
	v_add_co_u32 v52, vcc_lo, v11, s38
	s_wait_alu 0xfffd
	v_add_co_ci_u32_e64 v53, null, s39, v53, vcc_lo
	flat_store_b32 v[52:53], v10
.LBB63_133:                             ;   in Loop: Header=BB63_3 Depth=1
	s_wait_alu 0xfffe
	s_or_b32 exec_lo, exec_lo, s50
	s_and_saveexec_b32 s39, s1
	s_cbranch_execz .LBB63_2
; %bb.134:                              ;   in Loop: Header=BB63_3 Depth=1
	s_and_not1_b32 vcc_lo, exec_lo, s91
	s_mov_b32 s38, -1
	s_wait_alu 0xfffe
	s_cbranch_vccnz .LBB63_139
; %bb.135:                              ;   in Loop: Header=BB63_3 Depth=1
	s_and_saveexec_b32 s49, s36
	s_cbranch_execz .LBB63_138
; %bb.136:                              ;   in Loop: Header=BB63_3 Depth=1
	v_lshlrev_b32_e32 v10, 2, v13
	v_mov_b32_e32 v52, v49
	s_mov_b32 s50, 16
	s_mov_b32 s94, 0
	s_delay_alu instid0(VALU_DEP_2) | instskip(SKIP_2) | instid1(VALU_DEP_2)
	v_add_co_u32 v10, vcc_lo, v8, v10
	s_wait_alu 0xfffd
	v_add_co_ci_u32_e64 v11, null, 0, v9, vcc_lo
	v_add_co_u32 v10, vcc_lo, v10, v4
	s_wait_alu 0xfffd
	s_delay_alu instid0(VALU_DEP_2)
	v_add_co_ci_u32_e64 v11, null, v11, v5, vcc_lo
.LBB63_137:                             ;   Parent Loop BB63_3 Depth=1
                                        ; =>  This Inner Loop Header: Depth=2
	ds_load_b32 v55, v52
	s_wait_alu 0xfffe
	s_add_co_i32 s50, s50, -1
	v_add_nc_u32_e32 v52, 64, v52
	s_wait_alu 0xfffe
	s_lshl_b64 s[96:97], s[50:51], 9
	v_cmp_le_i32_e32 vcc_lo, s50, v2
	s_wait_alu 0xfffe
	v_add_co_u32 v53, s38, v10, s96
	s_wait_alu 0xf1ff
	v_add_co_ci_u32_e64 v54, null, s97, v11, s38
	s_or_b32 s94, vcc_lo, s94
	s_wait_dscnt 0x0
	flat_store_b32 v[53:54], v55
	s_and_not1_b32 exec_lo, exec_lo, s94
	s_cbranch_execnz .LBB63_137
.LBB63_138:                             ;   in Loop: Header=BB63_3 Depth=1
	s_wait_alu 0xfffe
	s_or_b32 exec_lo, exec_lo, s49
	s_mov_b32 s38, 0
.LBB63_139:                             ;   in Loop: Header=BB63_3 Depth=1
	s_wait_alu 0xfffe
	s_and_not1_b32 vcc_lo, exec_lo, s38
	s_wait_alu 0xfffe
	s_cbranch_vccnz .LBB63_2
; %bb.140:                              ;   in Loop: Header=BB63_3 Depth=1
	s_and_b32 exec_lo, exec_lo, s37
	s_cbranch_execz .LBB63_2
; %bb.141:                              ;   in Loop: Header=BB63_3 Depth=1
	v_dual_mov_b32 v11, v50 :: v_dual_lshlrev_b32 v10, 2, v13
	s_mov_b32 s49, 0
	s_delay_alu instid0(VALU_DEP_1) | instskip(SKIP_3) | instid1(VALU_DEP_3)
	v_add_co_u32 v8, vcc_lo, v8, v10
	s_wait_alu 0xfffd
	v_add_co_ci_u32_e64 v9, null, 0, v9, vcc_lo
	v_mov_b32_e32 v10, v33
	v_add_co_u32 v8, vcc_lo, v8, v4
	s_wait_alu 0xfffd
	s_delay_alu instid0(VALU_DEP_3)
	v_add_co_ci_u32_e64 v9, null, v9, v5, vcc_lo
.LBB63_142:                             ;   Parent Loop BB63_3 Depth=1
                                        ; =>  This Inner Loop Header: Depth=2
	ds_load_b32 v52, v10
	v_add_nc_u32_e32 v11, -1, v11
	v_add_nc_u32_e32 v10, 64, v10
	s_delay_alu instid0(VALU_DEP_2)
	v_cmp_eq_u32_e32 vcc_lo, 0, v11
	s_wait_alu 0xfffe
	s_or_b32 s49, vcc_lo, s49
	s_wait_dscnt 0x0
	flat_store_b32 v[8:9], v52
	v_add_co_u32 v8, s38, 0x200, v8
	s_wait_alu 0xf1ff
	v_add_co_ci_u32_e64 v9, null, 0, v9, s38
	s_wait_alu 0xfffe
	s_and_not1_b32 exec_lo, exec_lo, s49
	s_cbranch_execnz .LBB63_142
	s_branch .LBB63_2
.LBB63_143:
	s_endpgm
	.section	.rodata,"a",@progbits
	.p2align	6, 0x0
	.amdhsa_kernel _ZL25rocblas_trtri_trsm_kernelILi128ELi16ELi8EfPKPKfPKPfEv13rocblas_fill_17rocblas_diagonal_T3_lilT4_lli
		.amdhsa_group_segment_fixed_size 4096
		.amdhsa_private_segment_fixed_size 0
		.amdhsa_kernarg_size 68
		.amdhsa_user_sgpr_count 2
		.amdhsa_user_sgpr_dispatch_ptr 0
		.amdhsa_user_sgpr_queue_ptr 0
		.amdhsa_user_sgpr_kernarg_segment_ptr 1
		.amdhsa_user_sgpr_dispatch_id 0
		.amdhsa_user_sgpr_private_segment_size 0
		.amdhsa_wavefront_size32 1
		.amdhsa_uses_dynamic_stack 0
		.amdhsa_enable_private_segment 0
		.amdhsa_system_sgpr_workgroup_id_x 1
		.amdhsa_system_sgpr_workgroup_id_y 0
		.amdhsa_system_sgpr_workgroup_id_z 1
		.amdhsa_system_sgpr_workgroup_info 0
		.amdhsa_system_vgpr_workitem_id 0
		.amdhsa_next_free_vgpr 60
		.amdhsa_next_free_sgpr 98
		.amdhsa_reserve_vcc 1
		.amdhsa_float_round_mode_32 0
		.amdhsa_float_round_mode_16_64 0
		.amdhsa_float_denorm_mode_32 3
		.amdhsa_float_denorm_mode_16_64 3
		.amdhsa_fp16_overflow 0
		.amdhsa_workgroup_processor_mode 1
		.amdhsa_memory_ordered 1
		.amdhsa_forward_progress 1
		.amdhsa_inst_pref_size 54
		.amdhsa_round_robin_scheduling 0
		.amdhsa_exception_fp_ieee_invalid_op 0
		.amdhsa_exception_fp_denorm_src 0
		.amdhsa_exception_fp_ieee_div_zero 0
		.amdhsa_exception_fp_ieee_overflow 0
		.amdhsa_exception_fp_ieee_underflow 0
		.amdhsa_exception_fp_ieee_inexact 0
		.amdhsa_exception_int_div_zero 0
	.end_amdhsa_kernel
	.section	.text._ZL25rocblas_trtri_trsm_kernelILi128ELi16ELi8EfPKPKfPKPfEv13rocblas_fill_17rocblas_diagonal_T3_lilT4_lli,"axG",@progbits,_ZL25rocblas_trtri_trsm_kernelILi128ELi16ELi8EfPKPKfPKPfEv13rocblas_fill_17rocblas_diagonal_T3_lilT4_lli,comdat
.Lfunc_end63:
	.size	_ZL25rocblas_trtri_trsm_kernelILi128ELi16ELi8EfPKPKfPKPfEv13rocblas_fill_17rocblas_diagonal_T3_lilT4_lli, .Lfunc_end63-_ZL25rocblas_trtri_trsm_kernelILi128ELi16ELi8EfPKPKfPKPfEv13rocblas_fill_17rocblas_diagonal_T3_lilT4_lli
                                        ; -- End function
	.set _ZL25rocblas_trtri_trsm_kernelILi128ELi16ELi8EfPKPKfPKPfEv13rocblas_fill_17rocblas_diagonal_T3_lilT4_lli.num_vgpr, 60
	.set _ZL25rocblas_trtri_trsm_kernelILi128ELi16ELi8EfPKPKfPKPfEv13rocblas_fill_17rocblas_diagonal_T3_lilT4_lli.num_agpr, 0
	.set _ZL25rocblas_trtri_trsm_kernelILi128ELi16ELi8EfPKPKfPKPfEv13rocblas_fill_17rocblas_diagonal_T3_lilT4_lli.numbered_sgpr, 98
	.set _ZL25rocblas_trtri_trsm_kernelILi128ELi16ELi8EfPKPKfPKPfEv13rocblas_fill_17rocblas_diagonal_T3_lilT4_lli.num_named_barrier, 0
	.set _ZL25rocblas_trtri_trsm_kernelILi128ELi16ELi8EfPKPKfPKPfEv13rocblas_fill_17rocblas_diagonal_T3_lilT4_lli.private_seg_size, 0
	.set _ZL25rocblas_trtri_trsm_kernelILi128ELi16ELi8EfPKPKfPKPfEv13rocblas_fill_17rocblas_diagonal_T3_lilT4_lli.uses_vcc, 1
	.set _ZL25rocblas_trtri_trsm_kernelILi128ELi16ELi8EfPKPKfPKPfEv13rocblas_fill_17rocblas_diagonal_T3_lilT4_lli.uses_flat_scratch, 0
	.set _ZL25rocblas_trtri_trsm_kernelILi128ELi16ELi8EfPKPKfPKPfEv13rocblas_fill_17rocblas_diagonal_T3_lilT4_lli.has_dyn_sized_stack, 0
	.set _ZL25rocblas_trtri_trsm_kernelILi128ELi16ELi8EfPKPKfPKPfEv13rocblas_fill_17rocblas_diagonal_T3_lilT4_lli.has_recursion, 0
	.set _ZL25rocblas_trtri_trsm_kernelILi128ELi16ELi8EfPKPKfPKPfEv13rocblas_fill_17rocblas_diagonal_T3_lilT4_lli.has_indirect_call, 0
	.section	.AMDGPU.csdata,"",@progbits
; Kernel info:
; codeLenInByte = 6804
; TotalNumSgprs: 100
; NumVgprs: 60
; ScratchSize: 0
; MemoryBound: 0
; FloatMode: 240
; IeeeMode: 1
; LDSByteSize: 4096 bytes/workgroup (compile time only)
; SGPRBlocks: 0
; VGPRBlocks: 7
; NumSGPRsForWavesPerEU: 100
; NumVGPRsForWavesPerEU: 60
; Occupancy: 16
; WaveLimiterHint : 1
; COMPUTE_PGM_RSRC2:SCRATCH_EN: 0
; COMPUTE_PGM_RSRC2:USER_SGPR: 2
; COMPUTE_PGM_RSRC2:TRAP_HANDLER: 0
; COMPUTE_PGM_RSRC2:TGID_X_EN: 1
; COMPUTE_PGM_RSRC2:TGID_Y_EN: 0
; COMPUTE_PGM_RSRC2:TGID_Z_EN: 1
; COMPUTE_PGM_RSRC2:TIDIG_COMP_CNT: 0
	.section	.text._ZL18rocblas_trtri_fillILi128EfPKPfEvP15_rocblas_handle13rocblas_fill_ililT1_llii,"axG",@progbits,_ZL18rocblas_trtri_fillILi128EfPKPfEvP15_rocblas_handle13rocblas_fill_ililT1_llii,comdat
	.globl	_ZL18rocblas_trtri_fillILi128EfPKPfEvP15_rocblas_handle13rocblas_fill_ililT1_llii ; -- Begin function _ZL18rocblas_trtri_fillILi128EfPKPfEvP15_rocblas_handle13rocblas_fill_ililT1_llii
	.p2align	8
	.type	_ZL18rocblas_trtri_fillILi128EfPKPfEvP15_rocblas_handle13rocblas_fill_ililT1_llii,@function
_ZL18rocblas_trtri_fillILi128EfPKPfEvP15_rocblas_handle13rocblas_fill_ililT1_llii: ; @_ZL18rocblas_trtri_fillILi128EfPKPfEvP15_rocblas_handle13rocblas_fill_ililT1_llii
; %bb.0:
	s_load_b64 s[2:3], s[0:1], 0x40
	s_lshr_b32 s12, ttmp7, 16
	s_wait_kmcnt 0x0
	s_cmp_ge_u32 s12, s3
	s_cbranch_scc1 .LBB64_17
; %bb.1:
	s_clause 0x1
	s_load_b128 s[4:7], s[0:1], 0x8
	s_load_b32 s16, s[0:1], 0x18
	s_mov_b32 s14, ttmp9
	s_ashr_i32 s21, s2, 31
	s_mov_b32 s20, s2
	s_clause 0x1
	s_load_b128 s[8:11], s[0:1], 0x20
	s_load_b64 s[30:31], s[0:1], 0x30
	s_add_nc_u64 s[26:27], s[0:1], 0x48
	s_wait_kmcnt 0x0
	v_cvt_f32_u32_e32 v1, s6
	s_add_co_i32 s13, s5, -2
	s_cvt_f32_u32 s15, s7
	s_ashr_i32 s19, s5, 31
	s_add_co_i32 s24, s5, -1
	v_rcp_iflag_f32_e32 v3, v1
	v_cvt_f64_i32_e32 v[1:2], s13
	s_cvt_f32_u32 s13, s6
	s_mov_b32 s18, s5
	s_sub_co_i32 s5, 0, s6
	s_ashr_i32 s25, s24, 31
	s_wait_alu 0xfffe
	s_fmamk_f32 s2, s15, 0x4f800000, s13
	s_mov_b32 s15, 0
	s_mul_u64 s[20:21], s[6:7], s[20:21]
	s_lshl_b64 s[22:23], s[14:15], 7
	s_delay_alu instid0(SALU_CYCLE_1) | instskip(SKIP_3) | instid1(VALU_DEP_1)
	v_dual_mul_f32 v3, 0x4f7ffffe, v3 :: v_dual_mov_b32 v4, s23
	v_s_rcp_f32 s2, s2
	s_mul_u64 s[24:25], s[24:25], s[18:19]
	s_ashr_i32 s17, s16, 31
	v_cvt_u32_f32_e32 v6, v3
	v_or_b32_e32 v3, s22, v0
	s_lshl_b64 s[22:23], s[24:25], 2
	s_lshr_b64 s[24:25], s[24:25], 1
	s_mul_f32 s13, s2, 0x5f7ffffc
	v_mul_lo_u32 v5, s5, v6
	s_wait_alu 0xfffe
	s_add_nc_u64 s[22:23], s[22:23], -7
	s_lshl_b64 s[30:31], s[30:31], 2
	s_mul_f32 s2, s13, 0x2f800000
	s_sub_nc_u64 s[34:35], 0, s[6:7]
	s_wait_alu 0xfffe
	s_delay_alu instid0(SALU_CYCLE_1)
	s_trunc_f32 s5, s2
	v_mul_hi_u32 v0, v6, v5
	v_cmp_gt_u64_e64 s2, s[20:21], v[3:4]
	v_mov_b32_e32 v5, 0
	s_wait_alu 0xfffe
	s_fmamk_f32 s13, s5, 0xcf800000, s13
	s_cvt_u32_f32 s29, s5
	s_wait_alu 0xfffe
	s_delay_alu instid0(SALU_CYCLE_1)
	s_cvt_u32_f32 s28, s13
	v_add_nc_u32_e32 v0, v6, v0
	s_branch .LBB64_3
.LBB64_2:                               ;   in Loop: Header=BB64_3 Depth=1
	s_wait_alu 0xfffe
	s_or_b32 exec_lo, exec_lo, s1
	s_add_co_i32 s12, s12, 0x10000
	s_wait_alu 0xfffe
	s_cmp_lt_u32 s12, s3
	s_cbranch_scc0 .LBB64_17
.LBB64_3:                               ; =>This Loop Header: Depth=1
                                        ;     Child Loop BB64_6 Depth 2
	s_and_saveexec_b32 s1, s2
	s_cbranch_execz .LBB64_2
; %bb.4:                                ;   in Loop: Header=BB64_3 Depth=1
	s_mov_b32 s13, s15
	s_clause 0x1
	s_load_b32 s0, s[26:27], 0xc
	s_load_b32 s14, s[26:27], 0x0
	s_lshl_b64 s[36:37], s[12:13], 3
	v_dual_mov_b32 v8, v4 :: v_dual_mov_b32 v7, v3
	s_wait_alu 0xfffe
	s_add_nc_u64 s[36:37], s[10:11], s[36:37]
	s_mov_b32 s5, 0
	s_load_b64 s[38:39], s[36:37], 0x0
	s_mov_b32 s37, s15
	s_wait_kmcnt 0x0
	s_and_b32 s36, s0, 0xffff
	s_wait_alu 0xfffe
	s_mul_u64 s[36:37], s[36:37], s[14:15]
	s_add_nc_u64 s[38:39], s[38:39], s[30:31]
	s_branch .LBB64_6
.LBB64_5:                               ;   in Loop: Header=BB64_6 Depth=2
	v_add_co_u32 v7, vcc_lo, v7, s36
	s_wait_alu 0xfffd
	v_add_co_ci_u32_e64 v8, null, s37, v8, vcc_lo
	s_delay_alu instid0(VALU_DEP_1)
	v_cmp_le_u64_e32 vcc_lo, s[20:21], v[7:8]
	s_or_b32 s5, vcc_lo, s5
	s_wait_alu 0xfffe
	s_and_not1_b32 exec_lo, exec_lo, s5
	s_cbranch_execz .LBB64_2
.LBB64_6:                               ;   Parent Loop BB64_3 Depth=1
                                        ; =>  This Inner Loop Header: Depth=2
	v_or_b32_e32 v6, s7, v8
                                        ; implicit-def: $vgpr9_vgpr10
	s_mov_b32 s0, exec_lo
	s_delay_alu instid0(VALU_DEP_1)
	v_cmpx_ne_u64_e32 0, v[5:6]
	s_wait_alu 0xfffe
	s_xor_b32 s13, exec_lo, s0
	s_cbranch_execz .LBB64_8
; %bb.7:                                ;   in Loop: Header=BB64_6 Depth=2
	s_mul_u64 s[40:41], s[34:35], s[28:29]
	s_delay_alu instid0(SALU_CYCLE_1)
	s_mul_hi_u32 s43, s28, s41
	s_mul_i32 s42, s28, s41
	s_mul_hi_u32 s14, s28, s40
	s_mul_hi_u32 s0, s29, s40
	s_wait_alu 0xfffe
	s_add_nc_u64 s[42:43], s[14:15], s[42:43]
	s_mul_i32 s14, s29, s40
	s_mul_hi_u32 s33, s29, s41
	s_wait_alu 0xfffe
	s_add_co_u32 s14, s42, s14
	s_add_co_ci_u32 s14, s43, s0
	s_add_co_ci_u32 s43, s33, 0
	s_mul_i32 s42, s29, s41
	s_wait_alu 0xfffe
	s_add_nc_u64 s[40:41], s[14:15], s[42:43]
	s_delay_alu instid0(SALU_CYCLE_1) | instskip(SKIP_4) | instid1(SALU_CYCLE_1)
	s_add_co_u32 s40, s28, s40
	s_cselect_b32 s0, -1, 0
	s_wait_alu 0xfffe
	s_cmp_lg_u32 s0, 0
	s_add_co_ci_u32 s41, s29, s41
	s_mul_u64 s[42:43], s[34:35], s[40:41]
	s_delay_alu instid0(SALU_CYCLE_1)
	s_mul_hi_u32 s45, s40, s43
	s_mul_i32 s44, s40, s43
	s_mul_hi_u32 s14, s40, s42
	s_mul_i32 s33, s41, s42
	s_wait_alu 0xfffe
	s_add_nc_u64 s[44:45], s[14:15], s[44:45]
	s_mul_hi_u32 s0, s41, s42
	s_mul_hi_u32 s46, s41, s43
	s_add_co_u32 s14, s44, s33
	s_wait_alu 0xfffe
	s_add_co_ci_u32 s14, s45, s0
	s_mul_i32 s42, s41, s43
	s_add_co_ci_u32 s43, s46, 0
	s_wait_alu 0xfffe
	s_add_nc_u64 s[42:43], s[14:15], s[42:43]
	s_delay_alu instid0(SALU_CYCLE_1)
	s_add_co_u32 s0, s40, s42
	s_cselect_b32 s14, -1, 0
	s_wait_alu 0xfffe
	v_mul_hi_u32 v6, v7, s0
	s_cmp_lg_u32 s14, 0
	v_mad_co_u64_u32 v[11:12], null, v8, s0, 0
	s_add_co_ci_u32 s14, s41, s43
	s_wait_alu 0xfffe
	v_mad_co_u64_u32 v[9:10], null, v7, s14, 0
	v_mad_co_u64_u32 v[13:14], null, v8, s14, 0
	s_delay_alu instid0(VALU_DEP_2) | instskip(SKIP_1) | instid1(VALU_DEP_3)
	v_add_co_u32 v6, vcc_lo, v6, v9
	s_wait_alu 0xfffd
	v_add_co_ci_u32_e64 v9, null, 0, v10, vcc_lo
	s_delay_alu instid0(VALU_DEP_2) | instskip(SKIP_1) | instid1(VALU_DEP_2)
	v_add_co_u32 v6, vcc_lo, v6, v11
	s_wait_alu 0xfffd
	v_add_co_ci_u32_e32 v6, vcc_lo, v9, v12, vcc_lo
	s_wait_alu 0xfffd
	v_add_co_ci_u32_e32 v9, vcc_lo, 0, v14, vcc_lo
	s_delay_alu instid0(VALU_DEP_2) | instskip(SKIP_1) | instid1(VALU_DEP_2)
	v_add_co_u32 v6, vcc_lo, v6, v13
	s_wait_alu 0xfffd
	v_add_co_ci_u32_e64 v11, null, 0, v9, vcc_lo
	s_delay_alu instid0(VALU_DEP_2) | instskip(SKIP_1) | instid1(VALU_DEP_3)
	v_mul_lo_u32 v12, s7, v6
	v_mad_co_u64_u32 v[9:10], null, s6, v6, 0
	v_mul_lo_u32 v13, s6, v11
	s_delay_alu instid0(VALU_DEP_2) | instskip(NEXT) | instid1(VALU_DEP_2)
	v_sub_co_u32 v9, vcc_lo, v7, v9
	v_add3_u32 v10, v10, v13, v12
	v_add_co_u32 v13, s0, v6, 2
	s_wait_alu 0xf1ff
	v_add_co_ci_u32_e64 v14, null, 0, v11, s0
	s_delay_alu instid0(VALU_DEP_3) | instskip(SKIP_3) | instid1(VALU_DEP_3)
	v_sub_nc_u32_e32 v12, v8, v10
	v_sub_co_u32 v15, s0, v9, s6
	s_wait_alu 0xfffd
	v_sub_co_ci_u32_e64 v10, null, v8, v10, vcc_lo
	v_subrev_co_ci_u32_e64 v12, null, s7, v12, vcc_lo
	s_delay_alu instid0(VALU_DEP_3) | instskip(SKIP_1) | instid1(VALU_DEP_2)
	v_cmp_le_u32_e32 vcc_lo, s6, v15
	s_wait_alu 0xf1ff
	v_subrev_co_ci_u32_e64 v12, null, 0, v12, s0
	s_wait_alu 0xfffd
	v_cndmask_b32_e64 v15, 0, -1, vcc_lo
	v_cmp_eq_u32_e64 s0, s7, v10
	s_delay_alu instid0(VALU_DEP_3)
	v_cmp_le_u32_e32 vcc_lo, s7, v12
	s_wait_alu 0xfffd
	v_cndmask_b32_e64 v16, 0, -1, vcc_lo
	v_cmp_le_u32_e32 vcc_lo, s6, v9
	s_wait_alu 0xfffd
	v_cndmask_b32_e64 v9, 0, -1, vcc_lo
	v_cmp_le_u32_e32 vcc_lo, s7, v10
	s_wait_alu 0xfffd
	v_cndmask_b32_e64 v17, 0, -1, vcc_lo
	v_cmp_eq_u32_e32 vcc_lo, s7, v12
	s_wait_alu 0xf1ff
	s_delay_alu instid0(VALU_DEP_2)
	v_cndmask_b32_e64 v9, v17, v9, s0
	s_wait_alu 0xfffd
	v_cndmask_b32_e32 v12, v16, v15, vcc_lo
	v_add_co_u32 v15, vcc_lo, v6, 1
	s_wait_alu 0xfffd
	v_add_co_ci_u32_e64 v16, null, 0, v11, vcc_lo
	s_delay_alu instid0(VALU_DEP_3) | instskip(SKIP_2) | instid1(VALU_DEP_3)
	v_cmp_ne_u32_e32 vcc_lo, 0, v12
	s_wait_alu 0xfffd
	v_cndmask_b32_e32 v12, v15, v13, vcc_lo
	v_cndmask_b32_e32 v10, v16, v14, vcc_lo
	v_cmp_ne_u32_e32 vcc_lo, 0, v9
	s_wait_alu 0xfffd
	s_delay_alu instid0(VALU_DEP_2)
	v_dual_cndmask_b32 v9, v6, v12 :: v_dual_cndmask_b32 v10, v11, v10
.LBB64_8:                               ;   in Loop: Header=BB64_6 Depth=2
	s_wait_alu 0xfffe
	s_and_not1_saveexec_b32 s0, s13
	s_cbranch_execz .LBB64_10
; %bb.9:                                ;   in Loop: Header=BB64_6 Depth=2
	v_mul_hi_u32 v6, v7, v0
	s_delay_alu instid0(VALU_DEP_1) | instskip(NEXT) | instid1(VALU_DEP_1)
	v_mul_lo_u32 v9, v6, s6
	v_sub_nc_u32_e32 v9, v7, v9
	s_delay_alu instid0(VALU_DEP_1) | instskip(SKIP_2) | instid1(VALU_DEP_2)
	v_subrev_nc_u32_e32 v11, s6, v9
	v_cmp_le_u32_e32 vcc_lo, s6, v9
	s_wait_alu 0xfffd
	v_dual_cndmask_b32 v9, v9, v11 :: v_dual_add_nc_u32 v10, 1, v6
	s_delay_alu instid0(VALU_DEP_1) | instskip(NEXT) | instid1(VALU_DEP_2)
	v_cndmask_b32_e32 v6, v6, v10, vcc_lo
	v_cmp_le_u32_e32 vcc_lo, s6, v9
	s_delay_alu instid0(VALU_DEP_2) | instskip(SKIP_1) | instid1(VALU_DEP_1)
	v_add_nc_u32_e32 v10, 1, v6
	s_wait_alu 0xfffd
	v_dual_cndmask_b32 v9, v6, v10 :: v_dual_mov_b32 v10, v5
.LBB64_10:                              ;   in Loop: Header=BB64_6 Depth=2
	s_wait_alu 0xfffe
	s_or_b32 exec_lo, exec_lo, s0
	s_delay_alu instid0(VALU_DEP_1) | instskip(NEXT) | instid1(VALU_DEP_2)
	v_mul_lo_u32 v6, v10, s6
	v_mul_lo_u32 v13, v9, s7
	v_mad_co_u64_u32 v[11:12], null, v9, s6, 0
	s_cmp_lt_i32 s4, 0x7a
	s_mov_b32 s0, -1
	v_add3_u32 v6, v12, v13, v6
	v_sub_co_u32 v11, vcc_lo, v7, v11
	s_wait_alu 0xfffd
	s_delay_alu instid0(VALU_DEP_2)
	v_sub_co_ci_u32_e64 v12, null, v8, v6, vcc_lo
	s_cbranch_scc1 .LBB64_14
; %bb.11:                               ;   in Loop: Header=BB64_6 Depth=2
	s_cmp_eq_u32 s4, 0x7a
	s_cbranch_scc0 .LBB64_13
; %bb.12:                               ;   in Loop: Header=BB64_6 Depth=2
	v_lshlrev_b64_e32 v[13:14], 3, v[11:12]
	s_delay_alu instid0(VALU_DEP_1) | instskip(SKIP_1) | instid1(VALU_DEP_2)
	v_sub_co_u32 v6, vcc_lo, s22, v13
	s_wait_alu 0xfffd
	v_sub_co_ci_u32_e64 v13, null, s23, v14, vcc_lo
	s_delay_alu instid0(VALU_DEP_2) | instskip(NEXT) | instid1(VALU_DEP_2)
	v_cvt_f64_u32_e32 v[15:16], v6
	v_cvt_f64_u32_e32 v[13:14], v13
	s_delay_alu instid0(VALU_DEP_1) | instskip(NEXT) | instid1(VALU_DEP_1)
	v_ldexp_f64 v[13:14], v[13:14], 32
	v_add_f64_e32 v[13:14], v[13:14], v[15:16]
	s_delay_alu instid0(VALU_DEP_1) | instskip(SKIP_2) | instid1(VALU_DEP_1)
	v_cmp_gt_f64_e32 vcc_lo, 0x10000000, v[13:14]
	s_wait_alu 0xfffd
	v_cndmask_b32_e64 v6, 0, 0x100, vcc_lo
	v_ldexp_f64 v[13:14], v[13:14], v6
	v_cndmask_b32_e64 v6, 0, 0xffffff80, vcc_lo
	s_delay_alu instid0(VALU_DEP_2) | instskip(SKIP_1) | instid1(TRANS32_DEP_1)
	v_rsq_f64_e32 v[15:16], v[13:14]
	v_cmp_class_f64_e64 vcc_lo, v[13:14], 0x260
	v_mul_f64_e32 v[17:18], v[13:14], v[15:16]
	v_mul_f64_e32 v[15:16], 0.5, v[15:16]
	s_delay_alu instid0(VALU_DEP_1) | instskip(NEXT) | instid1(VALU_DEP_1)
	v_fma_f64 v[19:20], -v[15:16], v[17:18], 0.5
	v_fma_f64 v[17:18], v[17:18], v[19:20], v[17:18]
	v_fma_f64 v[15:16], v[15:16], v[19:20], v[15:16]
	s_delay_alu instid0(VALU_DEP_2) | instskip(NEXT) | instid1(VALU_DEP_1)
	v_fma_f64 v[19:20], -v[17:18], v[17:18], v[13:14]
	v_fma_f64 v[17:18], v[19:20], v[15:16], v[17:18]
	s_delay_alu instid0(VALU_DEP_1) | instskip(NEXT) | instid1(VALU_DEP_1)
	v_fma_f64 v[19:20], -v[17:18], v[17:18], v[13:14]
	v_fma_f64 v[15:16], v[19:20], v[15:16], v[17:18]
	s_delay_alu instid0(VALU_DEP_1) | instskip(SKIP_2) | instid1(VALU_DEP_2)
	v_ldexp_f64 v[15:16], v[15:16], v6
	v_mul_lo_u32 v6, v10, s8
	s_wait_alu 0xfffd
	v_dual_cndmask_b32 v14, v16, v14 :: v_dual_cndmask_b32 v13, v15, v13
	s_delay_alu instid0(VALU_DEP_1) | instskip(NEXT) | instid1(VALU_DEP_1)
	v_fma_f64 v[13:14], v[13:14], 0.5, -0.5
	v_floor_f64_e32 v[13:14], v[13:14]
	s_delay_alu instid0(VALU_DEP_1) | instskip(NEXT) | instid1(VALU_DEP_1)
	v_add_f64_e64 v[13:14], v[1:2], -v[13:14]
	v_trunc_f64_e32 v[13:14], v[13:14]
	s_delay_alu instid0(VALU_DEP_1) | instskip(NEXT) | instid1(VALU_DEP_1)
	v_ldexp_f64 v[15:16], v[13:14], 0xffffffe0
	v_floor_f64_e32 v[15:16], v[15:16]
	s_delay_alu instid0(VALU_DEP_1) | instskip(SKIP_2) | instid1(VALU_DEP_3)
	v_fma_f64 v[13:14], 0xc1f00000, v[15:16], v[13:14]
	v_cvt_u32_f64_e32 v15, v[15:16]
	v_mad_co_u64_u32 v[16:17], null, v9, s8, 0
	v_cvt_u32_f64_e32 v14, v[13:14]
	v_mul_lo_u32 v13, v9, s9
	s_delay_alu instid0(VALU_DEP_1) | instskip(SKIP_1) | instid1(VALU_DEP_2)
	v_add3_u32 v17, v17, v13, v6
	v_mul_lo_u32 v6, v15, s16
	v_lshlrev_b64_e32 v[16:17], 2, v[16:17]
	v_sub_co_u32 v13, vcc_lo, s18, v14
	s_wait_alu 0xfffd
	v_sub_co_ci_u32_e64 v22, null, s19, v15, vcc_lo
	v_mul_lo_u32 v23, v14, s17
	v_mad_co_u64_u32 v[18:19], null, v14, s16, 0
	v_add_co_u32 v24, vcc_lo, v13, -1
	s_wait_alu 0xfffd
	v_add_co_ci_u32_e64 v25, null, -1, v22, vcc_lo
	v_sub_co_u32 v20, vcc_lo, v11, s24
	s_delay_alu instid0(VALU_DEP_4) | instskip(NEXT) | instid1(VALU_DEP_3)
	v_add3_u32 v19, v19, v23, v6
	v_mul_lo_u32 v6, v25, v13
	v_mul_lo_u32 v25, v24, v22
	v_mad_co_u64_u32 v[22:23], null, v24, v13, 0
	s_wait_alu 0xfffd
	v_subrev_co_ci_u32_e64 v21, null, s25, v12, vcc_lo
	v_lshlrev_b64_e32 v[18:19], 2, v[18:19]
	v_add_co_u32 v13, vcc_lo, s38, v16
	s_wait_alu 0xfffd
	v_add_co_ci_u32_e64 v16, null, s39, v17, vcc_lo
	v_lshlrev_b64_e32 v[20:21], 2, v[20:21]
	v_add3_u32 v23, v23, v25, v6
	v_add_co_u32 v6, vcc_lo, v13, v18
	s_wait_alu 0xfffd
	v_add_co_ci_u32_e64 v18, null, v16, v19, vcc_lo
	s_delay_alu instid0(VALU_DEP_3) | instskip(SKIP_4) | instid1(VALU_DEP_4)
	v_lshlrev_b64_e32 v[16:17], 1, v[22:23]
	v_lshlrev_b64_e32 v[13:14], 2, v[14:15]
	v_add_co_u32 v6, vcc_lo, v6, v20
	s_wait_alu 0xfffd
	v_add_co_ci_u32_e64 v15, null, v18, v21, vcc_lo
	v_and_b32_e32 v16, -4, v16
	s_delay_alu instid0(VALU_DEP_3) | instskip(SKIP_1) | instid1(VALU_DEP_3)
	v_add_co_u32 v6, vcc_lo, v6, v13
	s_wait_alu 0xfffd
	v_add_co_ci_u32_e64 v14, null, v15, v14, vcc_lo
	s_delay_alu instid0(VALU_DEP_2) | instskip(SKIP_1) | instid1(VALU_DEP_2)
	v_add_co_u32 v13, vcc_lo, v6, v16
	s_wait_alu 0xfffd
	v_add_co_ci_u32_e64 v14, null, v14, v17, vcc_lo
	flat_store_b32 v[13:14], v5 offset:4
.LBB64_13:                              ;   in Loop: Header=BB64_6 Depth=2
	s_mov_b32 s0, 0
.LBB64_14:                              ;   in Loop: Header=BB64_6 Depth=2
	s_wait_alu 0xfffe
	s_and_not1_b32 vcc_lo, exec_lo, s0
	s_wait_alu 0xfffe
	s_cbranch_vccnz .LBB64_5
; %bb.15:                               ;   in Loop: Header=BB64_6 Depth=2
	s_cmp_lg_u32 s4, 0x79
	s_cbranch_scc1 .LBB64_5
; %bb.16:                               ;   in Loop: Header=BB64_6 Depth=2
	v_lshlrev_b64_e32 v[13:14], 3, v[11:12]
	s_delay_alu instid0(VALU_DEP_1) | instskip(NEXT) | instid1(VALU_DEP_2)
	v_cvt_f64_u32_e32 v[14:15], v14
	v_or_b32_e32 v6, 1, v13
	s_delay_alu instid0(VALU_DEP_1) | instskip(NEXT) | instid1(VALU_DEP_3)
	v_cvt_f64_u32_e32 v[16:17], v6
	v_ldexp_f64 v[13:14], v[14:15], 32
	s_delay_alu instid0(VALU_DEP_1) | instskip(NEXT) | instid1(VALU_DEP_1)
	v_add_f64_e32 v[13:14], v[13:14], v[16:17]
	v_cmp_gt_f64_e32 vcc_lo, 0x10000000, v[13:14]
	s_wait_alu 0xfffd
	v_cndmask_b32_e64 v6, 0, 0x100, vcc_lo
	s_delay_alu instid0(VALU_DEP_1) | instskip(SKIP_1) | instid1(VALU_DEP_2)
	v_ldexp_f64 v[13:14], v[13:14], v6
	v_cndmask_b32_e64 v6, 0, 0xffffff80, vcc_lo
	v_rsq_f64_e32 v[15:16], v[13:14]
	v_cmp_class_f64_e64 vcc_lo, v[13:14], 0x260
	s_delay_alu instid0(TRANS32_DEP_1) | instskip(SKIP_1) | instid1(VALU_DEP_1)
	v_mul_f64_e32 v[17:18], v[13:14], v[15:16]
	v_mul_f64_e32 v[15:16], 0.5, v[15:16]
	v_fma_f64 v[19:20], -v[15:16], v[17:18], 0.5
	s_delay_alu instid0(VALU_DEP_1) | instskip(SKIP_1) | instid1(VALU_DEP_2)
	v_fma_f64 v[17:18], v[17:18], v[19:20], v[17:18]
	v_fma_f64 v[15:16], v[15:16], v[19:20], v[15:16]
	v_fma_f64 v[19:20], -v[17:18], v[17:18], v[13:14]
	s_delay_alu instid0(VALU_DEP_1) | instskip(NEXT) | instid1(VALU_DEP_1)
	v_fma_f64 v[17:18], v[19:20], v[15:16], v[17:18]
	v_fma_f64 v[19:20], -v[17:18], v[17:18], v[13:14]
	s_delay_alu instid0(VALU_DEP_1) | instskip(SKIP_1) | instid1(VALU_DEP_2)
	v_fma_f64 v[15:16], v[19:20], v[15:16], v[17:18]
	v_mul_lo_u32 v18, v9, s9
	v_ldexp_f64 v[15:16], v[15:16], v6
	v_mul_lo_u32 v6, v10, s8
	v_mad_co_u64_u32 v[9:10], null, v9, s8, 0
	s_delay_alu instid0(VALU_DEP_1) | instskip(NEXT) | instid1(VALU_DEP_1)
	v_add3_u32 v10, v10, v18, v6
	v_lshlrev_b64_e32 v[9:10], 2, v[9:10]
	s_wait_alu 0xfffd
	v_dual_cndmask_b32 v14, v16, v14 :: v_dual_cndmask_b32 v13, v15, v13
	s_delay_alu instid0(VALU_DEP_1) | instskip(NEXT) | instid1(VALU_DEP_1)
	v_add_f64_e32 v[13:14], -1.0, v[13:14]
	v_mul_f64_e32 v[13:14], 0.5, v[13:14]
	s_delay_alu instid0(VALU_DEP_1) | instskip(NEXT) | instid1(VALU_DEP_1)
	v_trunc_f64_e32 v[13:14], v[13:14]
	v_ldexp_f64 v[15:16], v[13:14], 0xffffffe0
	s_delay_alu instid0(VALU_DEP_1) | instskip(NEXT) | instid1(VALU_DEP_1)
	v_floor_f64_e32 v[15:16], v[15:16]
	v_fma_f64 v[13:14], 0xc1f00000, v[15:16], v[13:14]
	v_cvt_u32_f64_e32 v15, v[15:16]
	s_delay_alu instid0(VALU_DEP_2) | instskip(NEXT) | instid1(VALU_DEP_1)
	v_cvt_u32_f64_e32 v14, v[13:14]
	v_mad_co_u64_u32 v[16:17], null, v14, v14, v[14:15]
	v_mul_lo_u32 v19, v14, v15
	v_mul_lo_u32 v15, s16, v15
	;; [unrolled: 1-line block ×3, first 2 shown]
	v_mad_co_u64_u32 v[13:14], null, s16, v14, s[16:17]
	s_delay_alu instid0(VALU_DEP_4) | instskip(NEXT) | instid1(VALU_DEP_2)
	v_add3_u32 v17, v19, v17, v19
	v_add3_u32 v14, v20, v14, v15
	s_delay_alu instid0(VALU_DEP_2) | instskip(NEXT) | instid1(VALU_DEP_2)
	v_lshrrev_b64 v[15:16], 1, v[16:17]
	v_lshlrev_b64_e32 v[13:14], 2, v[13:14]
	s_delay_alu instid0(VALU_DEP_2) | instskip(SKIP_1) | instid1(VALU_DEP_3)
	v_sub_co_u32 v11, vcc_lo, v11, v15
	s_wait_alu 0xfffd
	v_sub_co_ci_u32_e64 v12, null, v12, v16, vcc_lo
	v_add_co_u32 v6, vcc_lo, s38, v9
	s_wait_alu 0xfffd
	v_add_co_ci_u32_e64 v15, null, s39, v10, vcc_lo
	s_delay_alu instid0(VALU_DEP_3) | instskip(NEXT) | instid1(VALU_DEP_3)
	v_lshlrev_b64_e32 v[9:10], 2, v[11:12]
	v_add_co_u32 v6, vcc_lo, v6, v13
	s_wait_alu 0xfffd
	s_delay_alu instid0(VALU_DEP_3) | instskip(NEXT) | instid1(VALU_DEP_2)
	v_add_co_ci_u32_e64 v11, null, v15, v14, vcc_lo
	v_add_co_u32 v9, vcc_lo, v6, v9
	s_wait_alu 0xfffd
	s_delay_alu instid0(VALU_DEP_2)
	v_add_co_ci_u32_e64 v10, null, v11, v10, vcc_lo
	flat_store_b32 v[9:10], v5
	s_branch .LBB64_5
.LBB64_17:
	s_endpgm
	.section	.rodata,"a",@progbits
	.p2align	6, 0x0
	.amdhsa_kernel _ZL18rocblas_trtri_fillILi128EfPKPfEvP15_rocblas_handle13rocblas_fill_ililT1_llii
		.amdhsa_group_segment_fixed_size 0
		.amdhsa_private_segment_fixed_size 0
		.amdhsa_kernarg_size 328
		.amdhsa_user_sgpr_count 2
		.amdhsa_user_sgpr_dispatch_ptr 0
		.amdhsa_user_sgpr_queue_ptr 0
		.amdhsa_user_sgpr_kernarg_segment_ptr 1
		.amdhsa_user_sgpr_dispatch_id 0
		.amdhsa_user_sgpr_private_segment_size 0
		.amdhsa_wavefront_size32 1
		.amdhsa_uses_dynamic_stack 0
		.amdhsa_enable_private_segment 0
		.amdhsa_system_sgpr_workgroup_id_x 1
		.amdhsa_system_sgpr_workgroup_id_y 0
		.amdhsa_system_sgpr_workgroup_id_z 1
		.amdhsa_system_sgpr_workgroup_info 0
		.amdhsa_system_vgpr_workitem_id 0
		.amdhsa_next_free_vgpr 26
		.amdhsa_next_free_sgpr 47
		.amdhsa_reserve_vcc 1
		.amdhsa_float_round_mode_32 0
		.amdhsa_float_round_mode_16_64 0
		.amdhsa_float_denorm_mode_32 3
		.amdhsa_float_denorm_mode_16_64 3
		.amdhsa_fp16_overflow 0
		.amdhsa_workgroup_processor_mode 1
		.amdhsa_memory_ordered 1
		.amdhsa_forward_progress 1
		.amdhsa_inst_pref_size 19
		.amdhsa_round_robin_scheduling 0
		.amdhsa_exception_fp_ieee_invalid_op 0
		.amdhsa_exception_fp_denorm_src 0
		.amdhsa_exception_fp_ieee_div_zero 0
		.amdhsa_exception_fp_ieee_overflow 0
		.amdhsa_exception_fp_ieee_underflow 0
		.amdhsa_exception_fp_ieee_inexact 0
		.amdhsa_exception_int_div_zero 0
	.end_amdhsa_kernel
	.section	.text._ZL18rocblas_trtri_fillILi128EfPKPfEvP15_rocblas_handle13rocblas_fill_ililT1_llii,"axG",@progbits,_ZL18rocblas_trtri_fillILi128EfPKPfEvP15_rocblas_handle13rocblas_fill_ililT1_llii,comdat
.Lfunc_end64:
	.size	_ZL18rocblas_trtri_fillILi128EfPKPfEvP15_rocblas_handle13rocblas_fill_ililT1_llii, .Lfunc_end64-_ZL18rocblas_trtri_fillILi128EfPKPfEvP15_rocblas_handle13rocblas_fill_ililT1_llii
                                        ; -- End function
	.set _ZL18rocblas_trtri_fillILi128EfPKPfEvP15_rocblas_handle13rocblas_fill_ililT1_llii.num_vgpr, 26
	.set _ZL18rocblas_trtri_fillILi128EfPKPfEvP15_rocblas_handle13rocblas_fill_ililT1_llii.num_agpr, 0
	.set _ZL18rocblas_trtri_fillILi128EfPKPfEvP15_rocblas_handle13rocblas_fill_ililT1_llii.numbered_sgpr, 47
	.set _ZL18rocblas_trtri_fillILi128EfPKPfEvP15_rocblas_handle13rocblas_fill_ililT1_llii.num_named_barrier, 0
	.set _ZL18rocblas_trtri_fillILi128EfPKPfEvP15_rocblas_handle13rocblas_fill_ililT1_llii.private_seg_size, 0
	.set _ZL18rocblas_trtri_fillILi128EfPKPfEvP15_rocblas_handle13rocblas_fill_ililT1_llii.uses_vcc, 1
	.set _ZL18rocblas_trtri_fillILi128EfPKPfEvP15_rocblas_handle13rocblas_fill_ililT1_llii.uses_flat_scratch, 0
	.set _ZL18rocblas_trtri_fillILi128EfPKPfEvP15_rocblas_handle13rocblas_fill_ililT1_llii.has_dyn_sized_stack, 0
	.set _ZL18rocblas_trtri_fillILi128EfPKPfEvP15_rocblas_handle13rocblas_fill_ililT1_llii.has_recursion, 0
	.set _ZL18rocblas_trtri_fillILi128EfPKPfEvP15_rocblas_handle13rocblas_fill_ililT1_llii.has_indirect_call, 0
	.section	.AMDGPU.csdata,"",@progbits
; Kernel info:
; codeLenInByte = 2424
; TotalNumSgprs: 49
; NumVgprs: 26
; ScratchSize: 0
; MemoryBound: 0
; FloatMode: 240
; IeeeMode: 1
; LDSByteSize: 0 bytes/workgroup (compile time only)
; SGPRBlocks: 0
; VGPRBlocks: 3
; NumSGPRsForWavesPerEU: 49
; NumVGPRsForWavesPerEU: 26
; Occupancy: 16
; WaveLimiterHint : 1
; COMPUTE_PGM_RSRC2:SCRATCH_EN: 0
; COMPUTE_PGM_RSRC2:USER_SGPR: 2
; COMPUTE_PGM_RSRC2:TRAP_HANDLER: 0
; COMPUTE_PGM_RSRC2:TGID_X_EN: 1
; COMPUTE_PGM_RSRC2:TGID_Y_EN: 0
; COMPUTE_PGM_RSRC2:TGID_Z_EN: 1
; COMPUTE_PGM_RSRC2:TIDIG_COMP_CNT: 0
	.section	.text._ZL24rocblas_copy_matrix_trsmILi128ELi8EfPKPKfPKPfEviiiT2_ilT3_illli,"axG",@progbits,_ZL24rocblas_copy_matrix_trsmILi128ELi8EfPKPKfPKPfEviiiT2_ilT3_illli,comdat
	.globl	_ZL24rocblas_copy_matrix_trsmILi128ELi8EfPKPKfPKPfEviiiT2_ilT3_illli ; -- Begin function _ZL24rocblas_copy_matrix_trsmILi128ELi8EfPKPKfPKPfEviiiT2_ilT3_illli
	.p2align	8
	.type	_ZL24rocblas_copy_matrix_trsmILi128ELi8EfPKPKfPKPfEviiiT2_ilT3_illli,@function
_ZL24rocblas_copy_matrix_trsmILi128ELi8EfPKPKfPKPfEviiiT2_ilT3_illli: ; @_ZL24rocblas_copy_matrix_trsmILi128ELi8EfPKPKfPKPfEviiiT2_ilT3_illli
; %bb.0:
	s_load_b32 s22, s[0:1], 0x50
	s_lshr_b32 s2, ttmp7, 16
	s_wait_kmcnt 0x0
	s_cmp_ge_u32 s2, s22
	s_cbranch_scc1 .LBB65_6
; %bb.1:
	s_clause 0x2
	s_load_b96 s[8:10], s[0:1], 0x10
	s_load_b96 s[12:14], s[0:1], 0x28
	s_load_b64 s[18:19], s[0:1], 0x0
	v_and_b32_e32 v1, 0x3ff, v0
	v_bfe_u32 v0, v0, 10, 10
	s_and_b32 s3, ttmp7, 0xffff
	s_load_b128 s[4:7], s[0:1], 0x40
	v_mov_b32_e32 v3, 0
	v_lshl_add_u32 v2, ttmp9, 7, v1
	v_lshl_add_u32 v0, s3, 3, v0
	s_add_nc_u64 s[16:17], s[0:1], 0x58
	s_delay_alu instid0(VALU_DEP_3) | instskip(NEXT) | instid1(VALU_DEP_3)
	v_mov_b32_e32 v1, v3
	v_lshlrev_b64_e32 v[4:5], 2, v[2:3]
	s_wait_kmcnt 0x0
	v_mad_co_u64_u32 v[8:9], null, s10, v0, 0
	v_mad_co_u64_u32 v[6:7], null, s14, v0, 0
	s_ashr_i32 s15, s14, 31
	s_ashr_i32 s21, s10, 31
	s_mov_b32 s20, s10
	s_ashr_i32 s11, s19, 31
	v_mad_i32_i24 v9, s21, v0, v9
	s_mov_b32 s10, s19
	s_wait_alu 0xfffe
	v_mad_i32_i24 v7, s15, v0, v7
	s_ashr_i32 s19, s18, 31
	v_cmp_gt_u64_e64 s0, s[10:11], v[0:1]
	v_cmp_gt_u64_e32 vcc_lo, s[18:19], v[2:3]
	s_lshl_b64 s[6:7], s[6:7], 2
	v_lshlrev_b64_e32 v[2:3], 2, v[6:7]
	v_lshlrev_b64_e32 v[6:7], 2, v[8:9]
	s_lshl_b64 s[4:5], s[4:5], 2
	s_and_b32 s1, vcc_lo, s0
	s_delay_alu instid0(VALU_DEP_2) | instskip(NEXT) | instid1(VALU_DEP_1)
	v_add_co_u32 v2, vcc_lo, v2, s6
	v_add_co_ci_u32_e64 v3, null, s7, v3, vcc_lo
	s_delay_alu instid0(VALU_DEP_3)
	v_add_co_u32 v6, vcc_lo, v6, s4
	s_wait_alu 0xfffd
	v_add_co_ci_u32_e64 v7, null, s5, v7, vcc_lo
	v_add_co_u32 v8, vcc_lo, v2, v4
	s_wait_alu 0xfffd
	v_add_co_ci_u32_e64 v9, null, v3, v5, vcc_lo
	;; [unrolled: 3-line block ×3, first 2 shown]
	s_lshl_b64 s[4:5], s[14:15], 2
	s_lshl_b64 s[6:7], s[20:21], 2
	s_mov_b32 s15, 0
	s_branch .LBB65_3
.LBB65_2:                               ;   in Loop: Header=BB65_3 Depth=1
	s_or_b32 exec_lo, exec_lo, s23
	s_add_co_i32 s2, s2, 0x10000
	s_wait_alu 0xfffe
	s_cmp_ge_u32 s2, s22
	s_cbranch_scc1 .LBB65_6
.LBB65_3:                               ; =>This Loop Header: Depth=1
                                        ;     Child Loop BB65_5 Depth 2
	s_wait_alu 0xfffe
	s_and_saveexec_b32 s23, s1
	s_cbranch_execz .LBB65_2
; %bb.4:                                ;   in Loop: Header=BB65_3 Depth=1
	s_mov_b32 s3, s15
	s_load_b32 s0, s[16:17], 0x4
	s_lshl_b64 s[18:19], s[2:3], 3
	v_dual_mov_b32 v7, v1 :: v_dual_mov_b32 v6, v0
	s_wait_alu 0xfffe
	s_add_nc_u64 s[20:21], s[12:13], s[18:19]
	s_add_nc_u64 s[18:19], s[8:9], s[18:19]
	s_load_b64 s[20:21], s[20:21], 0x0
	s_load_b64 s[18:19], s[18:19], 0x0
	s_mov_b32 s3, 0
	s_wait_kmcnt 0x0
	s_lshl_b32 s14, s0, 3
	v_add_co_u32 v2, vcc_lo, s20, v8
	s_wait_alu 0xfffd
	v_add_co_ci_u32_e64 v3, null, s21, v9, vcc_lo
	v_add_co_u32 v4, vcc_lo, s18, v10
	s_wait_alu 0xfffd
	v_add_co_ci_u32_e64 v5, null, s19, v11, vcc_lo
	s_wait_alu 0xfffe
	s_mul_u64 s[18:19], s[4:5], s[14:15]
	s_mul_u64 s[20:21], s[6:7], s[14:15]
.LBB65_5:                               ;   Parent Loop BB65_3 Depth=1
                                        ; =>  This Inner Loop Header: Depth=2
	flat_load_b32 v12, v[4:5]
	v_add_co_u32 v6, vcc_lo, v6, s14
	s_wait_alu 0xfffd
	v_add_co_ci_u32_e64 v7, null, 0, v7, vcc_lo
	s_wait_alu 0xfffe
	v_add_co_u32 v4, vcc_lo, v4, s20
	s_wait_alu 0xfffd
	v_add_co_ci_u32_e64 v5, null, s21, v5, vcc_lo
	v_cmp_le_u64_e32 vcc_lo, s[10:11], v[6:7]
	s_or_b32 s3, vcc_lo, s3
	s_wait_loadcnt_dscnt 0x0
	flat_store_b32 v[2:3], v12
	v_add_co_u32 v2, s0, v2, s18
	s_wait_alu 0xf1ff
	v_add_co_ci_u32_e64 v3, null, s19, v3, s0
	s_wait_alu 0xfffe
	s_and_not1_b32 exec_lo, exec_lo, s3
	s_cbranch_execnz .LBB65_5
	s_branch .LBB65_2
.LBB65_6:
	s_endpgm
	.section	.rodata,"a",@progbits
	.p2align	6, 0x0
	.amdhsa_kernel _ZL24rocblas_copy_matrix_trsmILi128ELi8EfPKPKfPKPfEviiiT2_ilT3_illli
		.amdhsa_group_segment_fixed_size 0
		.amdhsa_private_segment_fixed_size 0
		.amdhsa_kernarg_size 344
		.amdhsa_user_sgpr_count 2
		.amdhsa_user_sgpr_dispatch_ptr 0
		.amdhsa_user_sgpr_queue_ptr 0
		.amdhsa_user_sgpr_kernarg_segment_ptr 1
		.amdhsa_user_sgpr_dispatch_id 0
		.amdhsa_user_sgpr_private_segment_size 0
		.amdhsa_wavefront_size32 1
		.amdhsa_uses_dynamic_stack 0
		.amdhsa_enable_private_segment 0
		.amdhsa_system_sgpr_workgroup_id_x 1
		.amdhsa_system_sgpr_workgroup_id_y 1
		.amdhsa_system_sgpr_workgroup_id_z 1
		.amdhsa_system_sgpr_workgroup_info 0
		.amdhsa_system_vgpr_workitem_id 1
		.amdhsa_next_free_vgpr 13
		.amdhsa_next_free_sgpr 24
		.amdhsa_reserve_vcc 1
		.amdhsa_float_round_mode_32 0
		.amdhsa_float_round_mode_16_64 0
		.amdhsa_float_denorm_mode_32 3
		.amdhsa_float_denorm_mode_16_64 3
		.amdhsa_fp16_overflow 0
		.amdhsa_workgroup_processor_mode 1
		.amdhsa_memory_ordered 1
		.amdhsa_forward_progress 1
		.amdhsa_inst_pref_size 5
		.amdhsa_round_robin_scheduling 0
		.amdhsa_exception_fp_ieee_invalid_op 0
		.amdhsa_exception_fp_denorm_src 0
		.amdhsa_exception_fp_ieee_div_zero 0
		.amdhsa_exception_fp_ieee_overflow 0
		.amdhsa_exception_fp_ieee_underflow 0
		.amdhsa_exception_fp_ieee_inexact 0
		.amdhsa_exception_int_div_zero 0
	.end_amdhsa_kernel
	.section	.text._ZL24rocblas_copy_matrix_trsmILi128ELi8EfPKPKfPKPfEviiiT2_ilT3_illli,"axG",@progbits,_ZL24rocblas_copy_matrix_trsmILi128ELi8EfPKPKfPKPfEviiiT2_ilT3_illli,comdat
.Lfunc_end65:
	.size	_ZL24rocblas_copy_matrix_trsmILi128ELi8EfPKPKfPKPfEviiiT2_ilT3_illli, .Lfunc_end65-_ZL24rocblas_copy_matrix_trsmILi128ELi8EfPKPKfPKPfEviiiT2_ilT3_illli
                                        ; -- End function
	.set _ZL24rocblas_copy_matrix_trsmILi128ELi8EfPKPKfPKPfEviiiT2_ilT3_illli.num_vgpr, 13
	.set _ZL24rocblas_copy_matrix_trsmILi128ELi8EfPKPKfPKPfEviiiT2_ilT3_illli.num_agpr, 0
	.set _ZL24rocblas_copy_matrix_trsmILi128ELi8EfPKPKfPKPfEviiiT2_ilT3_illli.numbered_sgpr, 24
	.set _ZL24rocblas_copy_matrix_trsmILi128ELi8EfPKPKfPKPfEviiiT2_ilT3_illli.num_named_barrier, 0
	.set _ZL24rocblas_copy_matrix_trsmILi128ELi8EfPKPKfPKPfEviiiT2_ilT3_illli.private_seg_size, 0
	.set _ZL24rocblas_copy_matrix_trsmILi128ELi8EfPKPKfPKPfEviiiT2_ilT3_illli.uses_vcc, 1
	.set _ZL24rocblas_copy_matrix_trsmILi128ELi8EfPKPKfPKPfEviiiT2_ilT3_illli.uses_flat_scratch, 0
	.set _ZL24rocblas_copy_matrix_trsmILi128ELi8EfPKPKfPKPfEviiiT2_ilT3_illli.has_dyn_sized_stack, 0
	.set _ZL24rocblas_copy_matrix_trsmILi128ELi8EfPKPKfPKPfEviiiT2_ilT3_illli.has_recursion, 0
	.set _ZL24rocblas_copy_matrix_trsmILi128ELi8EfPKPKfPKPfEviiiT2_ilT3_illli.has_indirect_call, 0
	.section	.AMDGPU.csdata,"",@progbits
; Kernel info:
; codeLenInByte = 592
; TotalNumSgprs: 26
; NumVgprs: 13
; ScratchSize: 0
; MemoryBound: 0
; FloatMode: 240
; IeeeMode: 1
; LDSByteSize: 0 bytes/workgroup (compile time only)
; SGPRBlocks: 0
; VGPRBlocks: 1
; NumSGPRsForWavesPerEU: 26
; NumVGPRsForWavesPerEU: 13
; Occupancy: 16
; WaveLimiterHint : 0
; COMPUTE_PGM_RSRC2:SCRATCH_EN: 0
; COMPUTE_PGM_RSRC2:USER_SGPR: 2
; COMPUTE_PGM_RSRC2:TRAP_HANDLER: 0
; COMPUTE_PGM_RSRC2:TGID_X_EN: 1
; COMPUTE_PGM_RSRC2:TGID_Y_EN: 1
; COMPUTE_PGM_RSRC2:TGID_Z_EN: 1
; COMPUTE_PGM_RSRC2:TIDIG_COMP_CNT: 1
	.section	.text._ZL23rocblas_set_matrix_trsmILi128ELi8EdPKPdEvlliT2_llT1_li,"axG",@progbits,_ZL23rocblas_set_matrix_trsmILi128ELi8EdPKPdEvlliT2_llT1_li,comdat
	.globl	_ZL23rocblas_set_matrix_trsmILi128ELi8EdPKPdEvlliT2_llT1_li ; -- Begin function _ZL23rocblas_set_matrix_trsmILi128ELi8EdPKPdEvlliT2_llT1_li
	.p2align	8
	.type	_ZL23rocblas_set_matrix_trsmILi128ELi8EdPKPdEvlliT2_llT1_li,@function
_ZL23rocblas_set_matrix_trsmILi128ELi8EdPKPdEvlliT2_llT1_li: ; @_ZL23rocblas_set_matrix_trsmILi128ELi8EdPKPdEvlliT2_llT1_li
; %bb.0:
	s_load_b32 s8, s[0:1], 0x40
	s_lshr_b32 s2, ttmp7, 16
	s_wait_kmcnt 0x0
	s_cmp_ge_u32 s2, s8
	s_cbranch_scc1 .LBB66_5
; %bb.1:
	s_clause 0x1
	s_load_b128 s[4:7], s[0:1], 0x18
	s_load_b128 s[12:15], s[0:1], 0x0
	v_bfe_u32 v1, v0, 10, 10
	s_and_b32 s3, ttmp7, 0xffff
	s_load_b64 s[10:11], s[0:1], 0x38
	v_and_b32_e32 v6, 0x3ff, v0
	v_mov_b32_e32 v0, 0
	v_lshl_add_u32 v1, s3, 3, v1
	s_mov_b32 s3, 0
	s_wait_kmcnt 0x0
	s_delay_alu instid0(VALU_DEP_1) | instskip(NEXT) | instid1(VALU_DEP_1)
	v_mad_co_u64_u32 v[3:4], null, s6, v1, 0
	v_mov_b32_e32 v2, v4
	s_delay_alu instid0(VALU_DEP_1) | instskip(SKIP_3) | instid1(VALU_DEP_2)
	v_mad_co_u64_u32 v[4:5], null, s7, v1, v[2:3]
	v_lshl_add_u32 v5, ttmp9, 7, v6
	v_mov_b32_e32 v6, v0
	v_mov_b32_e32 v2, v0
	v_cmp_gt_u64_e32 vcc_lo, s[12:13], v[5:6]
	s_delay_alu instid0(VALU_DEP_2)
	v_cmp_gt_u64_e64 s0, s[14:15], v[1:2]
	v_lshlrev_b64_e32 v[2:3], 3, v[3:4]
	v_lshlrev_b64_e32 v[4:5], 3, v[5:6]
	s_and_b32 s6, vcc_lo, s0
	s_lshl_b64 s[0:1], s[10:11], 3
	s_branch .LBB66_3
.LBB66_2:                               ;   in Loop: Header=BB66_3 Depth=1
	s_wait_alu 0xfffe
	s_or_b32 exec_lo, exec_lo, s7
	s_add_co_i32 s2, s2, 0x10000
	s_wait_alu 0xfffe
	s_cmp_lt_u32 s2, s8
	s_cbranch_scc0 .LBB66_5
.LBB66_3:                               ; =>This Inner Loop Header: Depth=1
	s_wait_alu 0xfffe
	s_and_saveexec_b32 s7, s6
	s_cbranch_execz .LBB66_2
; %bb.4:                                ;   in Loop: Header=BB66_3 Depth=1
	s_lshl_b64 s[10:11], s[2:3], 3
	s_wait_alu 0xfffe
	s_add_nc_u64 s[10:11], s[4:5], s[10:11]
	s_load_b64 s[10:11], s[10:11], 0x0
	s_wait_kmcnt 0x0
	s_add_nc_u64 s[10:11], s[10:11], s[0:1]
	s_wait_alu 0xfffe
	v_add_co_u32 v1, vcc_lo, s10, v2
	s_wait_alu 0xfffd
	v_add_co_ci_u32_e64 v7, null, s11, v3, vcc_lo
	s_delay_alu instid0(VALU_DEP_2) | instskip(SKIP_1) | instid1(VALU_DEP_2)
	v_add_co_u32 v6, vcc_lo, v1, v4
	s_wait_alu 0xfffd
	v_add_co_ci_u32_e64 v7, null, v7, v5, vcc_lo
	v_mov_b32_e32 v1, v0
	flat_store_b64 v[6:7], v[0:1]
	s_branch .LBB66_2
.LBB66_5:
	s_endpgm
	.section	.rodata,"a",@progbits
	.p2align	6, 0x0
	.amdhsa_kernel _ZL23rocblas_set_matrix_trsmILi128ELi8EdPKPdEvlliT2_llT1_li
		.amdhsa_group_segment_fixed_size 0
		.amdhsa_private_segment_fixed_size 0
		.amdhsa_kernarg_size 68
		.amdhsa_user_sgpr_count 2
		.amdhsa_user_sgpr_dispatch_ptr 0
		.amdhsa_user_sgpr_queue_ptr 0
		.amdhsa_user_sgpr_kernarg_segment_ptr 1
		.amdhsa_user_sgpr_dispatch_id 0
		.amdhsa_user_sgpr_private_segment_size 0
		.amdhsa_wavefront_size32 1
		.amdhsa_uses_dynamic_stack 0
		.amdhsa_enable_private_segment 0
		.amdhsa_system_sgpr_workgroup_id_x 1
		.amdhsa_system_sgpr_workgroup_id_y 1
		.amdhsa_system_sgpr_workgroup_id_z 1
		.amdhsa_system_sgpr_workgroup_info 0
		.amdhsa_system_vgpr_workitem_id 1
		.amdhsa_next_free_vgpr 8
		.amdhsa_next_free_sgpr 16
		.amdhsa_reserve_vcc 1
		.amdhsa_float_round_mode_32 0
		.amdhsa_float_round_mode_16_64 0
		.amdhsa_float_denorm_mode_32 3
		.amdhsa_float_denorm_mode_16_64 3
		.amdhsa_fp16_overflow 0
		.amdhsa_workgroup_processor_mode 1
		.amdhsa_memory_ordered 1
		.amdhsa_forward_progress 1
		.amdhsa_inst_pref_size 3
		.amdhsa_round_robin_scheduling 0
		.amdhsa_exception_fp_ieee_invalid_op 0
		.amdhsa_exception_fp_denorm_src 0
		.amdhsa_exception_fp_ieee_div_zero 0
		.amdhsa_exception_fp_ieee_overflow 0
		.amdhsa_exception_fp_ieee_underflow 0
		.amdhsa_exception_fp_ieee_inexact 0
		.amdhsa_exception_int_div_zero 0
	.end_amdhsa_kernel
	.section	.text._ZL23rocblas_set_matrix_trsmILi128ELi8EdPKPdEvlliT2_llT1_li,"axG",@progbits,_ZL23rocblas_set_matrix_trsmILi128ELi8EdPKPdEvlliT2_llT1_li,comdat
.Lfunc_end66:
	.size	_ZL23rocblas_set_matrix_trsmILi128ELi8EdPKPdEvlliT2_llT1_li, .Lfunc_end66-_ZL23rocblas_set_matrix_trsmILi128ELi8EdPKPdEvlliT2_llT1_li
                                        ; -- End function
	.set _ZL23rocblas_set_matrix_trsmILi128ELi8EdPKPdEvlliT2_llT1_li.num_vgpr, 8
	.set _ZL23rocblas_set_matrix_trsmILi128ELi8EdPKPdEvlliT2_llT1_li.num_agpr, 0
	.set _ZL23rocblas_set_matrix_trsmILi128ELi8EdPKPdEvlliT2_llT1_li.numbered_sgpr, 16
	.set _ZL23rocblas_set_matrix_trsmILi128ELi8EdPKPdEvlliT2_llT1_li.num_named_barrier, 0
	.set _ZL23rocblas_set_matrix_trsmILi128ELi8EdPKPdEvlliT2_llT1_li.private_seg_size, 0
	.set _ZL23rocblas_set_matrix_trsmILi128ELi8EdPKPdEvlliT2_llT1_li.uses_vcc, 1
	.set _ZL23rocblas_set_matrix_trsmILi128ELi8EdPKPdEvlliT2_llT1_li.uses_flat_scratch, 0
	.set _ZL23rocblas_set_matrix_trsmILi128ELi8EdPKPdEvlliT2_llT1_li.has_dyn_sized_stack, 0
	.set _ZL23rocblas_set_matrix_trsmILi128ELi8EdPKPdEvlliT2_llT1_li.has_recursion, 0
	.set _ZL23rocblas_set_matrix_trsmILi128ELi8EdPKPdEvlliT2_llT1_li.has_indirect_call, 0
	.section	.AMDGPU.csdata,"",@progbits
; Kernel info:
; codeLenInByte = 316
; TotalNumSgprs: 18
; NumVgprs: 8
; ScratchSize: 0
; MemoryBound: 0
; FloatMode: 240
; IeeeMode: 1
; LDSByteSize: 0 bytes/workgroup (compile time only)
; SGPRBlocks: 0
; VGPRBlocks: 0
; NumSGPRsForWavesPerEU: 18
; NumVGPRsForWavesPerEU: 8
; Occupancy: 16
; WaveLimiterHint : 1
; COMPUTE_PGM_RSRC2:SCRATCH_EN: 0
; COMPUTE_PGM_RSRC2:USER_SGPR: 2
; COMPUTE_PGM_RSRC2:TRAP_HANDLER: 0
; COMPUTE_PGM_RSRC2:TGID_X_EN: 1
; COMPUTE_PGM_RSRC2:TGID_Y_EN: 1
; COMPUTE_PGM_RSRC2:TGID_Z_EN: 1
; COMPUTE_PGM_RSRC2:TIDIG_COMP_CNT: 1
	.section	.text._ZL38rocblas_trsm_small_left_device_sharedBILi4ELi4ELb0EddPKPKdPKPdEv13rocblas_fill_18rocblas_operation_17rocblas_diagonal_iiT3_T4_lilT5_lili,"axG",@progbits,_ZL38rocblas_trsm_small_left_device_sharedBILi4ELi4ELb0EddPKPKdPKPdEv13rocblas_fill_18rocblas_operation_17rocblas_diagonal_iiT3_T4_lilT5_lili,comdat
	.globl	_ZL38rocblas_trsm_small_left_device_sharedBILi4ELi4ELb0EddPKPKdPKPdEv13rocblas_fill_18rocblas_operation_17rocblas_diagonal_iiT3_T4_lilT5_lili ; -- Begin function _ZL38rocblas_trsm_small_left_device_sharedBILi4ELi4ELb0EddPKPKdPKPdEv13rocblas_fill_18rocblas_operation_17rocblas_diagonal_iiT3_T4_lilT5_lili
	.p2align	8
	.type	_ZL38rocblas_trsm_small_left_device_sharedBILi4ELi4ELb0EddPKPKdPKPdEv13rocblas_fill_18rocblas_operation_17rocblas_diagonal_iiT3_T4_lilT5_lili,@function
_ZL38rocblas_trsm_small_left_device_sharedBILi4ELi4ELb0EddPKPKdPKPdEv13rocblas_fill_18rocblas_operation_17rocblas_diagonal_iiT3_T4_lilT5_lili: ; @_ZL38rocblas_trsm_small_left_device_sharedBILi4ELi4ELb0EddPKPKdPKPdEv13rocblas_fill_18rocblas_operation_17rocblas_diagonal_iiT3_T4_lilT5_lili
; %bb.0:
	s_load_b32 s26, s[0:1], 0x60
	s_lshr_b32 s20, ttmp7, 16
	s_wait_kmcnt 0x0
	s_cmp_ge_u32 s20, s26
	s_cbranch_scc1 .LBB67_58
; %bb.1:
	s_clause 0x5
	s_load_b96 s[16:18], s[0:1], 0x28
	s_load_b32 s2, s[0:1], 0x50
	s_load_b128 s[12:15], s[0:1], 0x4
	s_load_b32 s21, s[0:1], 0x68
	s_load_b128 s[4:7], s[0:1], 0x18
	s_load_b128 s[8:11], s[0:1], 0x40
	v_dual_mov_b32 v1, 0 :: v_dual_lshlrev_b32 v22, 3, v0
	s_lshl_b32 s22, ttmp9, 2
	v_lshlrev_b32_e32 v11, 5, v0
	s_mov_b32 s19, 0
	s_delay_alu instid0(VALU_DEP_2)
	v_or_b32_e32 v23, 0x80, v22
	v_dual_mov_b32 v7, v1 :: v_dual_mov_b32 v8, v1
	v_dual_mov_b32 v2, v1 :: v_dual_mov_b32 v3, v1
	;; [unrolled: 1-line block ×3, first 2 shown]
	v_mov_b32_e32 v6, v1
	s_wait_kmcnt 0x0
	s_ashr_i32 s25, s18, 31
	s_ashr_i32 s3, s2, 31
	s_min_i32 s27, s14, 4
	s_add_co_i32 s21, s21, -1
	s_sub_co_i32 s0, s15, s22
	s_add_co_i32 s28, s27, -1
	v_mad_co_i64_i32 v[9:10], null, s2, v0, 0
	s_cmp_ge_u32 ttmp9, s21
	s_mov_b32 s24, s18
	s_cselect_b32 s1, s0, 4
	s_ashr_i32 s23, s22, 31
	s_cmp_lg_u32 s13, 0x84
	v_cmp_gt_i32_e32 vcc_lo, s1, v0
	s_cselect_b32 s29, -1, 0
	s_cmp_gt_i32 s14, 0
	v_cmp_gt_i32_e64 s0, s27, v0
	s_cselect_b32 s1, -1, 0
	s_cmp_lg_u32 s12, 0x6f
	v_lshlrev_b32_e32 v0, 3, v0
	v_lshlrev_b64_e32 v[18:19], 3, v[9:10]
	v_mov_b32_e32 v9, v8
	v_mov_b32_e32 v8, v7
	;; [unrolled: 1-line block ×4, first 2 shown]
	v_dual_mov_b32 v5, v4 :: v_dual_add_nc_u32 v24, v22, v11
	v_mov_b32_e32 v4, v3
	v_mov_b32_e32 v3, v2
	;; [unrolled: 1-line block ×3, first 2 shown]
	s_mul_u64 s[2:3], s[2:3], s[22:23]
	s_cselect_b32 s30, -1, 0
	s_wait_alu 0xfffe
	s_and_b32 s31, vcc_lo, s1
	s_lshl_b32 s1, s27, 5
	s_lshl_b64 s[12:13], s[24:25], 3
	s_wait_alu 0xfffe
	s_sub_co_i32 s33, s1, 32
	s_lshl_b64 s[14:15], s[16:17], 3
	s_lshl_b64 s[10:11], s[10:11], 3
	;; [unrolled: 1-line block ×3, first 2 shown]
	s_branch .LBB67_3
.LBB67_2:                               ;   in Loop: Header=BB67_3 Depth=1
	s_wait_alu 0xfffe
	s_or_b32 exec_lo, exec_lo, s1
	v_dual_mov_b32 v2, v10 :: v_dual_mov_b32 v3, v11
	v_dual_mov_b32 v4, v12 :: v_dual_mov_b32 v5, v13
	;; [unrolled: 1-line block ×4, first 2 shown]
	s_add_co_i32 s20, s20, 0x10000
	s_wait_alu 0xfffe
	s_cmp_lt_u32 s20, s26
	s_cbranch_scc0 .LBB67_58
.LBB67_3:                               ; =>This Loop Header: Depth=1
                                        ;     Child Loop BB67_5 Depth 2
                                        ;     Child Loop BB67_11 Depth 2
	;; [unrolled: 1-line block ×3, first 2 shown]
                                        ;       Child Loop BB67_17 Depth 3
                                        ;         Child Loop BB67_18 Depth 4
                                        ;         Child Loop BB67_21 Depth 4
                                        ;           Child Loop BB67_22 Depth 5
                                        ;         Child Loop BB67_27 Depth 4
                                        ;           Child Loop BB67_29 Depth 5
                                        ;     Child Loop BB67_36 Depth 2
                                        ;       Child Loop BB67_39 Depth 3
                                        ;         Child Loop BB67_40 Depth 4
                                        ;         Child Loop BB67_42 Depth 4
                                        ;           Child Loop BB67_43 Depth 5
                                        ;         Child Loop BB67_48 Depth 4
                                        ;           Child Loop BB67_50 Depth 5
                                        ;     Child Loop BB67_57 Depth 2
	s_mov_b32 s21, s19
	s_wait_alu 0xfffe
	s_lshl_b64 s[2:3], s[20:21], 3
	s_wait_alu 0xfffe
	s_add_nc_u64 s[22:23], s[8:9], s[2:3]
	global_load_b64 v[10:11], v1, s[22:23]
	s_and_saveexec_b32 s1, s0
	s_cbranch_execz .LBB67_9
; %bb.4:                                ;   in Loop: Header=BB67_3 Depth=1
	s_add_nc_u64 s[2:3], s[6:7], s[2:3]
	v_mov_b32_e32 v14, v22
	global_load_b64 v[12:13], v1, s[2:3]
	s_mov_b32 s2, s27
	s_wait_loadcnt 0x0
	v_add_co_u32 v12, vcc_lo, v12, s14
	s_wait_alu 0xfffd
	v_add_co_ci_u32_e64 v13, null, s15, v13, vcc_lo
	s_delay_alu instid0(VALU_DEP_2) | instskip(SKIP_1) | instid1(VALU_DEP_2)
	v_add_co_u32 v12, vcc_lo, v12, v0
	s_wait_alu 0xfffd
	v_add_co_ci_u32_e64 v13, null, 0, v13, vcc_lo
.LBB67_5:                               ;   Parent Loop BB67_3 Depth=1
                                        ; =>  This Inner Loop Header: Depth=2
	flat_load_b64 v[15:16], v[12:13]
	v_add_co_u32 v12, vcc_lo, v12, s12
	s_wait_alu 0xfffd
	v_add_co_ci_u32_e64 v13, null, s13, v13, vcc_lo
	s_wait_alu 0xfffe
	s_add_co_i32 s2, s2, -1
	s_wait_alu 0xfffe
	s_cmp_eq_u32 s2, 0
	s_wait_loadcnt_dscnt 0x0
	ds_store_b64 v14, v[15:16]
	v_add_nc_u32_e32 v14, 32, v14
	s_cbranch_scc0 .LBB67_5
; %bb.6:                                ;   in Loop: Header=BB67_3 Depth=1
	v_mov_b32_e32 v12, 0
	v_mov_b32_e32 v13, 0x3ff00000
	s_and_b32 vcc_lo, exec_lo, s29
	s_wait_alu 0xfffe
	s_cbranch_vccz .LBB67_8
; %bb.7:                                ;   in Loop: Header=BB67_3 Depth=1
	ds_load_b64 v[12:13], v24
	s_wait_dscnt 0x0
	v_div_scale_f64 v[14:15], null, v[12:13], v[12:13], 1.0
	s_delay_alu instid0(VALU_DEP_1) | instskip(NEXT) | instid1(TRANS32_DEP_1)
	v_rcp_f64_e32 v[16:17], v[14:15]
	v_fma_f64 v[20:21], -v[14:15], v[16:17], 1.0
	s_delay_alu instid0(VALU_DEP_1) | instskip(NEXT) | instid1(VALU_DEP_1)
	v_fma_f64 v[16:17], v[16:17], v[20:21], v[16:17]
	v_fma_f64 v[20:21], -v[14:15], v[16:17], 1.0
	s_delay_alu instid0(VALU_DEP_1) | instskip(SKIP_1) | instid1(VALU_DEP_1)
	v_fma_f64 v[16:17], v[16:17], v[20:21], v[16:17]
	v_div_scale_f64 v[20:21], vcc_lo, 1.0, v[12:13], 1.0
	v_mul_f64_e32 v[25:26], v[20:21], v[16:17]
	s_delay_alu instid0(VALU_DEP_1) | instskip(SKIP_1) | instid1(VALU_DEP_1)
	v_fma_f64 v[14:15], -v[14:15], v[25:26], v[20:21]
	s_wait_alu 0xfffd
	v_div_fmas_f64 v[14:15], v[14:15], v[16:17], v[25:26]
	s_delay_alu instid0(VALU_DEP_1)
	v_div_fixup_f64 v[12:13], v[14:15], v[12:13], 1.0
.LBB67_8:                               ;   in Loop: Header=BB67_3 Depth=1
	ds_store_b64 v24, v[12:13]
.LBB67_9:                               ;   in Loop: Header=BB67_3 Depth=1
	s_wait_alu 0xfffe
	s_or_b32 exec_lo, exec_lo, s1
	s_wait_loadcnt 0x0
	v_add_co_u32 v10, vcc_lo, v10, s10
	s_wait_alu 0xfffd
	v_add_co_ci_u32_e64 v11, null, s11, v11, vcc_lo
	s_delay_alu instid0(VALU_DEP_2) | instskip(SKIP_1) | instid1(VALU_DEP_2)
	v_add_co_u32 v25, vcc_lo, v10, s16
	s_wait_alu 0xfffd
	v_add_co_ci_u32_e64 v26, null, s17, v11, vcc_lo
	s_and_saveexec_b32 s1, s31
	s_cbranch_execz .LBB67_12
; %bb.10:                               ;   in Loop: Header=BB67_3 Depth=1
	v_add_co_u32 v10, vcc_lo, v25, v18
	s_wait_alu 0xfffd
	v_add_co_ci_u32_e64 v11, null, v26, v19, vcc_lo
	v_mov_b32_e32 v12, v23
	s_mov_b32 s2, s27
.LBB67_11:                              ;   Parent Loop BB67_3 Depth=1
                                        ; =>  This Inner Loop Header: Depth=2
	flat_load_b64 v[13:14], v[10:11]
	v_add_co_u32 v10, vcc_lo, v10, 8
	s_wait_alu 0xfffd
	v_add_co_ci_u32_e64 v11, null, 0, v11, vcc_lo
	s_wait_alu 0xfffe
	s_add_co_i32 s2, s2, -1
	s_wait_alu 0xfffe
	s_cmp_lg_u32 s2, 0
	s_wait_loadcnt_dscnt 0x0
	v_mul_f64_e32 v[13:14], s[4:5], v[13:14]
	ds_store_b64 v12, v[13:14]
	v_add_nc_u32_e32 v12, 32, v12
	s_cbranch_scc1 .LBB67_11
.LBB67_12:                              ;   in Loop: Header=BB67_3 Depth=1
	s_wait_alu 0xfffe
	s_or_b32 exec_lo, exec_lo, s1
	s_delay_alu instid0(SALU_CYCLE_1)
	s_and_not1_b32 vcc_lo, exec_lo, s30
	s_mov_b32 s1, -1
	s_wait_dscnt 0x0
	; wave barrier
	global_inv scope:SCOPE_SE
                                        ; implicit-def: $vgpr10_vgpr11_vgpr12_vgpr13_vgpr14_vgpr15_vgpr16_vgpr17
	s_wait_alu 0xfffe
	s_cbranch_vccnz .LBB67_34
; %bb.13:                               ;   in Loop: Header=BB67_3 Depth=1
	v_dual_mov_b32 v17, v9 :: v_dual_mov_b32 v16, v8
	v_dual_mov_b32 v15, v7 :: v_dual_mov_b32 v14, v6
	;; [unrolled: 1-line block ×4, first 2 shown]
	s_mov_b32 s18, 0
	s_delay_alu instid0(SALU_CYCLE_1)
	s_mov_b32 s21, s18
.LBB67_14:                              ;   Parent Loop BB67_3 Depth=1
                                        ; =>  This Loop Header: Depth=2
                                        ;       Child Loop BB67_17 Depth 3
                                        ;         Child Loop BB67_18 Depth 4
                                        ;         Child Loop BB67_21 Depth 4
                                        ;           Child Loop BB67_22 Depth 5
                                        ;         Child Loop BB67_27 Depth 4
                                        ;           Child Loop BB67_29 Depth 5
	s_getpc_b64 s[2:3]
	s_wait_alu 0xfffe
	s_sext_i32_i16 s3, s3
	s_add_co_u32 s2, s2, __const._ZL38rocblas_trsm_small_left_device_sharedBILi4ELi4ELb0EddPKPKdPKPdEv13rocblas_fill_18rocblas_operation_17rocblas_diagonal_iiT3_T4_lilT5_lili.step_sizes@rel32@lo+12
	s_wait_alu 0xfffe
	s_add_co_ci_u32 s3, s3, __const._ZL38rocblas_trsm_small_left_device_sharedBILi4ELi4ELb0EddPKPKdPKPdEv13rocblas_fill_18rocblas_operation_17rocblas_diagonal_iiT3_T4_lilT5_lili.step_sizes@rel32@hi+24
	s_lshl_b64 s[22:23], s[18:19], 2
	s_wait_alu 0xfffe
	s_add_nc_u64 s[2:3], s[2:3], s[22:23]
	s_load_b32 s34, s[2:3], 0x0
	s_wait_kmcnt 0x0
	s_add_co_i32 s35, s34, -1
	s_delay_alu instid0(SALU_CYCLE_1)
	s_add_co_i32 s1, s35, s21
	s_wait_alu 0xfffe
	s_cmp_ge_i32 s1, s27
	s_cbranch_scc1 .LBB67_31
; %bb.15:                               ;   in Loop: Header=BB67_14 Depth=2
	s_lshl_b32 s36, s21, 5
	s_max_i32 s37, s34, 1
	s_wait_alu 0xfffe
	v_add_nc_u32_e32 v27, s36, v23
	s_lshl_b32 s38, s34, 5
	s_mul_i32 s39, s21, 40
	s_mul_i32 s40, s34, 40
	s_branch .LBB67_17
.LBB67_16:                              ;   in Loop: Header=BB67_17 Depth=3
	s_add_co_i32 s21, s21, s34
	v_add_nc_u32_e32 v27, s38, v27
	s_wait_alu 0xfffe
	s_add_co_i32 s1, s35, s21
	s_add_co_i32 s36, s36, s38
	s_add_co_i32 s39, s39, s40
	s_wait_alu 0xfffe
	s_cmp_ge_i32 s1, s27
	s_cbranch_scc1 .LBB67_31
.LBB67_17:                              ;   Parent Loop BB67_3 Depth=1
                                        ;     Parent Loop BB67_14 Depth=2
                                        ; =>    This Loop Header: Depth=3
                                        ;         Child Loop BB67_18 Depth 4
                                        ;         Child Loop BB67_21 Depth 4
                                        ;           Child Loop BB67_22 Depth 5
                                        ;         Child Loop BB67_27 Depth 4
                                        ;           Child Loop BB67_29 Depth 5
	v_mov_b32_e32 v20, v27
	s_mov_b64 s[22:23], 0
.LBB67_18:                              ;   Parent Loop BB67_3 Depth=1
                                        ;     Parent Loop BB67_14 Depth=2
                                        ;       Parent Loop BB67_17 Depth=3
                                        ; =>      This Inner Loop Header: Depth=4
	ds_load_b64 v[28:29], v20
	s_cmp_eq_u32 s22, 3
	s_cselect_b32 vcc_lo, -1, 0
	s_cmp_eq_u32 s22, 2
	v_add_nc_u32_e32 v20, 32, v20
	s_cselect_b32 s1, -1, 0
	s_cmp_eq_u32 s22, 1
	s_cselect_b32 s2, -1, 0
	s_cmp_eq_u32 s22, 0
	s_add_nc_u64 s[22:23], s[22:23], 1
	s_cselect_b32 s3, -1, 0
	s_cmp_eq_u32 s37, s22
	s_wait_dscnt 0x0
	s_wait_alu 0xfffe
	v_dual_cndmask_b32 v17, v17, v29 :: v_dual_cndmask_b32 v16, v16, v28
	v_cndmask_b32_e64 v15, v15, v29, s1
	v_cndmask_b32_e64 v14, v14, v28, s1
	;; [unrolled: 1-line block ×6, first 2 shown]
	s_cbranch_scc0 .LBB67_18
; %bb.19:                               ;   in Loop: Header=BB67_17 Depth=3
	s_cmp_lt_i32 s21, 1
	s_cbranch_scc1 .LBB67_24
; %bb.20:                               ;   in Loop: Header=BB67_17 Depth=3
	s_mov_b32 s24, 0
	s_mov_b32 s25, s36
.LBB67_21:                              ;   Parent Loop BB67_3 Depth=1
                                        ;     Parent Loop BB67_14 Depth=2
                                        ;       Parent Loop BB67_17 Depth=3
                                        ; =>      This Loop Header: Depth=4
                                        ;           Child Loop BB67_22 Depth 5
	s_wait_alu 0xfffe
	v_lshl_add_u32 v20, s24, 5, v23
	s_mov_b64 s[22:23], 0
	s_mov_b32 s41, s25
	ds_load_b64 v[20:21], v20
.LBB67_22:                              ;   Parent Loop BB67_3 Depth=1
                                        ;     Parent Loop BB67_14 Depth=2
                                        ;       Parent Loop BB67_17 Depth=3
                                        ;         Parent Loop BB67_21 Depth=4
                                        ; =>        This Inner Loop Header: Depth=5
	s_cmp_eq_u32 s22, 1
	s_cselect_b32 vcc_lo, -1, 0
	s_wait_alu 0xfffe
	v_dual_mov_b32 v28, s41 :: v_dual_cndmask_b32 v31, v10, v12
	v_cndmask_b32_e32 v30, v11, v13, vcc_lo
	s_cmp_eq_u32 s22, 2
	ds_load_b64 v[28:29], v28
	s_cselect_b32 s1, -1, 0
	s_cmp_eq_u32 s22, 3
	s_wait_alu 0xfffe
	v_cndmask_b32_e64 v30, v30, v15, s1
	v_cndmask_b32_e64 v32, v31, v14, s1
	s_cselect_b32 s2, -1, 0
	s_cmp_eq_u32 s22, 0
	s_add_nc_u64 s[22:23], s[22:23], 1
	s_wait_alu 0xfffe
	v_cndmask_b32_e64 v31, v30, v17, s2
	v_cndmask_b32_e64 v30, v32, v16, s2
	s_cselect_b32 s3, -1, 0
	s_add_co_i32 s41, s41, 32
	s_cmp_eq_u32 s37, s22
	s_wait_dscnt 0x0
	v_fma_f64 v[28:29], -v[20:21], v[28:29], v[30:31]
	s_delay_alu instid0(VALU_DEP_1) | instskip(NEXT) | instid1(VALU_DEP_2)
	v_cndmask_b32_e64 v17, v17, v29, s2
	v_cndmask_b32_e64 v16, v16, v28, s2
	;; [unrolled: 1-line block ×4, first 2 shown]
	v_dual_cndmask_b32 v13, v13, v29 :: v_dual_cndmask_b32 v12, v12, v28
	s_wait_alu 0xfffe
	v_cndmask_b32_e64 v11, v11, v29, s3
	v_cndmask_b32_e64 v10, v10, v28, s3
	s_cbranch_scc0 .LBB67_22
; %bb.23:                               ;   in Loop: Header=BB67_21 Depth=4
	s_add_co_i32 s24, s24, 1
	s_add_co_i32 s25, s25, 8
	s_wait_alu 0xfffe
	s_cmp_eq_u32 s24, s21
	s_cbranch_scc0 .LBB67_21
.LBB67_24:                              ;   in Loop: Header=BB67_17 Depth=3
	s_lshl_b32 s41, s21, 5
	s_mov_b64 s[22:23], 0
	s_mov_b32 s42, s39
	s_branch .LBB67_27
.LBB67_25:                              ;   in Loop: Header=BB67_27 Depth=4
	s_mov_b32 s44, s21
	s_mov_b64 s[24:25], 0
	s_wait_alu 0xfffe
	s_mov_b32 s43, s41
.LBB67_26:                              ;   in Loop: Header=BB67_27 Depth=4
	s_mul_i32 s1, s44, 40
	s_wait_alu 0xfffe
	s_cmp_eq_u32 s24, 1
	s_add_nc_u64 s[22:23], s[22:23], 1
	s_cselect_b32 vcc_lo, -1, 0
	s_wait_alu 0xfffe
	v_dual_mov_b32 v20, s1 :: v_dual_cndmask_b32 v29, v10, v12
	v_cndmask_b32_e32 v28, v11, v13, vcc_lo
	s_cmp_eq_u32 s24, 2
	ds_load_b64 v[20:21], v20
	s_cselect_b32 s1, -1, 0
	s_cmp_eq_u32 s24, 3
	s_wait_alu 0xfffe
	v_cndmask_b32_e64 v28, v28, v15, s1
	v_cndmask_b32_e64 v30, v29, v14, s1
	s_cselect_b32 s2, -1, 0
	s_cmp_eq_u32 s24, 0
	s_wait_alu 0xfffe
	v_cndmask_b32_e64 v29, v28, v17, s2
	v_cndmask_b32_e64 v28, v30, v16, s2
	s_wait_dscnt 0x0
	s_delay_alu instid0(VALU_DEP_1) | instskip(NEXT) | instid1(VALU_DEP_1)
	v_mul_f64_e32 v[20:21], v[28:29], v[20:21]
	v_dual_cndmask_b32 v13, v13, v21 :: v_dual_add_nc_u32 v28, s43, v23
	s_delay_alu instid0(VALU_DEP_2)
	v_cndmask_b32_e32 v12, v12, v20, vcc_lo
	s_cselect_b32 vcc_lo, -1, 0
	v_cndmask_b32_e64 v17, v17, v21, s2
	v_cndmask_b32_e64 v16, v16, v20, s2
	;; [unrolled: 1-line block ×4, first 2 shown]
	s_wait_alu 0xfffe
	v_dual_cndmask_b32 v11, v11, v21 :: v_dual_cndmask_b32 v10, v10, v20
	s_add_co_i32 s42, s42, 32
	s_cmp_eq_u32 s22, s37
	ds_store_b64 v28, v[20:21]
	s_cbranch_scc1 .LBB67_16
.LBB67_27:                              ;   Parent Loop BB67_3 Depth=1
                                        ;     Parent Loop BB67_14 Depth=2
                                        ;       Parent Loop BB67_17 Depth=3
                                        ; =>      This Loop Header: Depth=4
                                        ;           Child Loop BB67_29 Depth 5
	s_cmp_eq_u32 s22, 0
	s_cbranch_scc1 .LBB67_25
; %bb.28:                               ;   in Loop: Header=BB67_27 Depth=4
	s_add_co_i32 s44, s22, s21
	s_mov_b64 s[24:25], 0
	s_wait_alu 0xfffe
	s_lshl_b32 s43, s44, 5
	s_mov_b32 s45, s42
.LBB67_29:                              ;   Parent Loop BB67_3 Depth=1
                                        ;     Parent Loop BB67_14 Depth=2
                                        ;       Parent Loop BB67_17 Depth=3
                                        ;         Parent Loop BB67_27 Depth=4
                                        ; =>        This Inner Loop Header: Depth=5
	s_cmp_eq_u32 s24, 1
	s_cselect_b32 vcc_lo, -1, 0
	s_wait_alu 0xfffe
	v_dual_mov_b32 v20, s45 :: v_dual_cndmask_b32 v29, v10, v12
	s_cmp_eq_u32 s24, 2
	v_cndmask_b32_e32 v28, v11, v13, vcc_lo
	s_cselect_b32 s1, -1, 0
	s_cmp_eq_u32 s24, 3
	ds_load_b64 v[20:21], v20
	s_cselect_b32 vcc_lo, -1, 0
	s_cmp_eq_u32 s22, 1
	s_wait_alu 0xfffe
	v_cndmask_b32_e64 v28, v28, v15, s1
	v_cndmask_b32_e64 v30, v29, v14, s1
	s_cselect_b32 s1, -1, 0
	s_cmp_eq_u32 s22, 2
	s_wait_alu 0xfffe
	v_cndmask_b32_e64 v31, v11, v13, s1
	v_cndmask_b32_e64 v32, v10, v12, s1
	s_cselect_b32 s2, -1, 0
	v_dual_cndmask_b32 v29, v28, v17 :: v_dual_cndmask_b32 v28, v30, v16
	s_wait_alu 0xfffe
	v_cndmask_b32_e64 v30, v31, v15, s2
	v_cndmask_b32_e64 v32, v32, v14, s2
	s_cmp_eq_u32 s22, 3
	s_add_nc_u64 s[24:25], s[24:25], 1
	s_cselect_b32 vcc_lo, -1, 0
	s_cmp_eq_u32 s22, 0
	s_wait_alu 0xfffe
	v_dual_cndmask_b32 v31, v30, v17 :: v_dual_cndmask_b32 v30, v32, v16
	s_cselect_b32 s3, -1, 0
	s_add_co_i32 s45, s45, 8
	s_cmp_eq_u32 s22, s24
	s_wait_dscnt 0x0
	v_fma_f64 v[20:21], -v[28:29], v[20:21], v[30:31]
	s_delay_alu instid0(VALU_DEP_1)
	v_dual_cndmask_b32 v17, v17, v21 :: v_dual_cndmask_b32 v16, v16, v20
	v_cndmask_b32_e64 v15, v15, v21, s2
	v_cndmask_b32_e64 v14, v14, v20, s2
	;; [unrolled: 1-line block ×4, first 2 shown]
	s_wait_alu 0xfffe
	v_cndmask_b32_e64 v11, v11, v21, s3
	v_cndmask_b32_e64 v10, v10, v20, s3
	s_cbranch_scc0 .LBB67_29
; %bb.30:                               ;   in Loop: Header=BB67_27 Depth=4
	s_mov_b64 s[24:25], s[22:23]
	s_branch .LBB67_26
.LBB67_31:                              ;   in Loop: Header=BB67_14 Depth=2
	s_cmp_lt_i32 s21, s27
	s_cselect_b32 s2, -1, 0
	s_add_co_i32 s1, s18, 1
	s_cmp_lt_u32 s18, 2
	s_cselect_b32 s3, -1, 0
	s_wait_alu 0xfffe
	s_and_b32 s2, s2, s3
	s_wait_alu 0xfffe
	s_and_b32 vcc_lo, exec_lo, s2
	s_wait_alu 0xfffe
	s_cbranch_vccz .LBB67_33
; %bb.32:                               ;   in Loop: Header=BB67_14 Depth=2
	s_mov_b32 s18, s1
	s_branch .LBB67_14
.LBB67_33:                              ;   in Loop: Header=BB67_3 Depth=1
	s_mov_b32 s1, 0
.LBB67_34:                              ;   in Loop: Header=BB67_3 Depth=1
	s_wait_alu 0xfffe
	s_and_b32 vcc_lo, exec_lo, s1
	s_wait_alu 0xfffe
	s_cbranch_vccz .LBB67_55
; %bb.35:                               ;   in Loop: Header=BB67_3 Depth=1
	s_mov_b32 s18, 0
	s_mov_b32 s21, s28
.LBB67_36:                              ;   Parent Loop BB67_3 Depth=1
                                        ; =>  This Loop Header: Depth=2
                                        ;       Child Loop BB67_39 Depth 3
                                        ;         Child Loop BB67_40 Depth 4
                                        ;         Child Loop BB67_42 Depth 4
                                        ;           Child Loop BB67_43 Depth 5
                                        ;         Child Loop BB67_48 Depth 4
                                        ;           Child Loop BB67_50 Depth 5
	s_getpc_b64 s[2:3]
	s_wait_alu 0xfffe
	s_sext_i32_i16 s3, s3
	s_add_co_u32 s2, s2, __const._ZL38rocblas_trsm_small_left_device_sharedBILi4ELi4ELb0EddPKPKdPKPdEv13rocblas_fill_18rocblas_operation_17rocblas_diagonal_iiT3_T4_lilT5_lili.step_sizes@rel32@lo+12
	s_wait_alu 0xfffe
	s_add_co_ci_u32 s3, s3, __const._ZL38rocblas_trsm_small_left_device_sharedBILi4ELi4ELb0EddPKPKdPKPdEv13rocblas_fill_18rocblas_operation_17rocblas_diagonal_iiT3_T4_lilT5_lili.step_sizes@rel32@hi+24
	s_lshl_b64 s[22:23], s[18:19], 2
	s_wait_alu 0xfffe
	s_add_nc_u64 s[2:3], s[2:3], s[22:23]
	s_load_b32 s34, s[2:3], 0x0
	s_wait_kmcnt 0x0
	s_add_co_i32 s35, s34, -1
	s_delay_alu instid0(SALU_CYCLE_1)
	s_cmp_lt_i32 s21, s35
	s_cbranch_scc1 .LBB67_52
; %bb.37:                               ;   in Loop: Header=BB67_36 Depth=2
	s_lshl_b32 s1, s34, 5
	v_lshl_add_u32 v12, s21, 5, v23
	s_wait_alu 0xfffe
	s_sub_co_i32 s37, 0, s1
	s_lshl_b32 s1, s21, 3
	s_lshl_b32 s2, s34, 3
	s_max_i32 s36, s34, 1
	s_wait_alu 0xfffe
	s_add_co_i32 s38, s33, s1
	s_sub_co_i32 s39, 0, s2
	s_mul_i32 s40, s21, 40
	s_mul_i32 s41, s34, 0xffffffd8
	s_branch .LBB67_39
.LBB67_38:                              ;   in Loop: Header=BB67_39 Depth=3
	v_add_nc_u32_e32 v12, s37, v12
	s_sub_co_i32 s21, s21, s34
	s_add_co_i32 s38, s38, s39
	s_add_co_i32 s40, s40, s41
	s_wait_alu 0xfffe
	s_cmp_lt_i32 s21, s35
	s_cbranch_scc1 .LBB67_52
.LBB67_39:                              ;   Parent Loop BB67_3 Depth=1
                                        ;     Parent Loop BB67_36 Depth=2
                                        ; =>    This Loop Header: Depth=3
                                        ;         Child Loop BB67_40 Depth 4
                                        ;         Child Loop BB67_42 Depth 4
                                        ;           Child Loop BB67_43 Depth 5
                                        ;         Child Loop BB67_48 Depth 4
                                        ;           Child Loop BB67_50 Depth 5
	v_mov_b32_e32 v10, v12
	s_mov_b64 s[22:23], 0
.LBB67_40:                              ;   Parent Loop BB67_3 Depth=1
                                        ;     Parent Loop BB67_36 Depth=2
                                        ;       Parent Loop BB67_39 Depth=3
                                        ; =>      This Inner Loop Header: Depth=4
	ds_load_b64 v[13:14], v10
	s_cmp_eq_u32 s22, 3
	v_subrev_nc_u32_e32 v10, 32, v10
	s_cselect_b32 vcc_lo, -1, 0
	s_cmp_eq_u32 s22, 2
	s_cselect_b32 s1, -1, 0
	s_cmp_eq_u32 s22, 1
	s_cselect_b32 s2, -1, 0
	s_cmp_eq_u32 s22, 0
	s_add_nc_u64 s[22:23], s[22:23], 1
	s_cselect_b32 s3, -1, 0
	s_cmp_eq_u32 s36, s22
	s_wait_dscnt 0x0
	s_wait_alu 0xfffe
	v_dual_cndmask_b32 v9, v9, v14 :: v_dual_cndmask_b32 v8, v8, v13
	v_cndmask_b32_e64 v7, v7, v14, s1
	v_cndmask_b32_e64 v6, v6, v13, s1
	;; [unrolled: 1-line block ×6, first 2 shown]
	s_cbranch_scc0 .LBB67_40
; %bb.41:                               ;   in Loop: Header=BB67_39 Depth=3
	s_cmp_le_i32 s28, s21
	s_mov_b32 s24, s38
	s_mov_b32 s25, s28
	s_cbranch_scc1 .LBB67_45
.LBB67_42:                              ;   Parent Loop BB67_3 Depth=1
                                        ;     Parent Loop BB67_36 Depth=2
                                        ;       Parent Loop BB67_39 Depth=3
                                        ; =>      This Loop Header: Depth=4
                                        ;           Child Loop BB67_43 Depth 5
	s_wait_alu 0xfffe
	v_lshl_add_u32 v10, s25, 5, v23
	s_mov_b64 s[22:23], 0
	s_mov_b32 s42, s24
	ds_load_b64 v[10:11], v10
.LBB67_43:                              ;   Parent Loop BB67_3 Depth=1
                                        ;     Parent Loop BB67_36 Depth=2
                                        ;       Parent Loop BB67_39 Depth=3
                                        ;         Parent Loop BB67_42 Depth=4
                                        ; =>        This Inner Loop Header: Depth=5
	s_cmp_eq_u32 s22, 1
	s_cselect_b32 vcc_lo, -1, 0
	s_wait_alu 0xfffe
	v_dual_mov_b32 v13, s42 :: v_dual_cndmask_b32 v16, v2, v4
	v_cndmask_b32_e32 v15, v3, v5, vcc_lo
	s_cmp_eq_u32 s22, 2
	ds_load_b64 v[13:14], v13
	s_cselect_b32 s1, -1, 0
	s_cmp_eq_u32 s22, 3
	s_wait_alu 0xfffe
	v_cndmask_b32_e64 v15, v15, v7, s1
	v_cndmask_b32_e64 v17, v16, v6, s1
	s_cselect_b32 s2, -1, 0
	s_cmp_eq_u32 s22, 0
	s_add_nc_u64 s[22:23], s[22:23], 1
	s_wait_alu 0xfffe
	v_cndmask_b32_e64 v16, v15, v9, s2
	v_cndmask_b32_e64 v15, v17, v8, s2
	s_cselect_b32 s3, -1, 0
	s_add_co_i32 s42, s42, -8
	s_cmp_eq_u32 s36, s22
	s_wait_dscnt 0x0
	v_fma_f64 v[13:14], -v[10:11], v[13:14], v[15:16]
	s_delay_alu instid0(VALU_DEP_1) | instskip(NEXT) | instid1(VALU_DEP_2)
	v_cndmask_b32_e64 v9, v9, v14, s2
	v_cndmask_b32_e64 v8, v8, v13, s2
	;; [unrolled: 1-line block ×4, first 2 shown]
	v_dual_cndmask_b32 v5, v5, v14 :: v_dual_cndmask_b32 v4, v4, v13
	s_wait_alu 0xfffe
	v_cndmask_b32_e64 v3, v3, v14, s3
	v_cndmask_b32_e64 v2, v2, v13, s3
	s_cbranch_scc0 .LBB67_43
; %bb.44:                               ;   in Loop: Header=BB67_42 Depth=4
	s_add_co_i32 s25, s25, -1
	s_sub_co_i32 s24, s24, 32
	s_wait_alu 0xfffe
	s_cmp_le_i32 s25, s21
	s_cbranch_scc0 .LBB67_42
.LBB67_45:                              ;   in Loop: Header=BB67_39 Depth=3
	s_mov_b64 s[22:23], 0
	s_mov_b32 s42, s40
	s_branch .LBB67_48
.LBB67_46:                              ;   in Loop: Header=BB67_48 Depth=4
	s_mov_b32 s43, s21
	s_mov_b64 s[24:25], 0
.LBB67_47:                              ;   in Loop: Header=BB67_48 Depth=4
	s_wait_alu 0xfffe
	s_mul_i32 s1, s43, 40
	s_cmp_eq_u32 s24, 1
	s_add_nc_u64 s[22:23], s[22:23], 1
	s_cselect_b32 vcc_lo, -1, 0
	s_wait_alu 0xfffe
	v_dual_mov_b32 v10, s1 :: v_dual_cndmask_b32 v13, v3, v5
	v_cndmask_b32_e32 v14, v2, v4, vcc_lo
	s_cmp_eq_u32 s24, 2
	ds_load_b64 v[10:11], v10
	s_cselect_b32 s1, -1, 0
	s_cmp_eq_u32 s24, 3
	s_wait_alu 0xfffe
	v_cndmask_b32_e64 v13, v13, v7, s1
	v_cndmask_b32_e64 v15, v14, v6, s1
	s_cselect_b32 s2, -1, 0
	s_cmp_eq_u32 s24, 0
	s_wait_alu 0xfffe
	v_cndmask_b32_e64 v14, v13, v9, s2
	v_cndmask_b32_e64 v13, v15, v8, s2
	s_wait_dscnt 0x0
	s_delay_alu instid0(VALU_DEP_1) | instskip(SKIP_1) | instid1(VALU_DEP_2)
	v_mul_f64_e32 v[10:11], v[13:14], v[10:11]
	v_lshl_add_u32 v13, s43, 5, v23
	v_dual_cndmask_b32 v5, v5, v11 :: v_dual_cndmask_b32 v4, v4, v10
	s_cselect_b32 vcc_lo, -1, 0
	v_cndmask_b32_e64 v9, v9, v11, s2
	v_cndmask_b32_e64 v8, v8, v10, s2
	;; [unrolled: 1-line block ×4, first 2 shown]
	s_wait_alu 0xfffe
	v_dual_cndmask_b32 v3, v3, v11 :: v_dual_cndmask_b32 v2, v2, v10
	s_add_co_i32 s42, s42, -8
	s_cmp_eq_u32 s22, s36
	ds_store_b64 v13, v[10:11]
	s_cbranch_scc1 .LBB67_38
.LBB67_48:                              ;   Parent Loop BB67_3 Depth=1
                                        ;     Parent Loop BB67_36 Depth=2
                                        ;       Parent Loop BB67_39 Depth=3
                                        ; =>      This Loop Header: Depth=4
                                        ;           Child Loop BB67_50 Depth 5
	s_cmp_eq_u32 s22, 0
	s_cbranch_scc1 .LBB67_46
; %bb.49:                               ;   in Loop: Header=BB67_48 Depth=4
	s_sub_co_i32 s43, s21, s22
	s_mov_b64 s[24:25], 0
	s_wait_alu 0xfffe
	s_mov_b32 s44, s42
.LBB67_50:                              ;   Parent Loop BB67_3 Depth=1
                                        ;     Parent Loop BB67_36 Depth=2
                                        ;       Parent Loop BB67_39 Depth=3
                                        ;         Parent Loop BB67_48 Depth=4
                                        ; =>        This Inner Loop Header: Depth=5
	s_cmp_eq_u32 s24, 1
	s_cselect_b32 vcc_lo, -1, 0
	s_wait_alu 0xfffe
	v_dual_mov_b32 v10, s44 :: v_dual_cndmask_b32 v13, v3, v5
	s_cmp_eq_u32 s24, 2
	v_cndmask_b32_e32 v14, v2, v4, vcc_lo
	s_cselect_b32 s1, -1, 0
	s_cmp_eq_u32 s24, 3
	ds_load_b64 v[10:11], v10
	s_cselect_b32 vcc_lo, -1, 0
	s_cmp_eq_u32 s22, 1
	s_wait_alu 0xfffe
	v_cndmask_b32_e64 v13, v13, v7, s1
	v_cndmask_b32_e64 v15, v14, v6, s1
	s_cselect_b32 s1, -1, 0
	s_cmp_eq_u32 s22, 2
	s_wait_alu 0xfffe
	v_cndmask_b32_e64 v16, v3, v5, s1
	v_cndmask_b32_e64 v17, v2, v4, s1
	s_cselect_b32 s2, -1, 0
	v_dual_cndmask_b32 v14, v13, v9 :: v_dual_cndmask_b32 v13, v15, v8
	s_wait_alu 0xfffe
	v_cndmask_b32_e64 v15, v16, v7, s2
	v_cndmask_b32_e64 v17, v17, v6, s2
	s_cmp_eq_u32 s22, 3
	s_add_nc_u64 s[24:25], s[24:25], 1
	s_cselect_b32 vcc_lo, -1, 0
	s_cmp_eq_u32 s22, 0
	s_wait_alu 0xfffe
	v_dual_cndmask_b32 v16, v15, v9 :: v_dual_cndmask_b32 v15, v17, v8
	s_cselect_b32 s3, -1, 0
	s_sub_co_i32 s44, s44, 32
	s_cmp_eq_u32 s22, s24
	s_wait_dscnt 0x0
	v_fma_f64 v[10:11], -v[13:14], v[10:11], v[15:16]
	s_delay_alu instid0(VALU_DEP_1)
	v_dual_cndmask_b32 v9, v9, v11 :: v_dual_cndmask_b32 v8, v8, v10
	v_cndmask_b32_e64 v7, v7, v11, s2
	v_cndmask_b32_e64 v6, v6, v10, s2
	;; [unrolled: 1-line block ×4, first 2 shown]
	s_wait_alu 0xfffe
	v_cndmask_b32_e64 v3, v3, v11, s3
	v_cndmask_b32_e64 v2, v2, v10, s3
	s_cbranch_scc0 .LBB67_50
; %bb.51:                               ;   in Loop: Header=BB67_48 Depth=4
	s_mov_b64 s[24:25], s[22:23]
	s_branch .LBB67_47
.LBB67_52:                              ;   in Loop: Header=BB67_36 Depth=2
	s_cmp_gt_i32 s21, -1
	s_cselect_b32 s2, -1, 0
	s_add_co_i32 s1, s18, 1
	s_cmp_lt_u32 s18, 2
	s_cselect_b32 s3, -1, 0
	s_wait_alu 0xfffe
	s_and_b32 s2, s2, s3
	s_wait_alu 0xfffe
	s_and_not1_b32 vcc_lo, exec_lo, s2
	s_wait_alu 0xfffe
	s_cbranch_vccnz .LBB67_54
; %bb.53:                               ;   in Loop: Header=BB67_36 Depth=2
	s_mov_b32 s18, s1
	s_branch .LBB67_36
.LBB67_54:                              ;   in Loop: Header=BB67_3 Depth=1
	v_dual_mov_b32 v17, v9 :: v_dual_mov_b32 v16, v8
	v_dual_mov_b32 v15, v7 :: v_dual_mov_b32 v14, v6
	;; [unrolled: 1-line block ×4, first 2 shown]
.LBB67_55:                              ;   in Loop: Header=BB67_3 Depth=1
	; wave barrier
	s_wait_loadcnt_dscnt 0x0
	global_inv scope:SCOPE_SE
	s_and_saveexec_b32 s1, s31
	s_cbranch_execz .LBB67_2
; %bb.56:                               ;   in Loop: Header=BB67_3 Depth=1
	v_add_co_u32 v2, vcc_lo, v25, v18
	s_wait_alu 0xfffd
	v_add_co_ci_u32_e64 v3, null, v26, v19, vcc_lo
	v_mov_b32_e32 v4, v23
	s_mov_b32 s2, s27
.LBB67_57:                              ;   Parent Loop BB67_3 Depth=1
                                        ; =>  This Inner Loop Header: Depth=2
	ds_load_b64 v[5:6], v4
	v_add_nc_u32_e32 v4, 32, v4
	s_wait_alu 0xfffe
	s_add_co_i32 s2, s2, -1
	s_wait_alu 0xfffe
	s_cmp_lg_u32 s2, 0
	s_wait_dscnt 0x0
	flat_store_b64 v[2:3], v[5:6]
	v_add_co_u32 v2, vcc_lo, v2, 8
	s_wait_alu 0xfffd
	v_add_co_ci_u32_e64 v3, null, 0, v3, vcc_lo
	s_cbranch_scc1 .LBB67_57
	s_branch .LBB67_2
.LBB67_58:
	s_endpgm
	.section	.rodata,"a",@progbits
	.p2align	6, 0x0
	.amdhsa_kernel _ZL38rocblas_trsm_small_left_device_sharedBILi4ELi4ELb0EddPKPKdPKPdEv13rocblas_fill_18rocblas_operation_17rocblas_diagonal_iiT3_T4_lilT5_lili
		.amdhsa_group_segment_fixed_size 256
		.amdhsa_private_segment_fixed_size 0
		.amdhsa_kernarg_size 360
		.amdhsa_user_sgpr_count 2
		.amdhsa_user_sgpr_dispatch_ptr 0
		.amdhsa_user_sgpr_queue_ptr 0
		.amdhsa_user_sgpr_kernarg_segment_ptr 1
		.amdhsa_user_sgpr_dispatch_id 0
		.amdhsa_user_sgpr_private_segment_size 0
		.amdhsa_wavefront_size32 1
		.amdhsa_uses_dynamic_stack 0
		.amdhsa_enable_private_segment 0
		.amdhsa_system_sgpr_workgroup_id_x 1
		.amdhsa_system_sgpr_workgroup_id_y 0
		.amdhsa_system_sgpr_workgroup_id_z 1
		.amdhsa_system_sgpr_workgroup_info 0
		.amdhsa_system_vgpr_workitem_id 0
		.amdhsa_next_free_vgpr 33
		.amdhsa_next_free_sgpr 46
		.amdhsa_reserve_vcc 1
		.amdhsa_float_round_mode_32 0
		.amdhsa_float_round_mode_16_64 0
		.amdhsa_float_denorm_mode_32 3
		.amdhsa_float_denorm_mode_16_64 3
		.amdhsa_fp16_overflow 0
		.amdhsa_workgroup_processor_mode 1
		.amdhsa_memory_ordered 1
		.amdhsa_forward_progress 1
		.amdhsa_inst_pref_size 27
		.amdhsa_round_robin_scheduling 0
		.amdhsa_exception_fp_ieee_invalid_op 0
		.amdhsa_exception_fp_denorm_src 0
		.amdhsa_exception_fp_ieee_div_zero 0
		.amdhsa_exception_fp_ieee_overflow 0
		.amdhsa_exception_fp_ieee_underflow 0
		.amdhsa_exception_fp_ieee_inexact 0
		.amdhsa_exception_int_div_zero 0
	.end_amdhsa_kernel
	.section	.text._ZL38rocblas_trsm_small_left_device_sharedBILi4ELi4ELb0EddPKPKdPKPdEv13rocblas_fill_18rocblas_operation_17rocblas_diagonal_iiT3_T4_lilT5_lili,"axG",@progbits,_ZL38rocblas_trsm_small_left_device_sharedBILi4ELi4ELb0EddPKPKdPKPdEv13rocblas_fill_18rocblas_operation_17rocblas_diagonal_iiT3_T4_lilT5_lili,comdat
.Lfunc_end67:
	.size	_ZL38rocblas_trsm_small_left_device_sharedBILi4ELi4ELb0EddPKPKdPKPdEv13rocblas_fill_18rocblas_operation_17rocblas_diagonal_iiT3_T4_lilT5_lili, .Lfunc_end67-_ZL38rocblas_trsm_small_left_device_sharedBILi4ELi4ELb0EddPKPKdPKPdEv13rocblas_fill_18rocblas_operation_17rocblas_diagonal_iiT3_T4_lilT5_lili
                                        ; -- End function
	.set _ZL38rocblas_trsm_small_left_device_sharedBILi4ELi4ELb0EddPKPKdPKPdEv13rocblas_fill_18rocblas_operation_17rocblas_diagonal_iiT3_T4_lilT5_lili.num_vgpr, 33
	.set _ZL38rocblas_trsm_small_left_device_sharedBILi4ELi4ELb0EddPKPKdPKPdEv13rocblas_fill_18rocblas_operation_17rocblas_diagonal_iiT3_T4_lilT5_lili.num_agpr, 0
	.set _ZL38rocblas_trsm_small_left_device_sharedBILi4ELi4ELb0EddPKPKdPKPdEv13rocblas_fill_18rocblas_operation_17rocblas_diagonal_iiT3_T4_lilT5_lili.numbered_sgpr, 46
	.set _ZL38rocblas_trsm_small_left_device_sharedBILi4ELi4ELb0EddPKPKdPKPdEv13rocblas_fill_18rocblas_operation_17rocblas_diagonal_iiT3_T4_lilT5_lili.num_named_barrier, 0
	.set _ZL38rocblas_trsm_small_left_device_sharedBILi4ELi4ELb0EddPKPKdPKPdEv13rocblas_fill_18rocblas_operation_17rocblas_diagonal_iiT3_T4_lilT5_lili.private_seg_size, 0
	.set _ZL38rocblas_trsm_small_left_device_sharedBILi4ELi4ELb0EddPKPKdPKPdEv13rocblas_fill_18rocblas_operation_17rocblas_diagonal_iiT3_T4_lilT5_lili.uses_vcc, 1
	.set _ZL38rocblas_trsm_small_left_device_sharedBILi4ELi4ELb0EddPKPKdPKPdEv13rocblas_fill_18rocblas_operation_17rocblas_diagonal_iiT3_T4_lilT5_lili.uses_flat_scratch, 0
	.set _ZL38rocblas_trsm_small_left_device_sharedBILi4ELi4ELb0EddPKPKdPKPdEv13rocblas_fill_18rocblas_operation_17rocblas_diagonal_iiT3_T4_lilT5_lili.has_dyn_sized_stack, 0
	.set _ZL38rocblas_trsm_small_left_device_sharedBILi4ELi4ELb0EddPKPKdPKPdEv13rocblas_fill_18rocblas_operation_17rocblas_diagonal_iiT3_T4_lilT5_lili.has_recursion, 0
	.set _ZL38rocblas_trsm_small_left_device_sharedBILi4ELi4ELb0EddPKPKdPKPdEv13rocblas_fill_18rocblas_operation_17rocblas_diagonal_iiT3_T4_lilT5_lili.has_indirect_call, 0
	.section	.AMDGPU.csdata,"",@progbits
; Kernel info:
; codeLenInByte = 3344
; TotalNumSgprs: 48
; NumVgprs: 33
; ScratchSize: 0
; MemoryBound: 0
; FloatMode: 240
; IeeeMode: 1
; LDSByteSize: 256 bytes/workgroup (compile time only)
; SGPRBlocks: 0
; VGPRBlocks: 4
; NumSGPRsForWavesPerEU: 48
; NumVGPRsForWavesPerEU: 33
; Occupancy: 16
; WaveLimiterHint : 0
; COMPUTE_PGM_RSRC2:SCRATCH_EN: 0
; COMPUTE_PGM_RSRC2:USER_SGPR: 2
; COMPUTE_PGM_RSRC2:TRAP_HANDLER: 0
; COMPUTE_PGM_RSRC2:TGID_X_EN: 1
; COMPUTE_PGM_RSRC2:TGID_Y_EN: 0
; COMPUTE_PGM_RSRC2:TGID_Z_EN: 1
; COMPUTE_PGM_RSRC2:TIDIG_COMP_CNT: 0
	.section	.text._ZL30rocblas_trsm_small_left_deviceILi4ELi4ELb0EddPKPKdPKPdEv13rocblas_fill_18rocblas_operation_17rocblas_diagonal_iiT3_T4_lilT5_lili,"axG",@progbits,_ZL30rocblas_trsm_small_left_deviceILi4ELi4ELb0EddPKPKdPKPdEv13rocblas_fill_18rocblas_operation_17rocblas_diagonal_iiT3_T4_lilT5_lili,comdat
	.globl	_ZL30rocblas_trsm_small_left_deviceILi4ELi4ELb0EddPKPKdPKPdEv13rocblas_fill_18rocblas_operation_17rocblas_diagonal_iiT3_T4_lilT5_lili ; -- Begin function _ZL30rocblas_trsm_small_left_deviceILi4ELi4ELb0EddPKPKdPKPdEv13rocblas_fill_18rocblas_operation_17rocblas_diagonal_iiT3_T4_lilT5_lili
	.p2align	8
	.type	_ZL30rocblas_trsm_small_left_deviceILi4ELi4ELb0EddPKPKdPKPdEv13rocblas_fill_18rocblas_operation_17rocblas_diagonal_iiT3_T4_lilT5_lili,@function
_ZL30rocblas_trsm_small_left_deviceILi4ELi4ELb0EddPKPKdPKPdEv13rocblas_fill_18rocblas_operation_17rocblas_diagonal_iiT3_T4_lilT5_lili: ; @_ZL30rocblas_trsm_small_left_deviceILi4ELi4ELb0EddPKPKdPKPdEv13rocblas_fill_18rocblas_operation_17rocblas_diagonal_iiT3_T4_lilT5_lili
; %bb.0:
	s_load_b32 s33, s[0:1], 0x60
	s_lshr_b32 s20, ttmp7, 16
	s_wait_kmcnt 0x0
	s_cmp_ge_u32 s20, s33
	s_cbranch_scc1 .LBB68_54
; %bb.1:
	s_clause 0x5
	s_load_b96 s[16:18], s[0:1], 0x28
	s_load_b128 s[4:7], s[0:1], 0x4
	s_load_b32 s2, s[0:1], 0x68
	s_load_b32 s19, s[0:1], 0x50
	s_load_b128 s[8:11], s[0:1], 0x18
	s_load_b128 s[12:15], s[0:1], 0x40
	s_lshl_b32 s0, ttmp9, 2
	v_dual_mov_b32 v1, 0 :: v_dual_lshlrev_b32 v26, 3, v0
	v_or_b32_e32 v2, s0, v0
	v_lshlrev_b32_e32 v9, 5, v0
	s_mov_b32 s43, 0
	s_delay_alu instid0(VALU_DEP_3)
	v_dual_mov_b32 v7, v1 :: v_dual_mov_b32 v8, v1
	v_dual_mov_b32 v5, v1 :: v_dual_mov_b32 v6, v1
	v_mov_b32_e32 v4, v1
	s_wait_kmcnt 0x0
	s_ashr_i32 s3, s18, 31
	s_min_i32 s38, s6, 4
	s_add_co_i32 s2, s2, -1
	v_mad_co_i64_i32 v[2:3], null, s19, v2, 0
	s_sub_co_i32 s0, s7, s0
	s_add_co_i32 s39, s38, -1
	s_wait_alu 0xfffe
	s_cmp_ge_u32 ttmp9, s2
	s_mov_b32 s2, s18
	s_cselect_b32 s1, s0, 4
	s_cmp_lg_u32 s5, 0x84
	v_lshlrev_b64_e32 v[18:19], 3, v[2:3]
	s_cselect_b32 s40, -1, 0
	s_cmp_lg_u32 s4, 0x6f
	v_mov_b32_e32 v2, v1
	s_cselect_b32 s41, -1, 0
	s_lshl_b64 s[14:15], s[14:15], 3
	v_mov_b32_e32 v3, v1
	v_add_co_u32 v27, vcc_lo, v18, s14
	v_cmp_gt_i32_e64 s0, s38, v0
	s_wait_alu 0xfffe
	v_cmp_gt_i32_e64 s1, s1, v0
	v_lshlrev_b32_e32 v0, 3, v0
	v_add_nc_u32_e32 v29, v26, v9
	v_mov_b32_e32 v9, v8
	v_add_co_ci_u32_e64 v28, null, s15, v19, vcc_lo
	v_mov_b32_e32 v8, v7
	v_mov_b32_e32 v7, v6
	;; [unrolled: 1-line block ×7, first 2 shown]
	s_lshl_b64 s[6:7], s[2:3], 3
	s_lshl_b32 s2, s38, 5
	s_mov_b32 s19, 0
	s_sub_co_i32 s42, s2, 32
	s_lshl_b64 s[16:17], s[16:17], 3
	s_branch .LBB68_5
.LBB68_2:                               ;   in Loop: Header=BB68_5 Depth=1
	v_dual_mov_b32 v17, v9 :: v_dual_mov_b32 v16, v8
	v_dual_mov_b32 v15, v7 :: v_dual_mov_b32 v14, v6
	;; [unrolled: 1-line block ×4, first 2 shown]
.LBB68_3:                               ;   in Loop: Header=BB68_5 Depth=1
	s_add_co_i32 s20, s20, 0x10000
	s_delay_alu instid0(SALU_CYCLE_1)
	s_cmp_ge_u32 s20, s33
	s_cselect_b32 s2, -1, 0
	s_wait_alu 0xfffe
	s_or_not1_b32 s2, s2, exec_lo
.LBB68_4:                               ;   in Loop: Header=BB68_5 Depth=1
	s_or_b32 exec_lo, exec_lo, s21
	v_dual_mov_b32 v2, v10 :: v_dual_mov_b32 v3, v11
	v_dual_mov_b32 v4, v12 :: v_dual_mov_b32 v5, v13
	v_dual_mov_b32 v6, v14 :: v_dual_mov_b32 v7, v15
	v_dual_mov_b32 v8, v16 :: v_dual_mov_b32 v9, v17
	s_wait_alu 0xfffe
	s_and_b32 s2, exec_lo, s2
	s_wait_alu 0xfffe
	s_or_b32 s43, s2, s43
	s_delay_alu instid0(SALU_CYCLE_1)
	s_and_not1_b32 exec_lo, exec_lo, s43
	s_cbranch_execz .LBB68_54
.LBB68_5:                               ; =>This Loop Header: Depth=1
                                        ;     Child Loop BB68_7 Depth 2
                                        ;     Child Loop BB68_14 Depth 2
                                        ;       Child Loop BB68_17 Depth 3
                                        ;         Child Loop BB68_18 Depth 4
                                        ;         Child Loop BB68_21 Depth 4
                                        ;           Child Loop BB68_22 Depth 5
                                        ;         Child Loop BB68_27 Depth 4
                                        ;           Child Loop BB68_29 Depth 5
                                        ;     Child Loop BB68_36 Depth 2
                                        ;       Child Loop BB68_39 Depth 3
                                        ;         Child Loop BB68_40 Depth 4
                                        ;         Child Loop BB68_42 Depth 4
                                        ;           Child Loop BB68_43 Depth 5
                                        ;         Child Loop BB68_48 Depth 4
                                        ;           Child Loop BB68_50 Depth 5
	s_wait_alu 0xfffe
	s_mov_b32 s21, s19
	s_delay_alu instid0(SALU_CYCLE_1)
	s_lshl_b64 s[2:3], s[20:21], 3
	s_wait_alu 0xfffe
	s_add_nc_u64 s[4:5], s[12:13], s[2:3]
	global_load_b64 v[20:21], v1, s[4:5]
	s_and_saveexec_b32 s4, s0
	s_cbranch_execz .LBB68_11
; %bb.6:                                ;   in Loop: Header=BB68_5 Depth=1
	s_add_nc_u64 s[2:3], s[10:11], s[2:3]
	v_mov_b32_e32 v12, v26
	global_load_b64 v[10:11], v1, s[2:3]
	s_mov_b32 s2, s38
	s_wait_loadcnt 0x0
	v_add_co_u32 v10, vcc_lo, v10, s16
	s_wait_alu 0xfffd
	v_add_co_ci_u32_e64 v11, null, s17, v11, vcc_lo
	s_delay_alu instid0(VALU_DEP_2) | instskip(SKIP_1) | instid1(VALU_DEP_2)
	v_add_co_u32 v10, vcc_lo, v10, v0
	s_wait_alu 0xfffd
	v_add_co_ci_u32_e64 v11, null, 0, v11, vcc_lo
.LBB68_7:                               ;   Parent Loop BB68_5 Depth=1
                                        ; =>  This Inner Loop Header: Depth=2
	flat_load_b64 v[13:14], v[10:11]
	v_add_co_u32 v10, vcc_lo, v10, s6
	s_wait_alu 0xfffd
	v_add_co_ci_u32_e64 v11, null, s7, v11, vcc_lo
	s_wait_alu 0xfffe
	s_add_co_i32 s2, s2, -1
	s_wait_alu 0xfffe
	s_cmp_eq_u32 s2, 0
	s_wait_loadcnt_dscnt 0x0
	ds_store_b64 v12, v[13:14]
	v_add_nc_u32_e32 v12, 32, v12
	s_cbranch_scc0 .LBB68_7
; %bb.8:                                ;   in Loop: Header=BB68_5 Depth=1
	v_mov_b32_e32 v10, 0
	v_mov_b32_e32 v11, 0x3ff00000
	s_and_b32 vcc_lo, exec_lo, s40
	s_wait_alu 0xfffe
	s_cbranch_vccz .LBB68_10
; %bb.9:                                ;   in Loop: Header=BB68_5 Depth=1
	ds_load_b64 v[10:11], v29
	s_wait_dscnt 0x0
	v_div_scale_f64 v[12:13], null, v[10:11], v[10:11], 1.0
	s_delay_alu instid0(VALU_DEP_1) | instskip(NEXT) | instid1(TRANS32_DEP_1)
	v_rcp_f64_e32 v[14:15], v[12:13]
	v_fma_f64 v[16:17], -v[12:13], v[14:15], 1.0
	s_delay_alu instid0(VALU_DEP_1) | instskip(NEXT) | instid1(VALU_DEP_1)
	v_fma_f64 v[14:15], v[14:15], v[16:17], v[14:15]
	v_fma_f64 v[16:17], -v[12:13], v[14:15], 1.0
	s_delay_alu instid0(VALU_DEP_1) | instskip(SKIP_1) | instid1(VALU_DEP_1)
	v_fma_f64 v[14:15], v[14:15], v[16:17], v[14:15]
	v_div_scale_f64 v[16:17], vcc_lo, 1.0, v[10:11], 1.0
	v_mul_f64_e32 v[22:23], v[16:17], v[14:15]
	s_delay_alu instid0(VALU_DEP_1) | instskip(SKIP_1) | instid1(VALU_DEP_1)
	v_fma_f64 v[12:13], -v[12:13], v[22:23], v[16:17]
	s_wait_alu 0xfffd
	v_div_fmas_f64 v[12:13], v[12:13], v[14:15], v[22:23]
	s_delay_alu instid0(VALU_DEP_1)
	v_div_fixup_f64 v[10:11], v[12:13], v[10:11], 1.0
.LBB68_10:                              ;   in Loop: Header=BB68_5 Depth=1
	ds_store_b64 v29, v[10:11]
.LBB68_11:                              ;   in Loop: Header=BB68_5 Depth=1
	s_wait_alu 0xfffe
	s_or_b32 exec_lo, exec_lo, s4
	s_mov_b32 s2, -1
	; wave barrier
	s_wait_loadcnt_dscnt 0x0
	global_inv scope:SCOPE_SE
                                        ; implicit-def: $vgpr10_vgpr11_vgpr12_vgpr13_vgpr14_vgpr15_vgpr16_vgpr17
	s_and_saveexec_b32 s21, s1
	s_cbranch_execz .LBB68_4
; %bb.12:                               ;   in Loop: Header=BB68_5 Depth=1
	v_add_co_u32 v10, vcc_lo, v20, s14
	s_wait_alu 0xfffd
	v_add_co_ci_u32_e64 v11, null, s15, v21, vcc_lo
	s_delay_alu instid0(VALU_DEP_2) | instskip(SKIP_1) | instid1(VALU_DEP_2)
	v_add_co_u32 v30, vcc_lo, v10, v18
	s_wait_alu 0xfffd
	v_add_co_ci_u32_e64 v31, null, v11, v19, vcc_lo
	s_and_not1_b32 vcc_lo, exec_lo, s41
                                        ; implicit-def: $vgpr10_vgpr11_vgpr12_vgpr13_vgpr14_vgpr15_vgpr16_vgpr17
	s_wait_alu 0xfffe
	s_cbranch_vccnz .LBB68_34
; %bb.13:                               ;   in Loop: Header=BB68_5 Depth=1
	v_add_co_u32 v32, vcc_lo, v20, v27
	v_dual_mov_b32 v17, v9 :: v_dual_mov_b32 v16, v8
	s_wait_alu 0xfffd
	v_add_co_ci_u32_e64 v33, null, v21, v28, vcc_lo
	v_dual_mov_b32 v15, v7 :: v_dual_mov_b32 v14, v6
	v_dual_mov_b32 v13, v5 :: v_dual_mov_b32 v12, v4
	v_dual_mov_b32 v11, v3 :: v_dual_mov_b32 v10, v2
	s_mov_b32 s24, 0
	s_mov_b32 s22, 0
.LBB68_14:                              ;   Parent Loop BB68_5 Depth=1
                                        ; =>  This Loop Header: Depth=2
                                        ;       Child Loop BB68_17 Depth 3
                                        ;         Child Loop BB68_18 Depth 4
                                        ;         Child Loop BB68_21 Depth 4
                                        ;           Child Loop BB68_22 Depth 5
                                        ;         Child Loop BB68_27 Depth 4
                                        ;           Child Loop BB68_29 Depth 5
	s_mov_b32 s25, s19
	s_getpc_b64 s[2:3]
	s_wait_alu 0xfffe
	s_sext_i32_i16 s3, s3
	s_add_co_u32 s2, s2, __const._ZL30rocblas_trsm_small_left_deviceILi4ELi4ELb0EddPKPKdPKPdEv13rocblas_fill_18rocblas_operation_17rocblas_diagonal_iiT3_T4_lilT5_lili.step_sizes@rel32@lo+12
	s_wait_alu 0xfffe
	s_add_co_ci_u32 s3, s3, __const._ZL30rocblas_trsm_small_left_deviceILi4ELi4ELb0EddPKPKdPKPdEv13rocblas_fill_18rocblas_operation_17rocblas_diagonal_iiT3_T4_lilT5_lili.step_sizes@rel32@hi+24
	s_lshl_b64 s[4:5], s[24:25], 2
	s_wait_alu 0xfffe
	s_add_nc_u64 s[2:3], s[2:3], s[4:5]
	s_load_b32 s26, s[2:3], 0x0
	s_wait_kmcnt 0x0
	s_add_co_i32 s25, s26, -1
	s_wait_alu 0xfffe
	s_add_co_i32 s2, s25, s22
	s_wait_alu 0xfffe
	s_cmp_ge_i32 s2, s38
	s_cbranch_scc1 .LBB68_31
; %bb.15:                               ;   in Loop: Header=BB68_14 Depth=2
	s_ashr_i32 s23, s22, 31
	s_ashr_i32 s27, s26, 31
	s_lshl_b64 s[2:3], s[22:23], 3
	s_max_i32 s44, s26, 1
	s_wait_alu 0xfffe
	v_add_co_u32 v22, vcc_lo, v32, s2
	s_wait_alu 0xfffd
	v_add_co_ci_u32_e64 v23, null, s3, v33, vcc_lo
	s_lshl_b64 s[28:29], s[26:27], 3
	s_lshl_b32 s23, s22, 5
	s_lshl_b32 s27, s26, 5
	s_mul_i32 s45, s22, 40
	s_mul_i32 s46, s26, 40
	s_branch .LBB68_17
.LBB68_16:                              ;   in Loop: Header=BB68_17 Depth=3
	v_add_co_u32 v22, vcc_lo, v22, s28
	s_add_co_i32 s22, s22, s26
	s_wait_alu 0xfffd
	v_add_co_ci_u32_e64 v23, null, s29, v23, vcc_lo
	s_add_co_i32 s2, s25, s22
	s_add_co_i32 s23, s23, s27
	;; [unrolled: 1-line block ×3, first 2 shown]
	s_wait_alu 0xfffe
	s_cmp_ge_i32 s2, s38
	s_cbranch_scc1 .LBB68_31
.LBB68_17:                              ;   Parent Loop BB68_5 Depth=1
                                        ;     Parent Loop BB68_14 Depth=2
                                        ; =>    This Loop Header: Depth=3
                                        ;         Child Loop BB68_18 Depth 4
                                        ;         Child Loop BB68_21 Depth 4
                                        ;           Child Loop BB68_22 Depth 5
                                        ;         Child Loop BB68_27 Depth 4
                                        ;           Child Loop BB68_29 Depth 5
	v_dual_mov_b32 v25, v23 :: v_dual_mov_b32 v24, v22
	s_mov_b64 s[30:31], 0
.LBB68_18:                              ;   Parent Loop BB68_5 Depth=1
                                        ;     Parent Loop BB68_14 Depth=2
                                        ;       Parent Loop BB68_17 Depth=3
                                        ; =>      This Inner Loop Header: Depth=4
	flat_load_b64 v[34:35], v[24:25]
	s_cmp_eq_u32 s30, 3
	v_add_co_u32 v24, vcc_lo, v24, 8
	s_wait_alu 0xfffd
	v_add_co_ci_u32_e64 v25, null, 0, v25, vcc_lo
	s_cselect_b32 vcc_lo, -1, 0
	s_cmp_eq_u32 s30, 2
	s_cselect_b32 s2, -1, 0
	s_cmp_eq_u32 s30, 1
	s_cselect_b32 s3, -1, 0
	s_cmp_eq_u32 s30, 0
	s_add_nc_u64 s[30:31], s[30:31], 1
	s_cselect_b32 s4, -1, 0
	s_cmp_eq_u32 s44, s30
	s_wait_loadcnt_dscnt 0x0
	v_mul_f64_e32 v[34:35], s[8:9], v[34:35]
	s_wait_alu 0xfffe
	s_delay_alu instid0(VALU_DEP_1)
	v_dual_cndmask_b32 v17, v17, v35 :: v_dual_cndmask_b32 v16, v16, v34
	v_cndmask_b32_e64 v15, v15, v35, s2
	v_cndmask_b32_e64 v14, v14, v34, s2
	v_cndmask_b32_e64 v13, v13, v35, s3
	v_cndmask_b32_e64 v12, v12, v34, s3
	v_cndmask_b32_e64 v11, v11, v35, s4
	v_cndmask_b32_e64 v10, v10, v34, s4
	s_cbranch_scc0 .LBB68_18
; %bb.19:                               ;   in Loop: Header=BB68_17 Depth=3
	s_cmp_lt_i32 s22, 1
	s_cbranch_scc1 .LBB68_24
; %bb.20:                               ;   in Loop: Header=BB68_17 Depth=3
	s_mov_b32 s18, 0
	s_mov_b32 s5, s23
.LBB68_21:                              ;   Parent Loop BB68_5 Depth=1
                                        ;     Parent Loop BB68_14 Depth=2
                                        ;       Parent Loop BB68_17 Depth=3
                                        ; =>      This Loop Header: Depth=4
                                        ;           Child Loop BB68_22 Depth 5
	s_wait_alu 0xfffe
	s_lshl_b64 s[2:3], s[18:19], 3
	s_mov_b64 s[30:31], 0
	s_wait_alu 0xfffe
	v_add_co_u32 v24, vcc_lo, v30, s2
	s_wait_alu 0xfffd
	v_add_co_ci_u32_e64 v25, null, s3, v31, vcc_lo
	s_mov_b32 s34, s5
	flat_load_b64 v[24:25], v[24:25]
.LBB68_22:                              ;   Parent Loop BB68_5 Depth=1
                                        ;     Parent Loop BB68_14 Depth=2
                                        ;       Parent Loop BB68_17 Depth=3
                                        ;         Parent Loop BB68_21 Depth=4
                                        ; =>        This Inner Loop Header: Depth=5
	s_cmp_eq_u32 s30, 1
	s_cselect_b32 vcc_lo, -1, 0
	s_wait_alu 0xfffe
	v_dual_mov_b32 v34, s34 :: v_dual_cndmask_b32 v37, v10, v12
	v_cndmask_b32_e32 v36, v11, v13, vcc_lo
	s_cmp_eq_u32 s30, 2
	ds_load_b64 v[34:35], v34
	s_cselect_b32 s2, -1, 0
	s_cmp_eq_u32 s30, 3
	s_wait_alu 0xfffe
	v_cndmask_b32_e64 v36, v36, v15, s2
	v_cndmask_b32_e64 v38, v37, v14, s2
	s_cselect_b32 s3, -1, 0
	s_cmp_eq_u32 s30, 0
	s_add_nc_u64 s[30:31], s[30:31], 1
	s_wait_alu 0xfffe
	v_cndmask_b32_e64 v37, v36, v17, s3
	v_cndmask_b32_e64 v36, v38, v16, s3
	s_cselect_b32 s4, -1, 0
	s_add_co_i32 s34, s34, 32
	s_cmp_eq_u32 s44, s30
	s_wait_loadcnt_dscnt 0x0
	v_fma_f64 v[34:35], -v[24:25], v[34:35], v[36:37]
	s_delay_alu instid0(VALU_DEP_1) | instskip(NEXT) | instid1(VALU_DEP_2)
	v_cndmask_b32_e64 v17, v17, v35, s3
	v_cndmask_b32_e64 v16, v16, v34, s3
	v_cndmask_b32_e64 v15, v15, v35, s2
	v_cndmask_b32_e64 v14, v14, v34, s2
	v_dual_cndmask_b32 v13, v13, v35 :: v_dual_cndmask_b32 v12, v12, v34
	s_wait_alu 0xfffe
	v_cndmask_b32_e64 v11, v11, v35, s4
	v_cndmask_b32_e64 v10, v10, v34, s4
	s_cbranch_scc0 .LBB68_22
; %bb.23:                               ;   in Loop: Header=BB68_21 Depth=4
	s_add_co_i32 s18, s18, 1
	s_add_co_i32 s5, s5, 8
	s_wait_alu 0xfffe
	s_cmp_eq_u32 s18, s22
	s_cbranch_scc0 .LBB68_21
.LBB68_24:                              ;   in Loop: Header=BB68_17 Depth=3
	s_mov_b64 s[30:31], 0
	s_mov_b32 s18, s45
	s_branch .LBB68_27
.LBB68_25:                              ;   in Loop: Header=BB68_27 Depth=4
	s_mov_b32 s34, s22
	s_mov_b64 s[4:5], 0
.LBB68_26:                              ;   in Loop: Header=BB68_27 Depth=4
	s_wait_alu 0xfffe
	s_mul_i32 s2, s34, 40
	s_cmp_eq_u32 s4, 1
	s_add_nc_u64 s[30:31], s[30:31], 1
	s_cselect_b32 vcc_lo, -1, 0
	s_wait_alu 0xfffe
	v_dual_mov_b32 v24, s2 :: v_dual_cndmask_b32 v35, v10, v12
	v_cndmask_b32_e32 v34, v11, v13, vcc_lo
	s_cmp_eq_u32 s4, 2
	ds_load_b64 v[24:25], v24
	s_cselect_b32 s2, -1, 0
	s_cmp_eq_u32 s4, 3
	s_wait_alu 0xfffe
	v_cndmask_b32_e64 v34, v34, v15, s2
	v_cndmask_b32_e64 v36, v35, v14, s2
	s_cselect_b32 s3, -1, 0
	s_cmp_eq_u32 s4, 0
	s_wait_alu 0xfffe
	v_cndmask_b32_e64 v35, v34, v17, s3
	v_cndmask_b32_e64 v34, v36, v16, s3
	s_cselect_b32 s4, -1, 0
	s_ashr_i32 s35, s34, 31
	s_add_co_i32 s18, s18, 32
	s_wait_alu 0xfffe
	s_lshl_b64 s[34:35], s[34:35], 3
	s_cmp_eq_u32 s30, s44
	s_wait_dscnt 0x0
	v_mul_f64_e32 v[24:25], v[34:35], v[24:25]
	s_wait_alu 0xfffe
	v_add_co_u32 v34, s5, v30, s34
	s_wait_alu 0xf1ff
	v_add_co_ci_u32_e64 v35, null, s35, v31, s5
	s_delay_alu instid0(VALU_DEP_3) | instskip(NEXT) | instid1(VALU_DEP_4)
	v_cndmask_b32_e64 v17, v17, v25, s3
	v_cndmask_b32_e64 v16, v16, v24, s3
	;; [unrolled: 1-line block ×4, first 2 shown]
	v_dual_cndmask_b32 v13, v13, v25 :: v_dual_cndmask_b32 v12, v12, v24
	v_cndmask_b32_e64 v11, v11, v25, s4
	v_cndmask_b32_e64 v10, v10, v24, s4
	flat_store_b64 v[34:35], v[24:25]
	s_cbranch_scc1 .LBB68_16
.LBB68_27:                              ;   Parent Loop BB68_5 Depth=1
                                        ;     Parent Loop BB68_14 Depth=2
                                        ;       Parent Loop BB68_17 Depth=3
                                        ; =>      This Loop Header: Depth=4
                                        ;           Child Loop BB68_29 Depth 5
	s_cmp_eq_u32 s30, 0
	s_cbranch_scc1 .LBB68_25
; %bb.28:                               ;   in Loop: Header=BB68_27 Depth=4
	s_add_co_i32 s34, s30, s22
	s_mov_b64 s[36:37], 0
	s_wait_alu 0xfffe
	s_mov_b32 s5, s18
.LBB68_29:                              ;   Parent Loop BB68_5 Depth=1
                                        ;     Parent Loop BB68_14 Depth=2
                                        ;       Parent Loop BB68_17 Depth=3
                                        ;         Parent Loop BB68_27 Depth=4
                                        ; =>        This Inner Loop Header: Depth=5
	s_cmp_eq_u32 s36, 1
	s_cselect_b32 vcc_lo, -1, 0
	s_wait_alu 0xfffe
	v_dual_mov_b32 v24, s5 :: v_dual_cndmask_b32 v35, v10, v12
	s_cmp_eq_u32 s36, 2
	v_cndmask_b32_e32 v34, v11, v13, vcc_lo
	s_cselect_b32 s2, -1, 0
	s_cmp_eq_u32 s36, 3
	ds_load_b64 v[24:25], v24
	s_cselect_b32 vcc_lo, -1, 0
	s_cmp_eq_u32 s30, 1
	s_wait_alu 0xfffe
	v_cndmask_b32_e64 v34, v34, v15, s2
	v_cndmask_b32_e64 v36, v35, v14, s2
	s_cselect_b32 s2, -1, 0
	s_cmp_eq_u32 s30, 2
	s_wait_alu 0xfffe
	v_cndmask_b32_e64 v37, v11, v13, s2
	v_cndmask_b32_e64 v38, v10, v12, s2
	s_cselect_b32 s3, -1, 0
	v_dual_cndmask_b32 v35, v34, v17 :: v_dual_cndmask_b32 v34, v36, v16
	s_wait_alu 0xfffe
	v_cndmask_b32_e64 v36, v37, v15, s3
	v_cndmask_b32_e64 v38, v38, v14, s3
	s_cmp_eq_u32 s30, 3
	s_add_nc_u64 s[36:37], s[36:37], 1
	s_cselect_b32 vcc_lo, -1, 0
	s_cmp_eq_u32 s30, 0
	s_wait_alu 0xfffe
	v_dual_cndmask_b32 v37, v36, v17 :: v_dual_cndmask_b32 v36, v38, v16
	s_cselect_b32 s4, -1, 0
	s_add_co_i32 s5, s5, 8
	s_cmp_eq_u32 s30, s36
	s_wait_dscnt 0x0
	v_fma_f64 v[24:25], -v[34:35], v[24:25], v[36:37]
	s_delay_alu instid0(VALU_DEP_1)
	v_dual_cndmask_b32 v17, v17, v25 :: v_dual_cndmask_b32 v16, v16, v24
	v_cndmask_b32_e64 v15, v15, v25, s3
	v_cndmask_b32_e64 v14, v14, v24, s3
	;; [unrolled: 1-line block ×4, first 2 shown]
	s_wait_alu 0xfffe
	v_cndmask_b32_e64 v11, v11, v25, s4
	v_cndmask_b32_e64 v10, v10, v24, s4
	s_cbranch_scc0 .LBB68_29
; %bb.30:                               ;   in Loop: Header=BB68_27 Depth=4
	s_mov_b64 s[4:5], s[30:31]
	s_branch .LBB68_26
.LBB68_31:                              ;   in Loop: Header=BB68_14 Depth=2
	s_cmp_lt_i32 s22, s38
	s_cselect_b32 s3, -1, 0
	s_add_co_i32 s2, s24, 1
	s_cmp_lt_u32 s24, 2
	s_cselect_b32 s4, -1, 0
	s_wait_alu 0xfffe
	s_and_b32 s3, s3, s4
	s_wait_alu 0xfffe
	s_and_b32 vcc_lo, exec_lo, s3
	s_wait_alu 0xfffe
	s_cbranch_vccz .LBB68_33
; %bb.32:                               ;   in Loop: Header=BB68_14 Depth=2
	s_mov_b32 s24, s2
	s_branch .LBB68_14
.LBB68_33:                              ;   in Loop: Header=BB68_5 Depth=1
	s_mov_b32 s2, 0
.LBB68_34:                              ;   in Loop: Header=BB68_5 Depth=1
	s_wait_alu 0xfffe
	s_and_b32 vcc_lo, exec_lo, s2
	s_wait_alu 0xfffe
	s_cbranch_vccz .LBB68_3
; %bb.35:                               ;   in Loop: Header=BB68_5 Depth=1
	v_add_co_u32 v12, vcc_lo, v20, v27
	s_wait_alu 0xfffd
	v_add_co_ci_u32_e64 v13, null, v21, v28, vcc_lo
	s_mov_b32 s18, 0
	s_mov_b32 s22, s39
.LBB68_36:                              ;   Parent Loop BB68_5 Depth=1
                                        ; =>  This Loop Header: Depth=2
                                        ;       Child Loop BB68_39 Depth 3
                                        ;         Child Loop BB68_40 Depth 4
                                        ;         Child Loop BB68_42 Depth 4
                                        ;           Child Loop BB68_43 Depth 5
                                        ;         Child Loop BB68_48 Depth 4
                                        ;           Child Loop BB68_50 Depth 5
	s_getpc_b64 s[2:3]
	s_wait_alu 0xfffe
	s_sext_i32_i16 s3, s3
	s_add_co_u32 s2, s2, __const._ZL30rocblas_trsm_small_left_deviceILi4ELi4ELb0EddPKPKdPKPdEv13rocblas_fill_18rocblas_operation_17rocblas_diagonal_iiT3_T4_lilT5_lili.step_sizes@rel32@lo+12
	s_wait_alu 0xfffe
	s_add_co_ci_u32 s3, s3, __const._ZL30rocblas_trsm_small_left_deviceILi4ELi4ELb0EddPKPKdPKPdEv13rocblas_fill_18rocblas_operation_17rocblas_diagonal_iiT3_T4_lilT5_lili.step_sizes@rel32@hi+24
	s_lshl_b64 s[4:5], s[18:19], 2
	s_wait_alu 0xfffe
	s_add_nc_u64 s[2:3], s[2:3], s[4:5]
	s_load_b32 s28, s[2:3], 0x0
	s_wait_kmcnt 0x0
	s_add_co_i32 s29, s28, -1
	s_wait_alu 0xfffe
	s_cmp_lt_i32 s22, s29
	s_cbranch_scc1 .LBB68_52
; %bb.37:                               ;   in Loop: Header=BB68_36 Depth=2
	s_lshl_b32 s2, s22, 3
	s_lshl_b32 s3, s28, 3
	s_max_i32 s30, s28, 1
	s_wait_alu 0xfffe
	s_add_co_i32 s31, s42, s2
	s_sub_co_i32 s34, 0, s3
	s_mul_i32 s35, s22, 40
	s_mul_i32 s36, s28, 0xffffffd8
	s_branch .LBB68_39
.LBB68_38:                              ;   in Loop: Header=BB68_39 Depth=3
	s_sub_co_i32 s22, s22, s28
	s_add_co_i32 s31, s31, s34
	s_add_co_i32 s35, s35, s36
	s_cmp_lt_i32 s22, s29
	s_cbranch_scc1 .LBB68_52
.LBB68_39:                              ;   Parent Loop BB68_5 Depth=1
                                        ;     Parent Loop BB68_36 Depth=2
                                        ; =>    This Loop Header: Depth=3
                                        ;         Child Loop BB68_40 Depth 4
                                        ;         Child Loop BB68_42 Depth 4
                                        ;           Child Loop BB68_43 Depth 5
                                        ;         Child Loop BB68_48 Depth 4
                                        ;           Child Loop BB68_50 Depth 5
	s_ashr_i32 s23, s22, 31
	s_mov_b64 s[24:25], 0
	s_lshl_b64 s[2:3], s[22:23], 3
	s_wait_alu 0xfffe
	v_add_co_u32 v10, vcc_lo, v12, s2
	s_wait_alu 0xfffd
	v_add_co_ci_u32_e64 v11, null, s3, v13, vcc_lo
.LBB68_40:                              ;   Parent Loop BB68_5 Depth=1
                                        ;     Parent Loop BB68_36 Depth=2
                                        ;       Parent Loop BB68_39 Depth=3
                                        ; =>      This Inner Loop Header: Depth=4
	flat_load_b64 v[14:15], v[10:11]
	s_cmp_eq_u32 s24, 3
	v_add_co_u32 v10, vcc_lo, v10, -8
	s_wait_alu 0xfffd
	v_add_co_ci_u32_e64 v11, null, -1, v11, vcc_lo
	s_cselect_b32 vcc_lo, -1, 0
	s_cmp_eq_u32 s24, 2
	s_cselect_b32 s2, -1, 0
	s_cmp_eq_u32 s24, 1
	s_cselect_b32 s3, -1, 0
	s_cmp_eq_u32 s24, 0
	s_add_nc_u64 s[24:25], s[24:25], 1
	s_cselect_b32 s4, -1, 0
	s_wait_alu 0xfffe
	s_cmp_eq_u32 s30, s24
	s_wait_loadcnt_dscnt 0x0
	v_mul_f64_e32 v[14:15], s[8:9], v[14:15]
	s_delay_alu instid0(VALU_DEP_1)
	v_dual_cndmask_b32 v9, v9, v15 :: v_dual_cndmask_b32 v8, v8, v14
	v_cndmask_b32_e64 v7, v7, v15, s2
	v_cndmask_b32_e64 v6, v6, v14, s2
	;; [unrolled: 1-line block ×6, first 2 shown]
	s_cbranch_scc0 .LBB68_40
; %bb.41:                               ;   in Loop: Header=BB68_39 Depth=3
	s_cmp_le_i32 s39, s22
	s_mov_b32 s5, s31
	s_mov_b32 s24, s39
	s_cbranch_scc1 .LBB68_45
.LBB68_42:                              ;   Parent Loop BB68_5 Depth=1
                                        ;     Parent Loop BB68_36 Depth=2
                                        ;       Parent Loop BB68_39 Depth=3
                                        ; =>      This Loop Header: Depth=4
                                        ;           Child Loop BB68_43 Depth 5
	s_wait_alu 0xfffe
	s_ashr_i32 s25, s24, 31
	s_mov_b64 s[26:27], 0
	s_wait_alu 0xfffe
	s_lshl_b64 s[2:3], s[24:25], 3
	s_mov_b32 s25, s5
	s_wait_alu 0xfffe
	v_add_co_u32 v10, vcc_lo, v30, s2
	s_wait_alu 0xfffd
	v_add_co_ci_u32_e64 v11, null, s3, v31, vcc_lo
	flat_load_b64 v[10:11], v[10:11]
.LBB68_43:                              ;   Parent Loop BB68_5 Depth=1
                                        ;     Parent Loop BB68_36 Depth=2
                                        ;       Parent Loop BB68_39 Depth=3
                                        ;         Parent Loop BB68_42 Depth=4
                                        ; =>        This Inner Loop Header: Depth=5
	s_cmp_eq_u32 s26, 1
	s_cselect_b32 vcc_lo, -1, 0
	s_wait_alu 0xfffe
	v_dual_mov_b32 v14, s25 :: v_dual_cndmask_b32 v17, v2, v4
	v_cndmask_b32_e32 v16, v3, v5, vcc_lo
	s_cmp_eq_u32 s26, 2
	ds_load_b64 v[14:15], v14
	s_cselect_b32 s2, -1, 0
	s_cmp_eq_u32 s26, 3
	s_wait_alu 0xfffe
	v_cndmask_b32_e64 v16, v16, v7, s2
	v_cndmask_b32_e64 v20, v17, v6, s2
	s_cselect_b32 s3, -1, 0
	s_cmp_eq_u32 s26, 0
	s_add_nc_u64 s[26:27], s[26:27], 1
	s_wait_alu 0xfffe
	v_cndmask_b32_e64 v17, v16, v9, s3
	v_cndmask_b32_e64 v16, v20, v8, s3
	s_cselect_b32 s4, -1, 0
	s_add_co_i32 s25, s25, -8
	s_cmp_eq_u32 s30, s26
	s_wait_loadcnt_dscnt 0x0
	v_fma_f64 v[14:15], -v[10:11], v[14:15], v[16:17]
	s_delay_alu instid0(VALU_DEP_1) | instskip(NEXT) | instid1(VALU_DEP_2)
	v_cndmask_b32_e64 v9, v9, v15, s3
	v_cndmask_b32_e64 v8, v8, v14, s3
	v_cndmask_b32_e64 v7, v7, v15, s2
	v_cndmask_b32_e64 v6, v6, v14, s2
	v_dual_cndmask_b32 v5, v5, v15 :: v_dual_cndmask_b32 v4, v4, v14
	s_wait_alu 0xfffe
	v_cndmask_b32_e64 v3, v3, v15, s4
	v_cndmask_b32_e64 v2, v2, v14, s4
	s_cbranch_scc0 .LBB68_43
; %bb.44:                               ;   in Loop: Header=BB68_42 Depth=4
	s_add_co_i32 s24, s24, -1
	s_sub_co_i32 s5, s5, 32
	s_wait_alu 0xfffe
	s_cmp_le_i32 s24, s22
	s_cbranch_scc0 .LBB68_42
.LBB68_45:                              ;   in Loop: Header=BB68_39 Depth=3
	s_mov_b64 s[24:25], 0
	s_mov_b32 s37, s35
	s_branch .LBB68_48
.LBB68_46:                              ;   in Loop: Header=BB68_48 Depth=4
	s_mov_b32 s2, s22
	s_mov_b64 s[4:5], 0
	s_mov_b64 s[26:27], s[22:23]
.LBB68_47:                              ;   in Loop: Header=BB68_48 Depth=4
	s_wait_alu 0xfffe
	s_mul_i32 s2, s2, 40
	s_cmp_eq_u32 s4, 1
	s_add_nc_u64 s[24:25], s[24:25], 1
	s_cselect_b32 vcc_lo, -1, 0
	s_wait_alu 0xfffe
	v_dual_mov_b32 v10, s2 :: v_dual_cndmask_b32 v15, v2, v4
	v_cndmask_b32_e32 v14, v3, v5, vcc_lo
	s_cmp_eq_u32 s4, 2
	ds_load_b64 v[10:11], v10
	s_cselect_b32 s2, -1, 0
	s_cmp_eq_u32 s4, 3
	s_wait_alu 0xfffe
	v_cndmask_b32_e64 v14, v14, v7, s2
	v_cndmask_b32_e64 v16, v15, v6, s2
	s_cselect_b32 s3, -1, 0
	s_cmp_eq_u32 s4, 0
	s_wait_alu 0xfffe
	v_cndmask_b32_e64 v15, v14, v9, s3
	v_cndmask_b32_e64 v14, v16, v8, s3
	s_cselect_b32 s4, -1, 0
	s_lshl_b64 s[26:27], s[26:27], 3
	s_add_co_i32 s37, s37, -8
	s_cmp_eq_u32 s24, s30
	s_wait_dscnt 0x0
	v_mul_f64_e32 v[10:11], v[14:15], v[10:11]
	s_wait_alu 0xfffe
	v_add_co_u32 v14, s5, v30, s26
	s_wait_alu 0xf1ff
	v_add_co_ci_u32_e64 v15, null, s27, v31, s5
	s_delay_alu instid0(VALU_DEP_3) | instskip(NEXT) | instid1(VALU_DEP_4)
	v_cndmask_b32_e64 v9, v9, v11, s3
	v_cndmask_b32_e64 v8, v8, v10, s3
	;; [unrolled: 1-line block ×4, first 2 shown]
	v_dual_cndmask_b32 v5, v5, v11 :: v_dual_cndmask_b32 v4, v4, v10
	v_cndmask_b32_e64 v3, v3, v11, s4
	v_cndmask_b32_e64 v2, v2, v10, s4
	flat_store_b64 v[14:15], v[10:11]
	s_cbranch_scc1 .LBB68_38
.LBB68_48:                              ;   Parent Loop BB68_5 Depth=1
                                        ;     Parent Loop BB68_36 Depth=2
                                        ;       Parent Loop BB68_39 Depth=3
                                        ; =>      This Loop Header: Depth=4
                                        ;           Child Loop BB68_50 Depth 5
	s_wait_alu 0xfffe
	s_cmp_eq_u32 s24, 0
	s_cbranch_scc1 .LBB68_46
; %bb.49:                               ;   in Loop: Header=BB68_48 Depth=4
	s_mov_b64 s[26:27], 0
	s_mov_b32 s5, s37
.LBB68_50:                              ;   Parent Loop BB68_5 Depth=1
                                        ;     Parent Loop BB68_36 Depth=2
                                        ;       Parent Loop BB68_39 Depth=3
                                        ;         Parent Loop BB68_48 Depth=4
                                        ; =>        This Inner Loop Header: Depth=5
	s_wait_alu 0xfffe
	s_cmp_eq_u32 s26, 1
	s_cselect_b32 vcc_lo, -1, 0
	s_wait_alu 0xfffe
	v_dual_mov_b32 v10, s5 :: v_dual_cndmask_b32 v15, v2, v4
	s_cmp_eq_u32 s26, 2
	v_cndmask_b32_e32 v14, v3, v5, vcc_lo
	s_cselect_b32 s2, -1, 0
	s_cmp_eq_u32 s26, 3
	ds_load_b64 v[10:11], v10
	s_cselect_b32 vcc_lo, -1, 0
	s_cmp_eq_u32 s24, 1
	s_wait_alu 0xfffe
	v_cndmask_b32_e64 v14, v14, v7, s2
	v_cndmask_b32_e64 v16, v15, v6, s2
	s_cselect_b32 s2, -1, 0
	s_cmp_eq_u32 s24, 2
	s_wait_alu 0xfffe
	v_cndmask_b32_e64 v17, v3, v5, s2
	v_cndmask_b32_e64 v20, v2, v4, s2
	s_cselect_b32 s3, -1, 0
	v_dual_cndmask_b32 v15, v14, v9 :: v_dual_cndmask_b32 v14, v16, v8
	s_wait_alu 0xfffe
	v_cndmask_b32_e64 v16, v17, v7, s3
	v_cndmask_b32_e64 v20, v20, v6, s3
	s_cmp_eq_u32 s24, 3
	s_add_nc_u64 s[26:27], s[26:27], 1
	s_cselect_b32 vcc_lo, -1, 0
	s_cmp_eq_u32 s24, 0
	s_wait_alu 0xfffe
	v_cndmask_b32_e32 v17, v16, v9, vcc_lo
	v_cndmask_b32_e32 v16, v20, v8, vcc_lo
	s_cselect_b32 s4, -1, 0
	s_sub_co_i32 s5, s5, 32
	s_cmp_eq_u32 s24, s26
	s_wait_dscnt 0x0
	v_fma_f64 v[10:11], -v[14:15], v[10:11], v[16:17]
	s_delay_alu instid0(VALU_DEP_1)
	v_dual_cndmask_b32 v9, v9, v11 :: v_dual_cndmask_b32 v8, v8, v10
	v_cndmask_b32_e64 v7, v7, v11, s3
	v_cndmask_b32_e64 v6, v6, v10, s3
	;; [unrolled: 1-line block ×4, first 2 shown]
	s_wait_alu 0xfffe
	v_cndmask_b32_e64 v3, v3, v11, s4
	v_cndmask_b32_e64 v2, v2, v10, s4
	s_cbranch_scc0 .LBB68_50
; %bb.51:                               ;   in Loop: Header=BB68_48 Depth=4
	s_sub_co_i32 s2, s22, s24
	s_mov_b64 s[4:5], s[24:25]
	s_wait_alu 0xfffe
	s_ashr_i32 s3, s2, 31
	s_wait_alu 0xfffe
	s_mov_b64 s[26:27], s[2:3]
	s_branch .LBB68_47
.LBB68_52:                              ;   in Loop: Header=BB68_36 Depth=2
	s_cmp_gt_i32 s22, -1
	s_cselect_b32 s3, -1, 0
	s_add_co_i32 s2, s18, 1
	s_cmp_lt_u32 s18, 2
	s_cselect_b32 s4, -1, 0
	s_wait_alu 0xfffe
	s_and_b32 s3, s3, s4
	s_wait_alu 0xfffe
	s_and_not1_b32 vcc_lo, exec_lo, s3
	s_wait_alu 0xfffe
	s_cbranch_vccnz .LBB68_2
; %bb.53:                               ;   in Loop: Header=BB68_36 Depth=2
	s_mov_b32 s18, s2
	s_branch .LBB68_36
.LBB68_54:
	s_endpgm
	.section	.rodata,"a",@progbits
	.p2align	6, 0x0
	.amdhsa_kernel _ZL30rocblas_trsm_small_left_deviceILi4ELi4ELb0EddPKPKdPKPdEv13rocblas_fill_18rocblas_operation_17rocblas_diagonal_iiT3_T4_lilT5_lili
		.amdhsa_group_segment_fixed_size 128
		.amdhsa_private_segment_fixed_size 0
		.amdhsa_kernarg_size 360
		.amdhsa_user_sgpr_count 2
		.amdhsa_user_sgpr_dispatch_ptr 0
		.amdhsa_user_sgpr_queue_ptr 0
		.amdhsa_user_sgpr_kernarg_segment_ptr 1
		.amdhsa_user_sgpr_dispatch_id 0
		.amdhsa_user_sgpr_private_segment_size 0
		.amdhsa_wavefront_size32 1
		.amdhsa_uses_dynamic_stack 0
		.amdhsa_enable_private_segment 0
		.amdhsa_system_sgpr_workgroup_id_x 1
		.amdhsa_system_sgpr_workgroup_id_y 0
		.amdhsa_system_sgpr_workgroup_id_z 1
		.amdhsa_system_sgpr_workgroup_info 0
		.amdhsa_system_vgpr_workitem_id 0
		.amdhsa_next_free_vgpr 39
		.amdhsa_next_free_sgpr 47
		.amdhsa_reserve_vcc 1
		.amdhsa_float_round_mode_32 0
		.amdhsa_float_round_mode_16_64 0
		.amdhsa_float_denorm_mode_32 3
		.amdhsa_float_denorm_mode_16_64 3
		.amdhsa_fp16_overflow 0
		.amdhsa_workgroup_processor_mode 1
		.amdhsa_memory_ordered 1
		.amdhsa_forward_progress 1
		.amdhsa_inst_pref_size 27
		.amdhsa_round_robin_scheduling 0
		.amdhsa_exception_fp_ieee_invalid_op 0
		.amdhsa_exception_fp_denorm_src 0
		.amdhsa_exception_fp_ieee_div_zero 0
		.amdhsa_exception_fp_ieee_overflow 0
		.amdhsa_exception_fp_ieee_underflow 0
		.amdhsa_exception_fp_ieee_inexact 0
		.amdhsa_exception_int_div_zero 0
	.end_amdhsa_kernel
	.section	.text._ZL30rocblas_trsm_small_left_deviceILi4ELi4ELb0EddPKPKdPKPdEv13rocblas_fill_18rocblas_operation_17rocblas_diagonal_iiT3_T4_lilT5_lili,"axG",@progbits,_ZL30rocblas_trsm_small_left_deviceILi4ELi4ELb0EddPKPKdPKPdEv13rocblas_fill_18rocblas_operation_17rocblas_diagonal_iiT3_T4_lilT5_lili,comdat
.Lfunc_end68:
	.size	_ZL30rocblas_trsm_small_left_deviceILi4ELi4ELb0EddPKPKdPKPdEv13rocblas_fill_18rocblas_operation_17rocblas_diagonal_iiT3_T4_lilT5_lili, .Lfunc_end68-_ZL30rocblas_trsm_small_left_deviceILi4ELi4ELb0EddPKPKdPKPdEv13rocblas_fill_18rocblas_operation_17rocblas_diagonal_iiT3_T4_lilT5_lili
                                        ; -- End function
	.set _ZL30rocblas_trsm_small_left_deviceILi4ELi4ELb0EddPKPKdPKPdEv13rocblas_fill_18rocblas_operation_17rocblas_diagonal_iiT3_T4_lilT5_lili.num_vgpr, 39
	.set _ZL30rocblas_trsm_small_left_deviceILi4ELi4ELb0EddPKPKdPKPdEv13rocblas_fill_18rocblas_operation_17rocblas_diagonal_iiT3_T4_lilT5_lili.num_agpr, 0
	.set _ZL30rocblas_trsm_small_left_deviceILi4ELi4ELb0EddPKPKdPKPdEv13rocblas_fill_18rocblas_operation_17rocblas_diagonal_iiT3_T4_lilT5_lili.numbered_sgpr, 47
	.set _ZL30rocblas_trsm_small_left_deviceILi4ELi4ELb0EddPKPKdPKPdEv13rocblas_fill_18rocblas_operation_17rocblas_diagonal_iiT3_T4_lilT5_lili.num_named_barrier, 0
	.set _ZL30rocblas_trsm_small_left_deviceILi4ELi4ELb0EddPKPKdPKPdEv13rocblas_fill_18rocblas_operation_17rocblas_diagonal_iiT3_T4_lilT5_lili.private_seg_size, 0
	.set _ZL30rocblas_trsm_small_left_deviceILi4ELi4ELb0EddPKPKdPKPdEv13rocblas_fill_18rocblas_operation_17rocblas_diagonal_iiT3_T4_lilT5_lili.uses_vcc, 1
	.set _ZL30rocblas_trsm_small_left_deviceILi4ELi4ELb0EddPKPKdPKPdEv13rocblas_fill_18rocblas_operation_17rocblas_diagonal_iiT3_T4_lilT5_lili.uses_flat_scratch, 0
	.set _ZL30rocblas_trsm_small_left_deviceILi4ELi4ELb0EddPKPKdPKPdEv13rocblas_fill_18rocblas_operation_17rocblas_diagonal_iiT3_T4_lilT5_lili.has_dyn_sized_stack, 0
	.set _ZL30rocblas_trsm_small_left_deviceILi4ELi4ELb0EddPKPKdPKPdEv13rocblas_fill_18rocblas_operation_17rocblas_diagonal_iiT3_T4_lilT5_lili.has_recursion, 0
	.set _ZL30rocblas_trsm_small_left_deviceILi4ELi4ELb0EddPKPKdPKPdEv13rocblas_fill_18rocblas_operation_17rocblas_diagonal_iiT3_T4_lilT5_lili.has_indirect_call, 0
	.section	.AMDGPU.csdata,"",@progbits
; Kernel info:
; codeLenInByte = 3404
; TotalNumSgprs: 49
; NumVgprs: 39
; ScratchSize: 0
; MemoryBound: 0
; FloatMode: 240
; IeeeMode: 1
; LDSByteSize: 128 bytes/workgroup (compile time only)
; SGPRBlocks: 0
; VGPRBlocks: 4
; NumSGPRsForWavesPerEU: 49
; NumVGPRsForWavesPerEU: 39
; Occupancy: 16
; WaveLimiterHint : 1
; COMPUTE_PGM_RSRC2:SCRATCH_EN: 0
; COMPUTE_PGM_RSRC2:USER_SGPR: 2
; COMPUTE_PGM_RSRC2:TRAP_HANDLER: 0
; COMPUTE_PGM_RSRC2:TGID_X_EN: 1
; COMPUTE_PGM_RSRC2:TGID_Y_EN: 0
; COMPUTE_PGM_RSRC2:TGID_Z_EN: 1
; COMPUTE_PGM_RSRC2:TIDIG_COMP_CNT: 0
	.section	.text._ZL38rocblas_trsm_small_left_device_sharedBILi4ELi4ELb1EddPKPKdPKPdEv13rocblas_fill_18rocblas_operation_17rocblas_diagonal_iiT3_T4_lilT5_lili,"axG",@progbits,_ZL38rocblas_trsm_small_left_device_sharedBILi4ELi4ELb1EddPKPKdPKPdEv13rocblas_fill_18rocblas_operation_17rocblas_diagonal_iiT3_T4_lilT5_lili,comdat
	.globl	_ZL38rocblas_trsm_small_left_device_sharedBILi4ELi4ELb1EddPKPKdPKPdEv13rocblas_fill_18rocblas_operation_17rocblas_diagonal_iiT3_T4_lilT5_lili ; -- Begin function _ZL38rocblas_trsm_small_left_device_sharedBILi4ELi4ELb1EddPKPKdPKPdEv13rocblas_fill_18rocblas_operation_17rocblas_diagonal_iiT3_T4_lilT5_lili
	.p2align	8
	.type	_ZL38rocblas_trsm_small_left_device_sharedBILi4ELi4ELb1EddPKPKdPKPdEv13rocblas_fill_18rocblas_operation_17rocblas_diagonal_iiT3_T4_lilT5_lili,@function
_ZL38rocblas_trsm_small_left_device_sharedBILi4ELi4ELb1EddPKPKdPKPdEv13rocblas_fill_18rocblas_operation_17rocblas_diagonal_iiT3_T4_lilT5_lili: ; @_ZL38rocblas_trsm_small_left_device_sharedBILi4ELi4ELb1EddPKPKdPKPdEv13rocblas_fill_18rocblas_operation_17rocblas_diagonal_iiT3_T4_lilT5_lili
; %bb.0:
	s_load_b32 s26, s[0:1], 0x60
	s_lshr_b32 s20, ttmp7, 16
	s_wait_kmcnt 0x0
	s_cmp_ge_u32 s20, s26
	s_cbranch_scc1 .LBB69_57
; %bb.1:
	s_clause 0x5
	s_load_b96 s[16:18], s[0:1], 0x28
	s_load_b32 s2, s[0:1], 0x50
	s_load_b128 s[12:15], s[0:1], 0x4
	s_load_b32 s21, s[0:1], 0x68
	s_load_b128 s[4:7], s[0:1], 0x18
	s_load_b128 s[8:11], s[0:1], 0x40
	v_dual_mov_b32 v1, 0 :: v_dual_lshlrev_b32 v22, 3, v0
	s_lshl_b32 s22, ttmp9, 2
	v_lshlrev_b32_e32 v11, 5, v0
	s_mov_b32 s19, 0
	s_delay_alu instid0(VALU_DEP_2)
	v_or_b32_e32 v23, 0x80, v22
	v_dual_mov_b32 v7, v1 :: v_dual_mov_b32 v8, v1
	v_dual_mov_b32 v2, v1 :: v_dual_mov_b32 v3, v1
	;; [unrolled: 1-line block ×3, first 2 shown]
	v_mov_b32_e32 v6, v1
	s_wait_kmcnt 0x0
	s_ashr_i32 s25, s18, 31
	s_ashr_i32 s3, s2, 31
	s_min_i32 s27, s14, 4
	s_add_co_i32 s21, s21, -1
	s_sub_co_i32 s0, s15, s22
	s_add_co_i32 s28, s27, -1
	v_mad_co_i64_i32 v[9:10], null, s2, v0, 0
	s_cmp_ge_u32 ttmp9, s21
	s_mov_b32 s24, s18
	s_cselect_b32 s1, s0, 4
	s_ashr_i32 s23, s22, 31
	s_cmp_lg_u32 s13, 0x84
	v_cmp_gt_i32_e32 vcc_lo, s1, v0
	s_cselect_b32 s29, -1, 0
	s_cmp_gt_i32 s14, 0
	v_cmp_gt_i32_e64 s0, s27, v0
	s_cselect_b32 s1, -1, 0
	s_cmp_lg_u32 s12, 0x6f
	v_lshlrev_b32_e32 v0, 3, v0
	v_lshlrev_b64_e32 v[18:19], 3, v[9:10]
	v_mov_b32_e32 v9, v8
	v_mov_b32_e32 v8, v7
	;; [unrolled: 1-line block ×4, first 2 shown]
	v_dual_mov_b32 v5, v4 :: v_dual_add_nc_u32 v24, v22, v11
	v_mov_b32_e32 v4, v3
	v_mov_b32_e32 v3, v2
	;; [unrolled: 1-line block ×3, first 2 shown]
	s_mul_u64 s[2:3], s[2:3], s[22:23]
	s_cselect_b32 s30, -1, 0
	s_lshl_b32 s33, s27, 3
	s_wait_alu 0xfffe
	s_and_b32 s31, vcc_lo, s1
	s_lshl_b64 s[12:13], s[24:25], 3
	s_add_co_i32 s33, s33, -8
	s_lshl_b64 s[14:15], s[16:17], 3
	s_lshl_b64 s[10:11], s[10:11], 3
	;; [unrolled: 1-line block ×3, first 2 shown]
	s_branch .LBB69_3
.LBB69_2:                               ;   in Loop: Header=BB69_3 Depth=1
	s_wait_alu 0xfffe
	s_or_b32 exec_lo, exec_lo, s1
	v_dual_mov_b32 v2, v10 :: v_dual_mov_b32 v3, v11
	v_dual_mov_b32 v4, v12 :: v_dual_mov_b32 v5, v13
	;; [unrolled: 1-line block ×4, first 2 shown]
	s_add_co_i32 s20, s20, 0x10000
	s_wait_alu 0xfffe
	s_cmp_lt_u32 s20, s26
	s_cbranch_scc0 .LBB69_57
.LBB69_3:                               ; =>This Loop Header: Depth=1
                                        ;     Child Loop BB69_5 Depth 2
                                        ;     Child Loop BB69_11 Depth 2
	;; [unrolled: 1-line block ×3, first 2 shown]
                                        ;       Child Loop BB69_17 Depth 3
                                        ;         Child Loop BB69_18 Depth 4
                                        ;         Child Loop BB69_20 Depth 4
                                        ;           Child Loop BB69_21 Depth 5
                                        ;         Child Loop BB69_26 Depth 4
                                        ;           Child Loop BB69_28 Depth 5
                                        ;     Child Loop BB69_35 Depth 2
                                        ;       Child Loop BB69_38 Depth 3
                                        ;         Child Loop BB69_39 Depth 4
                                        ;         Child Loop BB69_42 Depth 4
                                        ;           Child Loop BB69_43 Depth 5
                                        ;         Child Loop BB69_48 Depth 4
                                        ;           Child Loop BB69_50 Depth 5
                                        ;     Child Loop BB69_56 Depth 2
	s_mov_b32 s21, s19
	s_wait_alu 0xfffe
	s_lshl_b64 s[2:3], s[20:21], 3
	s_wait_alu 0xfffe
	s_add_nc_u64 s[22:23], s[8:9], s[2:3]
	global_load_b64 v[10:11], v1, s[22:23]
	s_and_saveexec_b32 s1, s0
	s_cbranch_execz .LBB69_9
; %bb.4:                                ;   in Loop: Header=BB69_3 Depth=1
	s_add_nc_u64 s[2:3], s[6:7], s[2:3]
	v_mov_b32_e32 v14, v22
	global_load_b64 v[12:13], v1, s[2:3]
	s_mov_b32 s2, s27
	s_wait_loadcnt 0x0
	v_add_co_u32 v12, vcc_lo, v12, s14
	s_wait_alu 0xfffd
	v_add_co_ci_u32_e64 v13, null, s15, v13, vcc_lo
	s_delay_alu instid0(VALU_DEP_2) | instskip(SKIP_1) | instid1(VALU_DEP_2)
	v_add_co_u32 v12, vcc_lo, v12, v0
	s_wait_alu 0xfffd
	v_add_co_ci_u32_e64 v13, null, 0, v13, vcc_lo
.LBB69_5:                               ;   Parent Loop BB69_3 Depth=1
                                        ; =>  This Inner Loop Header: Depth=2
	flat_load_b64 v[15:16], v[12:13]
	v_add_co_u32 v12, vcc_lo, v12, s12
	s_wait_alu 0xfffd
	v_add_co_ci_u32_e64 v13, null, s13, v13, vcc_lo
	s_wait_alu 0xfffe
	s_add_co_i32 s2, s2, -1
	s_wait_alu 0xfffe
	s_cmp_eq_u32 s2, 0
	s_wait_loadcnt_dscnt 0x0
	ds_store_b64 v14, v[15:16]
	v_add_nc_u32_e32 v14, 32, v14
	s_cbranch_scc0 .LBB69_5
; %bb.6:                                ;   in Loop: Header=BB69_3 Depth=1
	v_mov_b32_e32 v12, 0
	v_mov_b32_e32 v13, 0x3ff00000
	s_and_b32 vcc_lo, exec_lo, s29
	s_wait_alu 0xfffe
	s_cbranch_vccz .LBB69_8
; %bb.7:                                ;   in Loop: Header=BB69_3 Depth=1
	ds_load_b64 v[12:13], v24
	s_wait_dscnt 0x0
	v_div_scale_f64 v[14:15], null, v[12:13], v[12:13], 1.0
	s_delay_alu instid0(VALU_DEP_1) | instskip(NEXT) | instid1(TRANS32_DEP_1)
	v_rcp_f64_e32 v[16:17], v[14:15]
	v_fma_f64 v[20:21], -v[14:15], v[16:17], 1.0
	s_delay_alu instid0(VALU_DEP_1) | instskip(NEXT) | instid1(VALU_DEP_1)
	v_fma_f64 v[16:17], v[16:17], v[20:21], v[16:17]
	v_fma_f64 v[20:21], -v[14:15], v[16:17], 1.0
	s_delay_alu instid0(VALU_DEP_1) | instskip(SKIP_1) | instid1(VALU_DEP_1)
	v_fma_f64 v[16:17], v[16:17], v[20:21], v[16:17]
	v_div_scale_f64 v[20:21], vcc_lo, 1.0, v[12:13], 1.0
	v_mul_f64_e32 v[25:26], v[20:21], v[16:17]
	s_delay_alu instid0(VALU_DEP_1) | instskip(SKIP_1) | instid1(VALU_DEP_1)
	v_fma_f64 v[14:15], -v[14:15], v[25:26], v[20:21]
	s_wait_alu 0xfffd
	v_div_fmas_f64 v[14:15], v[14:15], v[16:17], v[25:26]
	s_delay_alu instid0(VALU_DEP_1)
	v_div_fixup_f64 v[12:13], v[14:15], v[12:13], 1.0
.LBB69_8:                               ;   in Loop: Header=BB69_3 Depth=1
	ds_store_b64 v24, v[12:13]
.LBB69_9:                               ;   in Loop: Header=BB69_3 Depth=1
	s_wait_alu 0xfffe
	s_or_b32 exec_lo, exec_lo, s1
	s_wait_loadcnt 0x0
	v_add_co_u32 v10, vcc_lo, v10, s10
	s_wait_alu 0xfffd
	v_add_co_ci_u32_e64 v11, null, s11, v11, vcc_lo
	s_delay_alu instid0(VALU_DEP_2) | instskip(SKIP_1) | instid1(VALU_DEP_2)
	v_add_co_u32 v25, vcc_lo, v10, s16
	s_wait_alu 0xfffd
	v_add_co_ci_u32_e64 v26, null, s17, v11, vcc_lo
	s_and_saveexec_b32 s1, s31
	s_cbranch_execz .LBB69_12
; %bb.10:                               ;   in Loop: Header=BB69_3 Depth=1
	v_add_co_u32 v10, vcc_lo, v25, v18
	s_wait_alu 0xfffd
	v_add_co_ci_u32_e64 v11, null, v26, v19, vcc_lo
	v_mov_b32_e32 v12, v23
	s_mov_b32 s2, s27
.LBB69_11:                              ;   Parent Loop BB69_3 Depth=1
                                        ; =>  This Inner Loop Header: Depth=2
	flat_load_b64 v[13:14], v[10:11]
	v_add_co_u32 v10, vcc_lo, v10, 8
	s_wait_alu 0xfffd
	v_add_co_ci_u32_e64 v11, null, 0, v11, vcc_lo
	s_wait_alu 0xfffe
	s_add_co_i32 s2, s2, -1
	s_wait_alu 0xfffe
	s_cmp_lg_u32 s2, 0
	s_wait_loadcnt_dscnt 0x0
	v_mul_f64_e32 v[13:14], s[4:5], v[13:14]
	ds_store_b64 v12, v[13:14]
	v_add_nc_u32_e32 v12, 32, v12
	s_cbranch_scc1 .LBB69_11
.LBB69_12:                              ;   in Loop: Header=BB69_3 Depth=1
	s_wait_alu 0xfffe
	s_or_b32 exec_lo, exec_lo, s1
	s_delay_alu instid0(SALU_CYCLE_1)
	s_and_not1_b32 vcc_lo, exec_lo, s30
	s_mov_b32 s1, -1
	s_wait_dscnt 0x0
	; wave barrier
	global_inv scope:SCOPE_SE
                                        ; implicit-def: $vgpr10_vgpr11_vgpr12_vgpr13_vgpr14_vgpr15_vgpr16_vgpr17
	s_wait_alu 0xfffe
	s_cbranch_vccnz .LBB69_33
; %bb.13:                               ;   in Loop: Header=BB69_3 Depth=1
	v_dual_mov_b32 v17, v9 :: v_dual_mov_b32 v16, v8
	v_dual_mov_b32 v15, v7 :: v_dual_mov_b32 v14, v6
	;; [unrolled: 1-line block ×4, first 2 shown]
	s_mov_b32 s18, 0
	s_mov_b32 s21, s28
.LBB69_14:                              ;   Parent Loop BB69_3 Depth=1
                                        ; =>  This Loop Header: Depth=2
                                        ;       Child Loop BB69_17 Depth 3
                                        ;         Child Loop BB69_18 Depth 4
                                        ;         Child Loop BB69_20 Depth 4
                                        ;           Child Loop BB69_21 Depth 5
                                        ;         Child Loop BB69_26 Depth 4
                                        ;           Child Loop BB69_28 Depth 5
	s_getpc_b64 s[2:3]
	s_wait_alu 0xfffe
	s_sext_i32_i16 s3, s3
	s_add_co_u32 s2, s2, __const._ZL38rocblas_trsm_small_left_device_sharedBILi4ELi4ELb1EddPKPKdPKPdEv13rocblas_fill_18rocblas_operation_17rocblas_diagonal_iiT3_T4_lilT5_lili.step_sizes@rel32@lo+12
	s_wait_alu 0xfffe
	s_add_co_ci_u32 s3, s3, __const._ZL38rocblas_trsm_small_left_device_sharedBILi4ELi4ELb1EddPKPKdPKPdEv13rocblas_fill_18rocblas_operation_17rocblas_diagonal_iiT3_T4_lilT5_lili.step_sizes@rel32@hi+24
	s_lshl_b64 s[22:23], s[18:19], 2
	s_wait_alu 0xfffe
	s_add_nc_u64 s[2:3], s[2:3], s[22:23]
	s_load_b32 s34, s[2:3], 0x0
	s_wait_kmcnt 0x0
	s_add_co_i32 s35, s34, -1
	s_delay_alu instid0(SALU_CYCLE_1)
	s_cmp_lt_i32 s21, s35
	s_cbranch_scc1 .LBB69_30
; %bb.15:                               ;   in Loop: Header=BB69_14 Depth=2
	s_lshl_b32 s1, s21, 5
	s_lshl_b32 s2, s34, 5
	s_wait_alu 0xfffe
	v_add_nc_u32_e32 v27, s1, v23
	s_max_i32 s36, s34, 1
	s_sub_co_i32 s37, 0, s2
	s_add_co_i32 s38, s33, s1
	s_mul_i32 s39, s21, 40
	s_mul_i32 s40, s34, 0xffffffd8
	s_branch .LBB69_17
.LBB69_16:                              ;   in Loop: Header=BB69_17 Depth=3
	v_add_nc_u32_e32 v27, s37, v27
	s_sub_co_i32 s21, s21, s34
	s_add_co_i32 s38, s38, s37
	s_add_co_i32 s39, s39, s40
	s_wait_alu 0xfffe
	s_cmp_lt_i32 s21, s35
	s_cbranch_scc1 .LBB69_30
.LBB69_17:                              ;   Parent Loop BB69_3 Depth=1
                                        ;     Parent Loop BB69_14 Depth=2
                                        ; =>    This Loop Header: Depth=3
                                        ;         Child Loop BB69_18 Depth 4
                                        ;         Child Loop BB69_20 Depth 4
                                        ;           Child Loop BB69_21 Depth 5
                                        ;         Child Loop BB69_26 Depth 4
                                        ;           Child Loop BB69_28 Depth 5
	v_mov_b32_e32 v20, v27
	s_mov_b64 s[22:23], 0
.LBB69_18:                              ;   Parent Loop BB69_3 Depth=1
                                        ;     Parent Loop BB69_14 Depth=2
                                        ;       Parent Loop BB69_17 Depth=3
                                        ; =>      This Inner Loop Header: Depth=4
	ds_load_b64 v[28:29], v20
	s_cmp_eq_u32 s22, 3
	v_subrev_nc_u32_e32 v20, 32, v20
	s_cselect_b32 vcc_lo, -1, 0
	s_cmp_eq_u32 s22, 2
	s_cselect_b32 s1, -1, 0
	s_cmp_eq_u32 s22, 1
	s_cselect_b32 s2, -1, 0
	s_cmp_eq_u32 s22, 0
	s_add_nc_u64 s[22:23], s[22:23], 1
	s_cselect_b32 s3, -1, 0
	s_wait_alu 0xfffe
	s_cmp_eq_u32 s36, s22
	s_wait_dscnt 0x0
	v_dual_cndmask_b32 v17, v17, v29 :: v_dual_cndmask_b32 v16, v16, v28
	v_cndmask_b32_e64 v15, v15, v29, s1
	v_cndmask_b32_e64 v14, v14, v28, s1
	;; [unrolled: 1-line block ×6, first 2 shown]
	s_cbranch_scc0 .LBB69_18
; %bb.19:                               ;   in Loop: Header=BB69_17 Depth=3
	s_cmp_le_i32 s28, s21
	s_mov_b32 s24, s38
	s_mov_b32 s25, s28
	s_cbranch_scc1 .LBB69_23
.LBB69_20:                              ;   Parent Loop BB69_3 Depth=1
                                        ;     Parent Loop BB69_14 Depth=2
                                        ;       Parent Loop BB69_17 Depth=3
                                        ; =>      This Loop Header: Depth=4
                                        ;           Child Loop BB69_21 Depth 5
	s_wait_alu 0xfffe
	v_lshl_add_u32 v20, s25, 5, v23
	s_mov_b64 s[22:23], 0
	s_mov_b32 s41, s24
	ds_load_b64 v[20:21], v20
.LBB69_21:                              ;   Parent Loop BB69_3 Depth=1
                                        ;     Parent Loop BB69_14 Depth=2
                                        ;       Parent Loop BB69_17 Depth=3
                                        ;         Parent Loop BB69_20 Depth=4
                                        ; =>        This Inner Loop Header: Depth=5
	s_cmp_eq_u32 s22, 1
	s_cselect_b32 vcc_lo, -1, 0
	s_wait_alu 0xfffe
	v_dual_mov_b32 v28, s41 :: v_dual_cndmask_b32 v31, v10, v12
	v_cndmask_b32_e32 v30, v11, v13, vcc_lo
	s_cmp_eq_u32 s22, 2
	ds_load_b64 v[28:29], v28
	s_cselect_b32 s1, -1, 0
	s_cmp_eq_u32 s22, 3
	s_wait_alu 0xfffe
	v_cndmask_b32_e64 v30, v30, v15, s1
	v_cndmask_b32_e64 v32, v31, v14, s1
	s_cselect_b32 s2, -1, 0
	s_cmp_eq_u32 s22, 0
	s_add_nc_u64 s[22:23], s[22:23], 1
	s_wait_alu 0xfffe
	v_cndmask_b32_e64 v31, v30, v17, s2
	v_cndmask_b32_e64 v30, v32, v16, s2
	s_cselect_b32 s3, -1, 0
	s_sub_co_i32 s41, s41, 32
	s_cmp_eq_u32 s36, s22
	s_wait_dscnt 0x0
	v_fma_f64 v[28:29], -v[20:21], v[28:29], v[30:31]
	s_delay_alu instid0(VALU_DEP_1) | instskip(NEXT) | instid1(VALU_DEP_2)
	v_cndmask_b32_e64 v17, v17, v29, s2
	v_cndmask_b32_e64 v16, v16, v28, s2
	;; [unrolled: 1-line block ×4, first 2 shown]
	v_dual_cndmask_b32 v13, v13, v29 :: v_dual_cndmask_b32 v12, v12, v28
	s_wait_alu 0xfffe
	v_cndmask_b32_e64 v11, v11, v29, s3
	v_cndmask_b32_e64 v10, v10, v28, s3
	s_cbranch_scc0 .LBB69_21
; %bb.22:                               ;   in Loop: Header=BB69_20 Depth=4
	s_add_co_i32 s25, s25, -1
	s_add_co_i32 s24, s24, -8
	s_wait_alu 0xfffe
	s_cmp_le_i32 s25, s21
	s_cbranch_scc0 .LBB69_20
.LBB69_23:                              ;   in Loop: Header=BB69_17 Depth=3
	s_lshl_b32 s41, s21, 5
	s_mov_b64 s[22:23], 0
	s_mov_b32 s42, s39
	s_branch .LBB69_26
.LBB69_24:                              ;   in Loop: Header=BB69_26 Depth=4
	s_mov_b32 s44, s21
	s_mov_b64 s[24:25], 0
	s_wait_alu 0xfffe
	s_mov_b32 s43, s41
.LBB69_25:                              ;   in Loop: Header=BB69_26 Depth=4
	s_mul_i32 s1, s44, 40
	s_wait_alu 0xfffe
	s_cmp_eq_u32 s24, 1
	s_add_nc_u64 s[22:23], s[22:23], 1
	s_cselect_b32 vcc_lo, -1, 0
	s_wait_alu 0xfffe
	v_dual_mov_b32 v20, s1 :: v_dual_cndmask_b32 v29, v10, v12
	v_cndmask_b32_e32 v28, v11, v13, vcc_lo
	s_cmp_eq_u32 s24, 2
	ds_load_b64 v[20:21], v20
	s_cselect_b32 s1, -1, 0
	s_cmp_eq_u32 s24, 3
	s_wait_alu 0xfffe
	v_cndmask_b32_e64 v28, v28, v15, s1
	v_cndmask_b32_e64 v30, v29, v14, s1
	s_cselect_b32 s2, -1, 0
	s_cmp_eq_u32 s24, 0
	s_wait_alu 0xfffe
	v_cndmask_b32_e64 v29, v28, v17, s2
	v_cndmask_b32_e64 v28, v30, v16, s2
	s_wait_dscnt 0x0
	s_delay_alu instid0(VALU_DEP_1) | instskip(NEXT) | instid1(VALU_DEP_1)
	v_mul_f64_e32 v[20:21], v[28:29], v[20:21]
	v_dual_cndmask_b32 v13, v13, v21 :: v_dual_add_nc_u32 v28, s43, v23
	s_delay_alu instid0(VALU_DEP_2)
	v_cndmask_b32_e32 v12, v12, v20, vcc_lo
	s_cselect_b32 vcc_lo, -1, 0
	v_cndmask_b32_e64 v17, v17, v21, s2
	v_cndmask_b32_e64 v16, v16, v20, s2
	;; [unrolled: 1-line block ×4, first 2 shown]
	s_wait_alu 0xfffe
	v_dual_cndmask_b32 v11, v11, v21 :: v_dual_cndmask_b32 v10, v10, v20
	s_sub_co_i32 s42, s42, 32
	s_cmp_eq_u32 s22, s36
	ds_store_b64 v28, v[20:21]
	s_cbranch_scc1 .LBB69_16
.LBB69_26:                              ;   Parent Loop BB69_3 Depth=1
                                        ;     Parent Loop BB69_14 Depth=2
                                        ;       Parent Loop BB69_17 Depth=3
                                        ; =>      This Loop Header: Depth=4
                                        ;           Child Loop BB69_28 Depth 5
	s_cmp_eq_u32 s22, 0
	s_cbranch_scc1 .LBB69_24
; %bb.27:                               ;   in Loop: Header=BB69_26 Depth=4
	s_sub_co_i32 s44, s21, s22
	s_mov_b64 s[24:25], 0
	s_wait_alu 0xfffe
	s_lshl_b32 s43, s44, 5
	s_mov_b32 s45, s42
.LBB69_28:                              ;   Parent Loop BB69_3 Depth=1
                                        ;     Parent Loop BB69_14 Depth=2
                                        ;       Parent Loop BB69_17 Depth=3
                                        ;         Parent Loop BB69_26 Depth=4
                                        ; =>        This Inner Loop Header: Depth=5
	s_cmp_eq_u32 s24, 1
	s_cselect_b32 vcc_lo, -1, 0
	s_wait_alu 0xfffe
	v_dual_mov_b32 v20, s45 :: v_dual_cndmask_b32 v29, v10, v12
	s_cmp_eq_u32 s24, 2
	v_cndmask_b32_e32 v28, v11, v13, vcc_lo
	s_cselect_b32 s1, -1, 0
	s_cmp_eq_u32 s24, 3
	ds_load_b64 v[20:21], v20
	s_cselect_b32 vcc_lo, -1, 0
	s_cmp_eq_u32 s22, 1
	s_wait_alu 0xfffe
	v_cndmask_b32_e64 v28, v28, v15, s1
	v_cndmask_b32_e64 v30, v29, v14, s1
	s_cselect_b32 s1, -1, 0
	s_cmp_eq_u32 s22, 2
	s_wait_alu 0xfffe
	v_cndmask_b32_e64 v31, v11, v13, s1
	v_cndmask_b32_e64 v32, v10, v12, s1
	s_cselect_b32 s2, -1, 0
	v_dual_cndmask_b32 v29, v28, v17 :: v_dual_cndmask_b32 v28, v30, v16
	s_wait_alu 0xfffe
	v_cndmask_b32_e64 v30, v31, v15, s2
	v_cndmask_b32_e64 v32, v32, v14, s2
	s_cmp_eq_u32 s22, 3
	s_add_nc_u64 s[24:25], s[24:25], 1
	s_cselect_b32 vcc_lo, -1, 0
	s_cmp_eq_u32 s22, 0
	s_wait_alu 0xfffe
	v_dual_cndmask_b32 v31, v30, v17 :: v_dual_cndmask_b32 v30, v32, v16
	s_cselect_b32 s3, -1, 0
	s_add_co_i32 s45, s45, -8
	s_cmp_eq_u32 s22, s24
	s_wait_dscnt 0x0
	v_fma_f64 v[20:21], -v[28:29], v[20:21], v[30:31]
	s_delay_alu instid0(VALU_DEP_1)
	v_dual_cndmask_b32 v17, v17, v21 :: v_dual_cndmask_b32 v16, v16, v20
	v_cndmask_b32_e64 v15, v15, v21, s2
	v_cndmask_b32_e64 v14, v14, v20, s2
	;; [unrolled: 1-line block ×4, first 2 shown]
	s_wait_alu 0xfffe
	v_cndmask_b32_e64 v11, v11, v21, s3
	v_cndmask_b32_e64 v10, v10, v20, s3
	s_cbranch_scc0 .LBB69_28
; %bb.29:                               ;   in Loop: Header=BB69_26 Depth=4
	s_mov_b64 s[24:25], s[22:23]
	s_branch .LBB69_25
.LBB69_30:                              ;   in Loop: Header=BB69_14 Depth=2
	s_cmp_gt_i32 s21, -1
	s_cselect_b32 s2, -1, 0
	s_add_co_i32 s1, s18, 1
	s_cmp_lt_u32 s18, 2
	s_cselect_b32 s3, -1, 0
	s_wait_alu 0xfffe
	s_and_b32 s2, s2, s3
	s_wait_alu 0xfffe
	s_and_b32 vcc_lo, exec_lo, s2
	s_wait_alu 0xfffe
	s_cbranch_vccz .LBB69_32
; %bb.31:                               ;   in Loop: Header=BB69_14 Depth=2
	s_mov_b32 s18, s1
	s_branch .LBB69_14
.LBB69_32:                              ;   in Loop: Header=BB69_3 Depth=1
	s_mov_b32 s1, 0
.LBB69_33:                              ;   in Loop: Header=BB69_3 Depth=1
	s_wait_alu 0xfffe
	s_and_b32 vcc_lo, exec_lo, s1
	s_wait_alu 0xfffe
	s_cbranch_vccz .LBB69_54
; %bb.34:                               ;   in Loop: Header=BB69_3 Depth=1
	s_mov_b32 s21, 0
	s_wait_alu 0xfffe
	s_mov_b32 s18, s21
.LBB69_35:                              ;   Parent Loop BB69_3 Depth=1
                                        ; =>  This Loop Header: Depth=2
                                        ;       Child Loop BB69_38 Depth 3
                                        ;         Child Loop BB69_39 Depth 4
                                        ;         Child Loop BB69_42 Depth 4
                                        ;           Child Loop BB69_43 Depth 5
                                        ;         Child Loop BB69_48 Depth 4
                                        ;           Child Loop BB69_50 Depth 5
	s_getpc_b64 s[2:3]
	s_wait_alu 0xfffe
	s_sext_i32_i16 s3, s3
	s_add_co_u32 s2, s2, __const._ZL38rocblas_trsm_small_left_device_sharedBILi4ELi4ELb1EddPKPKdPKPdEv13rocblas_fill_18rocblas_operation_17rocblas_diagonal_iiT3_T4_lilT5_lili.step_sizes@rel32@lo+12
	s_wait_alu 0xfffe
	s_add_co_ci_u32 s3, s3, __const._ZL38rocblas_trsm_small_left_device_sharedBILi4ELi4ELb1EddPKPKdPKPdEv13rocblas_fill_18rocblas_operation_17rocblas_diagonal_iiT3_T4_lilT5_lili.step_sizes@rel32@hi+24
	s_lshl_b64 s[22:23], s[18:19], 2
	s_wait_alu 0xfffe
	s_add_nc_u64 s[2:3], s[2:3], s[22:23]
	s_load_b32 s34, s[2:3], 0x0
	s_wait_kmcnt 0x0
	s_add_co_i32 s35, s34, -1
	s_delay_alu instid0(SALU_CYCLE_1)
	s_add_co_i32 s1, s35, s21
	s_wait_alu 0xfffe
	s_cmp_ge_i32 s1, s27
	s_cbranch_scc1 .LBB69_51
; %bb.36:                               ;   in Loop: Header=BB69_35 Depth=2
	v_lshl_add_u32 v12, s21, 5, v23
	s_max_i32 s36, s34, 1
	s_lshl_b32 s37, s34, 5
	s_lshl_b32 s38, s21, 3
	;; [unrolled: 1-line block ×3, first 2 shown]
	s_mul_i32 s40, s21, 40
	s_mul_i32 s41, s34, 40
	s_branch .LBB69_38
.LBB69_37:                              ;   in Loop: Header=BB69_38 Depth=3
	s_add_co_i32 s21, s21, s34
	v_add_nc_u32_e32 v12, s37, v12
	s_wait_alu 0xfffe
	s_add_co_i32 s1, s35, s21
	s_add_co_i32 s38, s38, s39
	;; [unrolled: 1-line block ×3, first 2 shown]
	s_wait_alu 0xfffe
	s_cmp_ge_i32 s1, s27
	s_cbranch_scc1 .LBB69_51
.LBB69_38:                              ;   Parent Loop BB69_3 Depth=1
                                        ;     Parent Loop BB69_35 Depth=2
                                        ; =>    This Loop Header: Depth=3
                                        ;         Child Loop BB69_39 Depth 4
                                        ;         Child Loop BB69_42 Depth 4
                                        ;           Child Loop BB69_43 Depth 5
                                        ;         Child Loop BB69_48 Depth 4
                                        ;           Child Loop BB69_50 Depth 5
	v_mov_b32_e32 v10, v12
	s_mov_b64 s[22:23], 0
.LBB69_39:                              ;   Parent Loop BB69_3 Depth=1
                                        ;     Parent Loop BB69_35 Depth=2
                                        ;       Parent Loop BB69_38 Depth=3
                                        ; =>      This Inner Loop Header: Depth=4
	ds_load_b64 v[13:14], v10
	s_cmp_eq_u32 s22, 3
	v_add_nc_u32_e32 v10, 32, v10
	s_cselect_b32 vcc_lo, -1, 0
	s_cmp_eq_u32 s22, 2
	s_cselect_b32 s1, -1, 0
	s_cmp_eq_u32 s22, 1
	s_cselect_b32 s2, -1, 0
	s_cmp_eq_u32 s22, 0
	s_add_nc_u64 s[22:23], s[22:23], 1
	s_cselect_b32 s3, -1, 0
	s_wait_alu 0xfffe
	s_cmp_eq_u32 s36, s22
	s_wait_dscnt 0x0
	v_dual_cndmask_b32 v9, v9, v14 :: v_dual_cndmask_b32 v8, v8, v13
	v_cndmask_b32_e64 v7, v7, v14, s1
	v_cndmask_b32_e64 v6, v6, v13, s1
	;; [unrolled: 1-line block ×6, first 2 shown]
	s_cbranch_scc0 .LBB69_39
; %bb.40:                               ;   in Loop: Header=BB69_38 Depth=3
	s_cmp_lt_i32 s21, 1
	s_cbranch_scc1 .LBB69_45
; %bb.41:                               ;   in Loop: Header=BB69_38 Depth=3
	s_mov_b32 s24, 0
	s_mov_b32 s25, s38
.LBB69_42:                              ;   Parent Loop BB69_3 Depth=1
                                        ;     Parent Loop BB69_35 Depth=2
                                        ;       Parent Loop BB69_38 Depth=3
                                        ; =>      This Loop Header: Depth=4
                                        ;           Child Loop BB69_43 Depth 5
	s_wait_alu 0xfffe
	v_lshl_add_u32 v10, s24, 5, v23
	s_mov_b64 s[22:23], 0
	s_mov_b32 s42, s25
	ds_load_b64 v[10:11], v10
.LBB69_43:                              ;   Parent Loop BB69_3 Depth=1
                                        ;     Parent Loop BB69_35 Depth=2
                                        ;       Parent Loop BB69_38 Depth=3
                                        ;         Parent Loop BB69_42 Depth=4
                                        ; =>        This Inner Loop Header: Depth=5
	s_cmp_eq_u32 s22, 1
	s_cselect_b32 vcc_lo, -1, 0
	s_wait_alu 0xfffe
	v_dual_mov_b32 v13, s42 :: v_dual_cndmask_b32 v16, v2, v4
	v_cndmask_b32_e32 v15, v3, v5, vcc_lo
	s_cmp_eq_u32 s22, 2
	ds_load_b64 v[13:14], v13
	s_cselect_b32 s1, -1, 0
	s_cmp_eq_u32 s22, 3
	s_wait_alu 0xfffe
	v_cndmask_b32_e64 v15, v15, v7, s1
	v_cndmask_b32_e64 v17, v16, v6, s1
	s_cselect_b32 s2, -1, 0
	s_cmp_eq_u32 s22, 0
	s_add_nc_u64 s[22:23], s[22:23], 1
	s_wait_alu 0xfffe
	v_cndmask_b32_e64 v16, v15, v9, s2
	v_cndmask_b32_e64 v15, v17, v8, s2
	s_cselect_b32 s3, -1, 0
	s_add_co_i32 s42, s42, 8
	s_cmp_eq_u32 s36, s22
	s_wait_dscnt 0x0
	v_fma_f64 v[13:14], -v[10:11], v[13:14], v[15:16]
	s_delay_alu instid0(VALU_DEP_1) | instskip(NEXT) | instid1(VALU_DEP_2)
	v_cndmask_b32_e64 v9, v9, v14, s2
	v_cndmask_b32_e64 v8, v8, v13, s2
	v_cndmask_b32_e64 v7, v7, v14, s1
	v_cndmask_b32_e64 v6, v6, v13, s1
	v_dual_cndmask_b32 v5, v5, v14 :: v_dual_cndmask_b32 v4, v4, v13
	s_wait_alu 0xfffe
	v_cndmask_b32_e64 v3, v3, v14, s3
	v_cndmask_b32_e64 v2, v2, v13, s3
	s_cbranch_scc0 .LBB69_43
; %bb.44:                               ;   in Loop: Header=BB69_42 Depth=4
	s_add_co_i32 s24, s24, 1
	s_add_co_i32 s25, s25, 32
	s_wait_alu 0xfffe
	s_cmp_eq_u32 s24, s21
	s_cbranch_scc0 .LBB69_42
.LBB69_45:                              ;   in Loop: Header=BB69_38 Depth=3
	s_mov_b64 s[22:23], 0
	s_mov_b32 s42, s40
	s_branch .LBB69_48
.LBB69_46:                              ;   in Loop: Header=BB69_48 Depth=4
	s_mov_b64 s[24:25], s[22:23]
.LBB69_47:                              ;   in Loop: Header=BB69_48 Depth=4
	s_add_co_i32 s3, s22, s21
	s_wait_alu 0xfffe
	s_cmp_eq_u32 s24, 1
	s_mul_i32 s1, s3, 40
	s_cselect_b32 vcc_lo, -1, 0
	s_wait_alu 0xfffe
	v_dual_mov_b32 v10, s1 :: v_dual_cndmask_b32 v13, v3, v5
	v_cndmask_b32_e32 v14, v2, v4, vcc_lo
	s_cmp_eq_u32 s24, 2
	s_add_nc_u64 s[22:23], s[22:23], 1
	ds_load_b64 v[10:11], v10
	s_cselect_b32 s1, -1, 0
	s_cmp_eq_u32 s24, 3
	s_wait_alu 0xfffe
	v_cndmask_b32_e64 v13, v13, v7, s1
	v_cndmask_b32_e64 v15, v14, v6, s1
	s_cselect_b32 s2, -1, 0
	s_cmp_eq_u32 s24, 0
	s_wait_alu 0xfffe
	v_cndmask_b32_e64 v14, v13, v9, s2
	v_cndmask_b32_e64 v13, v15, v8, s2
	s_wait_dscnt 0x0
	s_delay_alu instid0(VALU_DEP_1) | instskip(SKIP_1) | instid1(VALU_DEP_2)
	v_mul_f64_e32 v[10:11], v[13:14], v[10:11]
	v_lshl_add_u32 v13, s3, 5, v23
	v_dual_cndmask_b32 v5, v5, v11 :: v_dual_cndmask_b32 v4, v4, v10
	s_cselect_b32 vcc_lo, -1, 0
	v_cndmask_b32_e64 v9, v9, v11, s2
	v_cndmask_b32_e64 v8, v8, v10, s2
	;; [unrolled: 1-line block ×4, first 2 shown]
	s_wait_alu 0xfffe
	v_dual_cndmask_b32 v3, v3, v11 :: v_dual_cndmask_b32 v2, v2, v10
	s_add_co_i32 s42, s42, 8
	s_cmp_eq_u32 s22, s36
	ds_store_b64 v13, v[10:11]
	s_cbranch_scc1 .LBB69_37
.LBB69_48:                              ;   Parent Loop BB69_3 Depth=1
                                        ;     Parent Loop BB69_35 Depth=2
                                        ;       Parent Loop BB69_38 Depth=3
                                        ; =>      This Loop Header: Depth=4
                                        ;           Child Loop BB69_50 Depth 5
	s_mov_b64 s[24:25], 0
	s_cmp_eq_u32 s22, 0
	s_cbranch_scc1 .LBB69_47
; %bb.49:                               ;   in Loop: Header=BB69_48 Depth=4
	s_wait_alu 0xfffe
	s_mov_b32 s43, s42
.LBB69_50:                              ;   Parent Loop BB69_3 Depth=1
                                        ;     Parent Loop BB69_35 Depth=2
                                        ;       Parent Loop BB69_38 Depth=3
                                        ;         Parent Loop BB69_48 Depth=4
                                        ; =>        This Inner Loop Header: Depth=5
	s_cmp_eq_u32 s24, 1
	s_cselect_b32 vcc_lo, -1, 0
	s_wait_alu 0xfffe
	v_dual_mov_b32 v10, s43 :: v_dual_cndmask_b32 v13, v3, v5
	s_cmp_eq_u32 s24, 2
	v_cndmask_b32_e32 v14, v2, v4, vcc_lo
	s_cselect_b32 s1, -1, 0
	s_cmp_eq_u32 s24, 3
	ds_load_b64 v[10:11], v10
	s_cselect_b32 vcc_lo, -1, 0
	s_cmp_eq_u32 s22, 1
	s_wait_alu 0xfffe
	v_cndmask_b32_e64 v13, v13, v7, s1
	v_cndmask_b32_e64 v15, v14, v6, s1
	s_cselect_b32 s1, -1, 0
	s_cmp_eq_u32 s22, 2
	s_wait_alu 0xfffe
	v_cndmask_b32_e64 v16, v3, v5, s1
	v_cndmask_b32_e64 v17, v2, v4, s1
	s_cselect_b32 s2, -1, 0
	v_dual_cndmask_b32 v14, v13, v9 :: v_dual_cndmask_b32 v13, v15, v8
	s_wait_alu 0xfffe
	v_cndmask_b32_e64 v15, v16, v7, s2
	v_cndmask_b32_e64 v17, v17, v6, s2
	s_cmp_eq_u32 s22, 3
	s_add_nc_u64 s[24:25], s[24:25], 1
	s_cselect_b32 vcc_lo, -1, 0
	s_cmp_eq_u32 s22, 0
	s_wait_alu 0xfffe
	v_dual_cndmask_b32 v16, v15, v9 :: v_dual_cndmask_b32 v15, v17, v8
	s_cselect_b32 s3, -1, 0
	s_add_co_i32 s43, s43, 32
	s_cmp_eq_u32 s22, s24
	s_wait_dscnt 0x0
	v_fma_f64 v[10:11], -v[13:14], v[10:11], v[15:16]
	s_delay_alu instid0(VALU_DEP_1)
	v_dual_cndmask_b32 v9, v9, v11 :: v_dual_cndmask_b32 v8, v8, v10
	v_cndmask_b32_e64 v7, v7, v11, s2
	v_cndmask_b32_e64 v6, v6, v10, s2
	;; [unrolled: 1-line block ×4, first 2 shown]
	s_wait_alu 0xfffe
	v_cndmask_b32_e64 v3, v3, v11, s3
	v_cndmask_b32_e64 v2, v2, v10, s3
	s_cbranch_scc0 .LBB69_50
	s_branch .LBB69_46
.LBB69_51:                              ;   in Loop: Header=BB69_35 Depth=2
	s_cmp_lt_i32 s21, s27
	s_cselect_b32 s2, -1, 0
	s_add_co_i32 s1, s18, 1
	s_cmp_lt_u32 s18, 2
	s_cselect_b32 s3, -1, 0
	s_wait_alu 0xfffe
	s_and_b32 s2, s2, s3
	s_wait_alu 0xfffe
	s_and_not1_b32 vcc_lo, exec_lo, s2
	s_wait_alu 0xfffe
	s_cbranch_vccnz .LBB69_53
; %bb.52:                               ;   in Loop: Header=BB69_35 Depth=2
	s_mov_b32 s18, s1
	s_branch .LBB69_35
.LBB69_53:                              ;   in Loop: Header=BB69_3 Depth=1
	v_dual_mov_b32 v17, v9 :: v_dual_mov_b32 v16, v8
	v_dual_mov_b32 v15, v7 :: v_dual_mov_b32 v14, v6
	;; [unrolled: 1-line block ×4, first 2 shown]
.LBB69_54:                              ;   in Loop: Header=BB69_3 Depth=1
	; wave barrier
	s_wait_loadcnt_dscnt 0x0
	global_inv scope:SCOPE_SE
	s_and_saveexec_b32 s1, s31
	s_cbranch_execz .LBB69_2
; %bb.55:                               ;   in Loop: Header=BB69_3 Depth=1
	v_add_co_u32 v2, vcc_lo, v25, v18
	s_wait_alu 0xfffd
	v_add_co_ci_u32_e64 v3, null, v26, v19, vcc_lo
	v_mov_b32_e32 v4, v23
	s_mov_b32 s2, s27
.LBB69_56:                              ;   Parent Loop BB69_3 Depth=1
                                        ; =>  This Inner Loop Header: Depth=2
	ds_load_b64 v[5:6], v4
	v_add_nc_u32_e32 v4, 32, v4
	s_wait_alu 0xfffe
	s_add_co_i32 s2, s2, -1
	s_wait_alu 0xfffe
	s_cmp_lg_u32 s2, 0
	s_wait_dscnt 0x0
	flat_store_b64 v[2:3], v[5:6]
	v_add_co_u32 v2, vcc_lo, v2, 8
	s_wait_alu 0xfffd
	v_add_co_ci_u32_e64 v3, null, 0, v3, vcc_lo
	s_cbranch_scc1 .LBB69_56
	s_branch .LBB69_2
.LBB69_57:
	s_endpgm
	.section	.rodata,"a",@progbits
	.p2align	6, 0x0
	.amdhsa_kernel _ZL38rocblas_trsm_small_left_device_sharedBILi4ELi4ELb1EddPKPKdPKPdEv13rocblas_fill_18rocblas_operation_17rocblas_diagonal_iiT3_T4_lilT5_lili
		.amdhsa_group_segment_fixed_size 256
		.amdhsa_private_segment_fixed_size 0
		.amdhsa_kernarg_size 360
		.amdhsa_user_sgpr_count 2
		.amdhsa_user_sgpr_dispatch_ptr 0
		.amdhsa_user_sgpr_queue_ptr 0
		.amdhsa_user_sgpr_kernarg_segment_ptr 1
		.amdhsa_user_sgpr_dispatch_id 0
		.amdhsa_user_sgpr_private_segment_size 0
		.amdhsa_wavefront_size32 1
		.amdhsa_uses_dynamic_stack 0
		.amdhsa_enable_private_segment 0
		.amdhsa_system_sgpr_workgroup_id_x 1
		.amdhsa_system_sgpr_workgroup_id_y 0
		.amdhsa_system_sgpr_workgroup_id_z 1
		.amdhsa_system_sgpr_workgroup_info 0
		.amdhsa_system_vgpr_workitem_id 0
		.amdhsa_next_free_vgpr 33
		.amdhsa_next_free_sgpr 46
		.amdhsa_reserve_vcc 1
		.amdhsa_float_round_mode_32 0
		.amdhsa_float_round_mode_16_64 0
		.amdhsa_float_denorm_mode_32 3
		.amdhsa_float_denorm_mode_16_64 3
		.amdhsa_fp16_overflow 0
		.amdhsa_workgroup_processor_mode 1
		.amdhsa_memory_ordered 1
		.amdhsa_forward_progress 1
		.amdhsa_inst_pref_size 26
		.amdhsa_round_robin_scheduling 0
		.amdhsa_exception_fp_ieee_invalid_op 0
		.amdhsa_exception_fp_denorm_src 0
		.amdhsa_exception_fp_ieee_div_zero 0
		.amdhsa_exception_fp_ieee_overflow 0
		.amdhsa_exception_fp_ieee_underflow 0
		.amdhsa_exception_fp_ieee_inexact 0
		.amdhsa_exception_int_div_zero 0
	.end_amdhsa_kernel
	.section	.text._ZL38rocblas_trsm_small_left_device_sharedBILi4ELi4ELb1EddPKPKdPKPdEv13rocblas_fill_18rocblas_operation_17rocblas_diagonal_iiT3_T4_lilT5_lili,"axG",@progbits,_ZL38rocblas_trsm_small_left_device_sharedBILi4ELi4ELb1EddPKPKdPKPdEv13rocblas_fill_18rocblas_operation_17rocblas_diagonal_iiT3_T4_lilT5_lili,comdat
.Lfunc_end69:
	.size	_ZL38rocblas_trsm_small_left_device_sharedBILi4ELi4ELb1EddPKPKdPKPdEv13rocblas_fill_18rocblas_operation_17rocblas_diagonal_iiT3_T4_lilT5_lili, .Lfunc_end69-_ZL38rocblas_trsm_small_left_device_sharedBILi4ELi4ELb1EddPKPKdPKPdEv13rocblas_fill_18rocblas_operation_17rocblas_diagonal_iiT3_T4_lilT5_lili
                                        ; -- End function
	.set _ZL38rocblas_trsm_small_left_device_sharedBILi4ELi4ELb1EddPKPKdPKPdEv13rocblas_fill_18rocblas_operation_17rocblas_diagonal_iiT3_T4_lilT5_lili.num_vgpr, 33
	.set _ZL38rocblas_trsm_small_left_device_sharedBILi4ELi4ELb1EddPKPKdPKPdEv13rocblas_fill_18rocblas_operation_17rocblas_diagonal_iiT3_T4_lilT5_lili.num_agpr, 0
	.set _ZL38rocblas_trsm_small_left_device_sharedBILi4ELi4ELb1EddPKPKdPKPdEv13rocblas_fill_18rocblas_operation_17rocblas_diagonal_iiT3_T4_lilT5_lili.numbered_sgpr, 46
	.set _ZL38rocblas_trsm_small_left_device_sharedBILi4ELi4ELb1EddPKPKdPKPdEv13rocblas_fill_18rocblas_operation_17rocblas_diagonal_iiT3_T4_lilT5_lili.num_named_barrier, 0
	.set _ZL38rocblas_trsm_small_left_device_sharedBILi4ELi4ELb1EddPKPKdPKPdEv13rocblas_fill_18rocblas_operation_17rocblas_diagonal_iiT3_T4_lilT5_lili.private_seg_size, 0
	.set _ZL38rocblas_trsm_small_left_device_sharedBILi4ELi4ELb1EddPKPKdPKPdEv13rocblas_fill_18rocblas_operation_17rocblas_diagonal_iiT3_T4_lilT5_lili.uses_vcc, 1
	.set _ZL38rocblas_trsm_small_left_device_sharedBILi4ELi4ELb1EddPKPKdPKPdEv13rocblas_fill_18rocblas_operation_17rocblas_diagonal_iiT3_T4_lilT5_lili.uses_flat_scratch, 0
	.set _ZL38rocblas_trsm_small_left_device_sharedBILi4ELi4ELb1EddPKPKdPKPdEv13rocblas_fill_18rocblas_operation_17rocblas_diagonal_iiT3_T4_lilT5_lili.has_dyn_sized_stack, 0
	.set _ZL38rocblas_trsm_small_left_device_sharedBILi4ELi4ELb1EddPKPKdPKPdEv13rocblas_fill_18rocblas_operation_17rocblas_diagonal_iiT3_T4_lilT5_lili.has_recursion, 0
	.set _ZL38rocblas_trsm_small_left_device_sharedBILi4ELi4ELb1EddPKPKdPKPdEv13rocblas_fill_18rocblas_operation_17rocblas_diagonal_iiT3_T4_lilT5_lili.has_indirect_call, 0
	.section	.AMDGPU.csdata,"",@progbits
; Kernel info:
; codeLenInByte = 3320
; TotalNumSgprs: 48
; NumVgprs: 33
; ScratchSize: 0
; MemoryBound: 0
; FloatMode: 240
; IeeeMode: 1
; LDSByteSize: 256 bytes/workgroup (compile time only)
; SGPRBlocks: 0
; VGPRBlocks: 4
; NumSGPRsForWavesPerEU: 48
; NumVGPRsForWavesPerEU: 33
; Occupancy: 16
; WaveLimiterHint : 0
; COMPUTE_PGM_RSRC2:SCRATCH_EN: 0
; COMPUTE_PGM_RSRC2:USER_SGPR: 2
; COMPUTE_PGM_RSRC2:TRAP_HANDLER: 0
; COMPUTE_PGM_RSRC2:TGID_X_EN: 1
; COMPUTE_PGM_RSRC2:TGID_Y_EN: 0
; COMPUTE_PGM_RSRC2:TGID_Z_EN: 1
; COMPUTE_PGM_RSRC2:TIDIG_COMP_CNT: 0
	.section	.text._ZL30rocblas_trsm_small_left_deviceILi4ELi4ELb1EddPKPKdPKPdEv13rocblas_fill_18rocblas_operation_17rocblas_diagonal_iiT3_T4_lilT5_lili,"axG",@progbits,_ZL30rocblas_trsm_small_left_deviceILi4ELi4ELb1EddPKPKdPKPdEv13rocblas_fill_18rocblas_operation_17rocblas_diagonal_iiT3_T4_lilT5_lili,comdat
	.globl	_ZL30rocblas_trsm_small_left_deviceILi4ELi4ELb1EddPKPKdPKPdEv13rocblas_fill_18rocblas_operation_17rocblas_diagonal_iiT3_T4_lilT5_lili ; -- Begin function _ZL30rocblas_trsm_small_left_deviceILi4ELi4ELb1EddPKPKdPKPdEv13rocblas_fill_18rocblas_operation_17rocblas_diagonal_iiT3_T4_lilT5_lili
	.p2align	8
	.type	_ZL30rocblas_trsm_small_left_deviceILi4ELi4ELb1EddPKPKdPKPdEv13rocblas_fill_18rocblas_operation_17rocblas_diagonal_iiT3_T4_lilT5_lili,@function
_ZL30rocblas_trsm_small_left_deviceILi4ELi4ELb1EddPKPKdPKPdEv13rocblas_fill_18rocblas_operation_17rocblas_diagonal_iiT3_T4_lilT5_lili: ; @_ZL30rocblas_trsm_small_left_deviceILi4ELi4ELb1EddPKPKdPKPdEv13rocblas_fill_18rocblas_operation_17rocblas_diagonal_iiT3_T4_lilT5_lili
; %bb.0:
	s_load_b32 s33, s[0:1], 0x60
	s_lshr_b32 s20, ttmp7, 16
	s_wait_kmcnt 0x0
	s_cmp_ge_u32 s20, s33
	s_cbranch_scc1 .LBB70_54
; %bb.1:
	s_clause 0x5
	s_load_b96 s[16:18], s[0:1], 0x28
	s_load_b128 s[4:7], s[0:1], 0x4
	s_load_b32 s2, s[0:1], 0x68
	s_load_b32 s19, s[0:1], 0x50
	s_load_b128 s[8:11], s[0:1], 0x18
	s_load_b128 s[12:15], s[0:1], 0x40
	s_lshl_b32 s0, ttmp9, 2
	v_dual_mov_b32 v1, 0 :: v_dual_lshlrev_b32 v24, 3, v0
	v_or_b32_e32 v2, s0, v0
	v_lshlrev_b32_e32 v9, 5, v0
	s_mov_b32 s41, 0
	s_delay_alu instid0(VALU_DEP_3)
	v_dual_mov_b32 v7, v1 :: v_dual_mov_b32 v8, v1
	v_dual_mov_b32 v5, v1 :: v_dual_mov_b32 v6, v1
	v_mov_b32_e32 v4, v1
	s_wait_kmcnt 0x0
	s_ashr_i32 s3, s18, 31
	s_min_i32 s36, s6, 4
	s_add_co_i32 s2, s2, -1
	v_mad_co_i64_i32 v[2:3], null, s19, v2, 0
	s_sub_co_i32 s0, s7, s0
	s_add_co_i32 s37, s36, -1
	s_wait_alu 0xfffe
	s_cmp_ge_u32 ttmp9, s2
	s_mov_b32 s2, s18
	s_cselect_b32 s1, s0, 4
	s_cmp_lg_u32 s5, 0x84
	v_lshlrev_b64_e32 v[18:19], 3, v[2:3]
	s_cselect_b32 s38, -1, 0
	s_cmp_lg_u32 s4, 0x6f
	v_mov_b32_e32 v2, v1
	s_cselect_b32 s39, -1, 0
	s_lshl_b64 s[14:15], s[14:15], 3
	v_mov_b32_e32 v3, v1
	v_add_co_u32 v25, vcc_lo, v18, s14
	v_cmp_gt_i32_e64 s0, s36, v0
	s_wait_alu 0xfffe
	v_cmp_gt_i32_e64 s1, s1, v0
	v_lshlrev_b32_e32 v0, 3, v0
	v_add_nc_u32_e32 v27, v24, v9
	v_mov_b32_e32 v9, v8
	v_add_co_ci_u32_e64 v26, null, s15, v19, vcc_lo
	v_mov_b32_e32 v8, v7
	v_mov_b32_e32 v7, v6
	;; [unrolled: 1-line block ×7, first 2 shown]
	s_lshl_b32 s40, s36, 3
	s_lshl_b64 s[6:7], s[2:3], 3
	s_add_co_i32 s40, s40, -8
	s_mov_b32 s19, 0
	s_lshl_b64 s[16:17], s[16:17], 3
	s_branch .LBB70_5
.LBB70_2:                               ;   in Loop: Header=BB70_5 Depth=1
	v_dual_mov_b32 v17, v9 :: v_dual_mov_b32 v16, v8
	v_dual_mov_b32 v15, v7 :: v_dual_mov_b32 v14, v6
	v_dual_mov_b32 v13, v5 :: v_dual_mov_b32 v12, v4
	v_dual_mov_b32 v11, v3 :: v_dual_mov_b32 v10, v2
.LBB70_3:                               ;   in Loop: Header=BB70_5 Depth=1
	s_add_co_i32 s20, s20, 0x10000
	s_delay_alu instid0(SALU_CYCLE_1)
	s_cmp_ge_u32 s20, s33
	s_cselect_b32 s2, -1, 0
	s_wait_alu 0xfffe
	s_or_not1_b32 s2, s2, exec_lo
.LBB70_4:                               ;   in Loop: Header=BB70_5 Depth=1
	s_or_b32 exec_lo, exec_lo, s21
	v_dual_mov_b32 v2, v10 :: v_dual_mov_b32 v3, v11
	v_dual_mov_b32 v4, v12 :: v_dual_mov_b32 v5, v13
	;; [unrolled: 1-line block ×4, first 2 shown]
	s_wait_alu 0xfffe
	s_and_b32 s2, exec_lo, s2
	s_wait_alu 0xfffe
	s_or_b32 s41, s2, s41
	s_delay_alu instid0(SALU_CYCLE_1)
	s_and_not1_b32 exec_lo, exec_lo, s41
	s_cbranch_execz .LBB70_54
.LBB70_5:                               ; =>This Loop Header: Depth=1
                                        ;     Child Loop BB70_7 Depth 2
                                        ;     Child Loop BB70_14 Depth 2
                                        ;       Child Loop BB70_17 Depth 3
                                        ;         Child Loop BB70_18 Depth 4
                                        ;         Child Loop BB70_20 Depth 4
                                        ;           Child Loop BB70_21 Depth 5
                                        ;         Child Loop BB70_26 Depth 4
                                        ;           Child Loop BB70_28 Depth 5
                                        ;     Child Loop BB70_35 Depth 2
                                        ;       Child Loop BB70_38 Depth 3
                                        ;         Child Loop BB70_39 Depth 4
                                        ;         Child Loop BB70_42 Depth 4
                                        ;           Child Loop BB70_43 Depth 5
                                        ;         Child Loop BB70_48 Depth 4
                                        ;           Child Loop BB70_50 Depth 5
	s_wait_alu 0xfffe
	s_mov_b32 s21, s19
	s_delay_alu instid0(SALU_CYCLE_1)
	s_lshl_b64 s[2:3], s[20:21], 3
	s_wait_alu 0xfffe
	s_add_nc_u64 s[4:5], s[12:13], s[2:3]
	global_load_b64 v[20:21], v1, s[4:5]
	s_and_saveexec_b32 s4, s0
	s_cbranch_execz .LBB70_11
; %bb.6:                                ;   in Loop: Header=BB70_5 Depth=1
	s_add_nc_u64 s[2:3], s[10:11], s[2:3]
	v_mov_b32_e32 v12, v24
	global_load_b64 v[10:11], v1, s[2:3]
	s_mov_b32 s2, s36
	s_wait_loadcnt 0x0
	v_add_co_u32 v10, vcc_lo, v10, s16
	s_wait_alu 0xfffd
	v_add_co_ci_u32_e64 v11, null, s17, v11, vcc_lo
	s_delay_alu instid0(VALU_DEP_2) | instskip(SKIP_1) | instid1(VALU_DEP_2)
	v_add_co_u32 v10, vcc_lo, v10, v0
	s_wait_alu 0xfffd
	v_add_co_ci_u32_e64 v11, null, 0, v11, vcc_lo
.LBB70_7:                               ;   Parent Loop BB70_5 Depth=1
                                        ; =>  This Inner Loop Header: Depth=2
	flat_load_b64 v[13:14], v[10:11]
	v_add_co_u32 v10, vcc_lo, v10, s6
	s_wait_alu 0xfffd
	v_add_co_ci_u32_e64 v11, null, s7, v11, vcc_lo
	s_wait_alu 0xfffe
	s_add_co_i32 s2, s2, -1
	s_wait_alu 0xfffe
	s_cmp_eq_u32 s2, 0
	s_wait_loadcnt_dscnt 0x0
	ds_store_b64 v12, v[13:14]
	v_add_nc_u32_e32 v12, 32, v12
	s_cbranch_scc0 .LBB70_7
; %bb.8:                                ;   in Loop: Header=BB70_5 Depth=1
	v_mov_b32_e32 v10, 0
	v_mov_b32_e32 v11, 0x3ff00000
	s_and_b32 vcc_lo, exec_lo, s38
	s_wait_alu 0xfffe
	s_cbranch_vccz .LBB70_10
; %bb.9:                                ;   in Loop: Header=BB70_5 Depth=1
	ds_load_b64 v[10:11], v27
	s_wait_dscnt 0x0
	v_div_scale_f64 v[12:13], null, v[10:11], v[10:11], 1.0
	s_delay_alu instid0(VALU_DEP_1) | instskip(NEXT) | instid1(TRANS32_DEP_1)
	v_rcp_f64_e32 v[14:15], v[12:13]
	v_fma_f64 v[16:17], -v[12:13], v[14:15], 1.0
	s_delay_alu instid0(VALU_DEP_1) | instskip(NEXT) | instid1(VALU_DEP_1)
	v_fma_f64 v[14:15], v[14:15], v[16:17], v[14:15]
	v_fma_f64 v[16:17], -v[12:13], v[14:15], 1.0
	s_delay_alu instid0(VALU_DEP_1) | instskip(SKIP_1) | instid1(VALU_DEP_1)
	v_fma_f64 v[14:15], v[14:15], v[16:17], v[14:15]
	v_div_scale_f64 v[16:17], vcc_lo, 1.0, v[10:11], 1.0
	v_mul_f64_e32 v[22:23], v[16:17], v[14:15]
	s_delay_alu instid0(VALU_DEP_1) | instskip(SKIP_1) | instid1(VALU_DEP_1)
	v_fma_f64 v[12:13], -v[12:13], v[22:23], v[16:17]
	s_wait_alu 0xfffd
	v_div_fmas_f64 v[12:13], v[12:13], v[14:15], v[22:23]
	s_delay_alu instid0(VALU_DEP_1)
	v_div_fixup_f64 v[10:11], v[12:13], v[10:11], 1.0
.LBB70_10:                              ;   in Loop: Header=BB70_5 Depth=1
	ds_store_b64 v27, v[10:11]
.LBB70_11:                              ;   in Loop: Header=BB70_5 Depth=1
	s_wait_alu 0xfffe
	s_or_b32 exec_lo, exec_lo, s4
	s_mov_b32 s2, -1
	; wave barrier
	s_wait_loadcnt_dscnt 0x0
	global_inv scope:SCOPE_SE
                                        ; implicit-def: $vgpr10_vgpr11_vgpr12_vgpr13_vgpr14_vgpr15_vgpr16_vgpr17
	s_and_saveexec_b32 s21, s1
	s_cbranch_execz .LBB70_4
; %bb.12:                               ;   in Loop: Header=BB70_5 Depth=1
	v_add_co_u32 v10, vcc_lo, v20, s14
	s_wait_alu 0xfffd
	v_add_co_ci_u32_e64 v11, null, s15, v21, vcc_lo
	s_delay_alu instid0(VALU_DEP_2) | instskip(SKIP_1) | instid1(VALU_DEP_2)
	v_add_co_u32 v28, vcc_lo, v10, v18
	s_wait_alu 0xfffd
	v_add_co_ci_u32_e64 v29, null, v11, v19, vcc_lo
	s_and_not1_b32 vcc_lo, exec_lo, s39
                                        ; implicit-def: $vgpr10_vgpr11_vgpr12_vgpr13_vgpr14_vgpr15_vgpr16_vgpr17
	s_wait_alu 0xfffe
	s_cbranch_vccnz .LBB70_33
; %bb.13:                               ;   in Loop: Header=BB70_5 Depth=1
	v_add_co_u32 v30, vcc_lo, v20, v25
	v_dual_mov_b32 v17, v9 :: v_dual_mov_b32 v16, v8
	s_wait_alu 0xfffd
	v_add_co_ci_u32_e64 v31, null, v21, v26, vcc_lo
	v_dual_mov_b32 v15, v7 :: v_dual_mov_b32 v14, v6
	v_dual_mov_b32 v13, v5 :: v_dual_mov_b32 v12, v4
	;; [unrolled: 1-line block ×3, first 2 shown]
	s_mov_b32 s18, 0
	s_mov_b32 s22, s37
.LBB70_14:                              ;   Parent Loop BB70_5 Depth=1
                                        ; =>  This Loop Header: Depth=2
                                        ;       Child Loop BB70_17 Depth 3
                                        ;         Child Loop BB70_18 Depth 4
                                        ;         Child Loop BB70_20 Depth 4
                                        ;           Child Loop BB70_21 Depth 5
                                        ;         Child Loop BB70_26 Depth 4
                                        ;           Child Loop BB70_28 Depth 5
	s_getpc_b64 s[2:3]
	s_wait_alu 0xfffe
	s_sext_i32_i16 s3, s3
	s_add_co_u32 s2, s2, __const._ZL30rocblas_trsm_small_left_deviceILi4ELi4ELb1EddPKPKdPKPdEv13rocblas_fill_18rocblas_operation_17rocblas_diagonal_iiT3_T4_lilT5_lili.step_sizes@rel32@lo+12
	s_wait_alu 0xfffe
	s_add_co_ci_u32 s3, s3, __const._ZL30rocblas_trsm_small_left_deviceILi4ELi4ELb1EddPKPKdPKPdEv13rocblas_fill_18rocblas_operation_17rocblas_diagonal_iiT3_T4_lilT5_lili.step_sizes@rel32@hi+24
	s_lshl_b64 s[4:5], s[18:19], 2
	s_wait_alu 0xfffe
	s_add_nc_u64 s[2:3], s[2:3], s[4:5]
	s_load_b32 s28, s[2:3], 0x0
	s_wait_kmcnt 0x0
	s_add_co_i32 s29, s28, -1
	s_wait_alu 0xfffe
	s_cmp_lt_i32 s22, s29
	s_cbranch_scc1 .LBB70_30
; %bb.15:                               ;   in Loop: Header=BB70_14 Depth=2
	s_lshl_b32 s2, s22, 5
	s_lshl_b32 s3, s28, 5
	s_max_i32 s30, s28, 1
	s_wait_alu 0xfffe
	s_add_co_i32 s31, s40, s2
	s_sub_co_i32 s34, 0, s3
	s_mul_i32 s35, s22, 40
	s_mul_i32 s42, s28, 0xffffffd8
	s_branch .LBB70_17
.LBB70_16:                              ;   in Loop: Header=BB70_17 Depth=3
	s_sub_co_i32 s22, s22, s28
	s_add_co_i32 s31, s31, s34
	s_add_co_i32 s35, s35, s42
	s_cmp_lt_i32 s22, s29
	s_cbranch_scc1 .LBB70_30
.LBB70_17:                              ;   Parent Loop BB70_5 Depth=1
                                        ;     Parent Loop BB70_14 Depth=2
                                        ; =>    This Loop Header: Depth=3
                                        ;         Child Loop BB70_18 Depth 4
                                        ;         Child Loop BB70_20 Depth 4
                                        ;           Child Loop BB70_21 Depth 5
                                        ;         Child Loop BB70_26 Depth 4
                                        ;           Child Loop BB70_28 Depth 5
	s_ashr_i32 s23, s22, 31
	s_mov_b64 s[24:25], 0
	s_lshl_b64 s[2:3], s[22:23], 3
	s_wait_alu 0xfffe
	v_add_co_u32 v22, vcc_lo, v30, s2
	s_wait_alu 0xfffd
	v_add_co_ci_u32_e64 v23, null, s3, v31, vcc_lo
.LBB70_18:                              ;   Parent Loop BB70_5 Depth=1
                                        ;     Parent Loop BB70_14 Depth=2
                                        ;       Parent Loop BB70_17 Depth=3
                                        ; =>      This Inner Loop Header: Depth=4
	flat_load_b64 v[32:33], v[22:23]
	s_cmp_eq_u32 s24, 3
	v_add_co_u32 v22, vcc_lo, v22, -8
	s_wait_alu 0xfffd
	v_add_co_ci_u32_e64 v23, null, -1, v23, vcc_lo
	s_cselect_b32 vcc_lo, -1, 0
	s_cmp_eq_u32 s24, 2
	s_cselect_b32 s2, -1, 0
	s_cmp_eq_u32 s24, 1
	s_cselect_b32 s3, -1, 0
	s_cmp_eq_u32 s24, 0
	s_add_nc_u64 s[24:25], s[24:25], 1
	s_cselect_b32 s4, -1, 0
	s_wait_alu 0xfffe
	s_cmp_eq_u32 s30, s24
	s_wait_loadcnt_dscnt 0x0
	v_mul_f64_e32 v[32:33], s[8:9], v[32:33]
	s_delay_alu instid0(VALU_DEP_1)
	v_dual_cndmask_b32 v17, v17, v33 :: v_dual_cndmask_b32 v16, v16, v32
	v_cndmask_b32_e64 v15, v15, v33, s2
	v_cndmask_b32_e64 v14, v14, v32, s2
	;; [unrolled: 1-line block ×6, first 2 shown]
	s_cbranch_scc0 .LBB70_18
; %bb.19:                               ;   in Loop: Header=BB70_17 Depth=3
	s_cmp_le_i32 s37, s22
	s_mov_b32 s5, s31
	s_mov_b32 s24, s37
	s_cbranch_scc1 .LBB70_23
.LBB70_20:                              ;   Parent Loop BB70_5 Depth=1
                                        ;     Parent Loop BB70_14 Depth=2
                                        ;       Parent Loop BB70_17 Depth=3
                                        ; =>      This Loop Header: Depth=4
                                        ;           Child Loop BB70_21 Depth 5
	s_wait_alu 0xfffe
	s_ashr_i32 s25, s24, 31
	s_mov_b64 s[26:27], 0
	s_wait_alu 0xfffe
	s_lshl_b64 s[2:3], s[24:25], 3
	s_mov_b32 s25, s5
	s_wait_alu 0xfffe
	v_add_co_u32 v22, vcc_lo, v28, s2
	s_wait_alu 0xfffd
	v_add_co_ci_u32_e64 v23, null, s3, v29, vcc_lo
	flat_load_b64 v[22:23], v[22:23]
.LBB70_21:                              ;   Parent Loop BB70_5 Depth=1
                                        ;     Parent Loop BB70_14 Depth=2
                                        ;       Parent Loop BB70_17 Depth=3
                                        ;         Parent Loop BB70_20 Depth=4
                                        ; =>        This Inner Loop Header: Depth=5
	s_cmp_eq_u32 s26, 1
	s_cselect_b32 vcc_lo, -1, 0
	s_wait_alu 0xfffe
	v_dual_mov_b32 v32, s25 :: v_dual_cndmask_b32 v35, v10, v12
	v_cndmask_b32_e32 v34, v11, v13, vcc_lo
	s_cmp_eq_u32 s26, 2
	ds_load_b64 v[32:33], v32
	s_cselect_b32 s2, -1, 0
	s_cmp_eq_u32 s26, 3
	s_wait_alu 0xfffe
	v_cndmask_b32_e64 v34, v34, v15, s2
	v_cndmask_b32_e64 v36, v35, v14, s2
	s_cselect_b32 s3, -1, 0
	s_cmp_eq_u32 s26, 0
	s_add_nc_u64 s[26:27], s[26:27], 1
	s_wait_alu 0xfffe
	v_cndmask_b32_e64 v35, v34, v17, s3
	v_cndmask_b32_e64 v34, v36, v16, s3
	s_cselect_b32 s4, -1, 0
	s_sub_co_i32 s25, s25, 32
	s_cmp_eq_u32 s30, s26
	s_wait_loadcnt_dscnt 0x0
	v_fma_f64 v[32:33], -v[22:23], v[32:33], v[34:35]
	s_delay_alu instid0(VALU_DEP_1) | instskip(NEXT) | instid1(VALU_DEP_2)
	v_cndmask_b32_e64 v17, v17, v33, s3
	v_cndmask_b32_e64 v16, v16, v32, s3
	;; [unrolled: 1-line block ×4, first 2 shown]
	v_dual_cndmask_b32 v13, v13, v33 :: v_dual_cndmask_b32 v12, v12, v32
	s_wait_alu 0xfffe
	v_cndmask_b32_e64 v11, v11, v33, s4
	v_cndmask_b32_e64 v10, v10, v32, s4
	s_cbranch_scc0 .LBB70_21
; %bb.22:                               ;   in Loop: Header=BB70_20 Depth=4
	s_add_co_i32 s24, s24, -1
	s_add_co_i32 s5, s5, -8
	s_wait_alu 0xfffe
	s_cmp_le_i32 s24, s22
	s_cbranch_scc0 .LBB70_20
.LBB70_23:                              ;   in Loop: Header=BB70_17 Depth=3
	s_mov_b64 s[24:25], 0
	s_mov_b32 s43, s35
	s_branch .LBB70_26
.LBB70_24:                              ;   in Loop: Header=BB70_26 Depth=4
	s_mov_b32 s2, s22
	s_mov_b64 s[4:5], 0
	s_mov_b64 s[26:27], s[22:23]
.LBB70_25:                              ;   in Loop: Header=BB70_26 Depth=4
	s_wait_alu 0xfffe
	s_mul_i32 s2, s2, 40
	s_cmp_eq_u32 s4, 1
	s_add_nc_u64 s[24:25], s[24:25], 1
	s_cselect_b32 vcc_lo, -1, 0
	s_wait_alu 0xfffe
	v_dual_mov_b32 v22, s2 :: v_dual_cndmask_b32 v33, v10, v12
	v_cndmask_b32_e32 v32, v11, v13, vcc_lo
	s_cmp_eq_u32 s4, 2
	ds_load_b64 v[22:23], v22
	s_cselect_b32 s2, -1, 0
	s_cmp_eq_u32 s4, 3
	s_wait_alu 0xfffe
	v_cndmask_b32_e64 v32, v32, v15, s2
	v_cndmask_b32_e64 v34, v33, v14, s2
	s_cselect_b32 s3, -1, 0
	s_cmp_eq_u32 s4, 0
	s_wait_alu 0xfffe
	v_cndmask_b32_e64 v33, v32, v17, s3
	v_cndmask_b32_e64 v32, v34, v16, s3
	s_cselect_b32 s4, -1, 0
	s_lshl_b64 s[26:27], s[26:27], 3
	s_sub_co_i32 s43, s43, 32
	s_cmp_eq_u32 s24, s30
	s_wait_dscnt 0x0
	v_mul_f64_e32 v[22:23], v[32:33], v[22:23]
	s_wait_alu 0xfffe
	v_add_co_u32 v32, s5, v28, s26
	s_wait_alu 0xf1ff
	v_add_co_ci_u32_e64 v33, null, s27, v29, s5
	s_delay_alu instid0(VALU_DEP_3) | instskip(NEXT) | instid1(VALU_DEP_4)
	v_cndmask_b32_e64 v17, v17, v23, s3
	v_cndmask_b32_e64 v16, v16, v22, s3
	;; [unrolled: 1-line block ×4, first 2 shown]
	v_dual_cndmask_b32 v13, v13, v23 :: v_dual_cndmask_b32 v12, v12, v22
	v_cndmask_b32_e64 v11, v11, v23, s4
	v_cndmask_b32_e64 v10, v10, v22, s4
	flat_store_b64 v[32:33], v[22:23]
	s_cbranch_scc1 .LBB70_16
.LBB70_26:                              ;   Parent Loop BB70_5 Depth=1
                                        ;     Parent Loop BB70_14 Depth=2
                                        ;       Parent Loop BB70_17 Depth=3
                                        ; =>      This Loop Header: Depth=4
                                        ;           Child Loop BB70_28 Depth 5
	s_wait_alu 0xfffe
	s_cmp_eq_u32 s24, 0
	s_cbranch_scc1 .LBB70_24
; %bb.27:                               ;   in Loop: Header=BB70_26 Depth=4
	s_mov_b64 s[26:27], 0
	s_mov_b32 s5, s43
.LBB70_28:                              ;   Parent Loop BB70_5 Depth=1
                                        ;     Parent Loop BB70_14 Depth=2
                                        ;       Parent Loop BB70_17 Depth=3
                                        ;         Parent Loop BB70_26 Depth=4
                                        ; =>        This Inner Loop Header: Depth=5
	s_wait_alu 0xfffe
	s_cmp_eq_u32 s26, 1
	s_cselect_b32 vcc_lo, -1, 0
	s_wait_alu 0xfffe
	v_dual_mov_b32 v22, s5 :: v_dual_cndmask_b32 v33, v10, v12
	s_cmp_eq_u32 s26, 2
	v_cndmask_b32_e32 v32, v11, v13, vcc_lo
	s_cselect_b32 s2, -1, 0
	s_cmp_eq_u32 s26, 3
	ds_load_b64 v[22:23], v22
	s_cselect_b32 vcc_lo, -1, 0
	s_cmp_eq_u32 s24, 1
	s_wait_alu 0xfffe
	v_cndmask_b32_e64 v32, v32, v15, s2
	v_cndmask_b32_e64 v34, v33, v14, s2
	s_cselect_b32 s2, -1, 0
	s_cmp_eq_u32 s24, 2
	s_wait_alu 0xfffe
	v_cndmask_b32_e64 v35, v11, v13, s2
	v_cndmask_b32_e64 v36, v10, v12, s2
	s_cselect_b32 s3, -1, 0
	v_dual_cndmask_b32 v33, v32, v17 :: v_dual_cndmask_b32 v32, v34, v16
	s_wait_alu 0xfffe
	v_cndmask_b32_e64 v34, v35, v15, s3
	v_cndmask_b32_e64 v36, v36, v14, s3
	s_cmp_eq_u32 s24, 3
	s_add_nc_u64 s[26:27], s[26:27], 1
	s_cselect_b32 vcc_lo, -1, 0
	s_cmp_eq_u32 s24, 0
	s_wait_alu 0xfffe
	v_dual_cndmask_b32 v35, v34, v17 :: v_dual_cndmask_b32 v34, v36, v16
	s_cselect_b32 s4, -1, 0
	s_add_co_i32 s5, s5, -8
	s_cmp_eq_u32 s24, s26
	s_wait_dscnt 0x0
	v_fma_f64 v[22:23], -v[32:33], v[22:23], v[34:35]
	s_delay_alu instid0(VALU_DEP_1)
	v_dual_cndmask_b32 v17, v17, v23 :: v_dual_cndmask_b32 v16, v16, v22
	v_cndmask_b32_e64 v15, v15, v23, s3
	v_cndmask_b32_e64 v14, v14, v22, s3
	;; [unrolled: 1-line block ×4, first 2 shown]
	s_wait_alu 0xfffe
	v_cndmask_b32_e64 v11, v11, v23, s4
	v_cndmask_b32_e64 v10, v10, v22, s4
	s_cbranch_scc0 .LBB70_28
; %bb.29:                               ;   in Loop: Header=BB70_26 Depth=4
	s_sub_co_i32 s2, s22, s24
	s_mov_b64 s[4:5], s[24:25]
	s_wait_alu 0xfffe
	s_ashr_i32 s3, s2, 31
	s_wait_alu 0xfffe
	s_mov_b64 s[26:27], s[2:3]
	s_branch .LBB70_25
.LBB70_30:                              ;   in Loop: Header=BB70_14 Depth=2
	s_cmp_gt_i32 s22, -1
	s_cselect_b32 s3, -1, 0
	s_add_co_i32 s2, s18, 1
	s_cmp_lt_u32 s18, 2
	s_cselect_b32 s4, -1, 0
	s_wait_alu 0xfffe
	s_and_b32 s3, s3, s4
	s_wait_alu 0xfffe
	s_and_b32 vcc_lo, exec_lo, s3
	s_wait_alu 0xfffe
	s_cbranch_vccz .LBB70_32
; %bb.31:                               ;   in Loop: Header=BB70_14 Depth=2
	s_mov_b32 s18, s2
	s_branch .LBB70_14
.LBB70_32:                              ;   in Loop: Header=BB70_5 Depth=1
	s_mov_b32 s2, 0
.LBB70_33:                              ;   in Loop: Header=BB70_5 Depth=1
	s_wait_alu 0xfffe
	s_and_b32 vcc_lo, exec_lo, s2
	s_wait_alu 0xfffe
	s_cbranch_vccz .LBB70_3
; %bb.34:                               ;   in Loop: Header=BB70_5 Depth=1
	v_add_co_u32 v14, vcc_lo, v20, v25
	s_wait_alu 0xfffd
	v_add_co_ci_u32_e64 v15, null, v21, v26, vcc_lo
	s_mov_b32 s22, 0
	s_mov_b32 s24, 0
.LBB70_35:                              ;   Parent Loop BB70_5 Depth=1
                                        ; =>  This Loop Header: Depth=2
                                        ;       Child Loop BB70_38 Depth 3
                                        ;         Child Loop BB70_39 Depth 4
                                        ;         Child Loop BB70_42 Depth 4
                                        ;           Child Loop BB70_43 Depth 5
                                        ;         Child Loop BB70_48 Depth 4
                                        ;           Child Loop BB70_50 Depth 5
	s_mov_b32 s25, s19
	s_getpc_b64 s[2:3]
	s_wait_alu 0xfffe
	s_sext_i32_i16 s3, s3
	s_add_co_u32 s2, s2, __const._ZL30rocblas_trsm_small_left_deviceILi4ELi4ELb1EddPKPKdPKPdEv13rocblas_fill_18rocblas_operation_17rocblas_diagonal_iiT3_T4_lilT5_lili.step_sizes@rel32@lo+12
	s_wait_alu 0xfffe
	s_add_co_ci_u32 s3, s3, __const._ZL30rocblas_trsm_small_left_deviceILi4ELi4ELb1EddPKPKdPKPdEv13rocblas_fill_18rocblas_operation_17rocblas_diagonal_iiT3_T4_lilT5_lili.step_sizes@rel32@hi+24
	s_lshl_b64 s[4:5], s[24:25], 2
	s_wait_alu 0xfffe
	s_add_nc_u64 s[2:3], s[2:3], s[4:5]
	s_load_b32 s26, s[2:3], 0x0
	s_wait_kmcnt 0x0
	s_add_co_i32 s25, s26, -1
	s_wait_alu 0xfffe
	s_add_co_i32 s2, s25, s22
	s_wait_alu 0xfffe
	s_cmp_ge_i32 s2, s36
	s_cbranch_scc1 .LBB70_52
; %bb.36:                               ;   in Loop: Header=BB70_35 Depth=2
	s_ashr_i32 s23, s22, 31
	s_ashr_i32 s27, s26, 31
	s_lshl_b64 s[2:3], s[22:23], 3
	s_max_i32 s42, s26, 1
	s_wait_alu 0xfffe
	v_add_co_u32 v10, vcc_lo, v14, s2
	s_wait_alu 0xfffd
	v_add_co_ci_u32_e64 v11, null, s3, v15, vcc_lo
	s_lshl_b64 s[28:29], s[26:27], 3
	s_lshl_b32 s23, s22, 3
	s_lshl_b32 s27, s26, 3
	s_mul_i32 s43, s22, 40
	s_mul_i32 s44, s26, 40
	s_branch .LBB70_38
.LBB70_37:                              ;   in Loop: Header=BB70_38 Depth=3
	v_add_co_u32 v10, vcc_lo, v10, s28
	s_add_co_i32 s22, s22, s26
	s_wait_alu 0xfffd
	v_add_co_ci_u32_e64 v11, null, s29, v11, vcc_lo
	s_add_co_i32 s2, s25, s22
	s_add_co_i32 s23, s23, s27
	;; [unrolled: 1-line block ×3, first 2 shown]
	s_wait_alu 0xfffe
	s_cmp_ge_i32 s2, s36
	s_cbranch_scc1 .LBB70_52
.LBB70_38:                              ;   Parent Loop BB70_5 Depth=1
                                        ;     Parent Loop BB70_35 Depth=2
                                        ; =>    This Loop Header: Depth=3
                                        ;         Child Loop BB70_39 Depth 4
                                        ;         Child Loop BB70_42 Depth 4
                                        ;           Child Loop BB70_43 Depth 5
                                        ;         Child Loop BB70_48 Depth 4
                                        ;           Child Loop BB70_50 Depth 5
	v_dual_mov_b32 v13, v11 :: v_dual_mov_b32 v12, v10
	s_mov_b64 s[30:31], 0
.LBB70_39:                              ;   Parent Loop BB70_5 Depth=1
                                        ;     Parent Loop BB70_35 Depth=2
                                        ;       Parent Loop BB70_38 Depth=3
                                        ; =>      This Inner Loop Header: Depth=4
	flat_load_b64 v[16:17], v[12:13]
	s_cmp_eq_u32 s30, 3
	v_add_co_u32 v12, vcc_lo, v12, 8
	s_wait_alu 0xfffd
	v_add_co_ci_u32_e64 v13, null, 0, v13, vcc_lo
	s_cselect_b32 vcc_lo, -1, 0
	s_cmp_eq_u32 s30, 2
	s_cselect_b32 s2, -1, 0
	s_cmp_eq_u32 s30, 1
	s_cselect_b32 s3, -1, 0
	s_cmp_eq_u32 s30, 0
	s_add_nc_u64 s[30:31], s[30:31], 1
	s_cselect_b32 s4, -1, 0
	s_cmp_eq_u32 s42, s30
	s_wait_loadcnt_dscnt 0x0
	v_mul_f64_e32 v[16:17], s[8:9], v[16:17]
	s_wait_alu 0xfffe
	s_delay_alu instid0(VALU_DEP_1)
	v_dual_cndmask_b32 v9, v9, v17 :: v_dual_cndmask_b32 v8, v8, v16
	v_cndmask_b32_e64 v7, v7, v17, s2
	v_cndmask_b32_e64 v6, v6, v16, s2
	;; [unrolled: 1-line block ×6, first 2 shown]
	s_cbranch_scc0 .LBB70_39
; %bb.40:                               ;   in Loop: Header=BB70_38 Depth=3
	s_cmp_lt_i32 s22, 1
	s_cbranch_scc1 .LBB70_45
; %bb.41:                               ;   in Loop: Header=BB70_38 Depth=3
	s_mov_b32 s18, 0
	s_mov_b32 s5, s23
.LBB70_42:                              ;   Parent Loop BB70_5 Depth=1
                                        ;     Parent Loop BB70_35 Depth=2
                                        ;       Parent Loop BB70_38 Depth=3
                                        ; =>      This Loop Header: Depth=4
                                        ;           Child Loop BB70_43 Depth 5
	s_wait_alu 0xfffe
	s_lshl_b64 s[2:3], s[18:19], 3
	s_mov_b64 s[30:31], 0
	s_wait_alu 0xfffe
	v_add_co_u32 v12, vcc_lo, v28, s2
	s_wait_alu 0xfffd
	v_add_co_ci_u32_e64 v13, null, s3, v29, vcc_lo
	s_mov_b32 s34, s5
	flat_load_b64 v[12:13], v[12:13]
.LBB70_43:                              ;   Parent Loop BB70_5 Depth=1
                                        ;     Parent Loop BB70_35 Depth=2
                                        ;       Parent Loop BB70_38 Depth=3
                                        ;         Parent Loop BB70_42 Depth=4
                                        ; =>        This Inner Loop Header: Depth=5
	s_cmp_eq_u32 s30, 1
	s_cselect_b32 vcc_lo, -1, 0
	s_wait_alu 0xfffe
	v_dual_mov_b32 v16, s34 :: v_dual_cndmask_b32 v21, v2, v4
	v_cndmask_b32_e32 v20, v3, v5, vcc_lo
	s_cmp_eq_u32 s30, 2
	ds_load_b64 v[16:17], v16
	s_cselect_b32 s2, -1, 0
	s_cmp_eq_u32 s30, 3
	s_wait_alu 0xfffe
	v_cndmask_b32_e64 v20, v20, v7, s2
	v_cndmask_b32_e64 v22, v21, v6, s2
	s_cselect_b32 s3, -1, 0
	s_cmp_eq_u32 s30, 0
	s_add_nc_u64 s[30:31], s[30:31], 1
	s_wait_alu 0xfffe
	v_cndmask_b32_e64 v21, v20, v9, s3
	v_cndmask_b32_e64 v20, v22, v8, s3
	s_cselect_b32 s4, -1, 0
	s_add_co_i32 s34, s34, 8
	s_cmp_eq_u32 s42, s30
	s_wait_loadcnt_dscnt 0x0
	v_fma_f64 v[16:17], -v[12:13], v[16:17], v[20:21]
	s_delay_alu instid0(VALU_DEP_1) | instskip(NEXT) | instid1(VALU_DEP_2)
	v_cndmask_b32_e64 v9, v9, v17, s3
	v_cndmask_b32_e64 v8, v8, v16, s3
	;; [unrolled: 1-line block ×4, first 2 shown]
	v_dual_cndmask_b32 v5, v5, v17 :: v_dual_cndmask_b32 v4, v4, v16
	s_wait_alu 0xfffe
	v_cndmask_b32_e64 v3, v3, v17, s4
	v_cndmask_b32_e64 v2, v2, v16, s4
	s_cbranch_scc0 .LBB70_43
; %bb.44:                               ;   in Loop: Header=BB70_42 Depth=4
	s_add_co_i32 s18, s18, 1
	s_add_co_i32 s5, s5, 32
	s_wait_alu 0xfffe
	s_cmp_eq_u32 s18, s22
	s_cbranch_scc0 .LBB70_42
.LBB70_45:                              ;   in Loop: Header=BB70_38 Depth=3
	s_mov_b64 s[30:31], 0
	s_mov_b32 s18, s43
	s_branch .LBB70_48
.LBB70_46:                              ;   in Loop: Header=BB70_48 Depth=4
	s_mov_b64 s[4:5], 0
.LBB70_47:                              ;   in Loop: Header=BB70_48 Depth=4
	s_add_co_i32 s34, s30, s22
	s_wait_alu 0xfffe
	s_cmp_eq_u32 s4, 1
	s_mul_i32 s2, s34, 40
	s_cselect_b32 vcc_lo, -1, 0
	s_wait_alu 0xfffe
	v_dual_mov_b32 v12, s2 :: v_dual_cndmask_b32 v17, v2, v4
	v_cndmask_b32_e32 v16, v3, v5, vcc_lo
	s_cmp_eq_u32 s4, 2
	s_add_nc_u64 s[30:31], s[30:31], 1
	ds_load_b64 v[12:13], v12
	s_cselect_b32 s2, -1, 0
	s_cmp_eq_u32 s4, 3
	s_wait_alu 0xfffe
	v_cndmask_b32_e64 v16, v16, v7, s2
	v_cndmask_b32_e64 v20, v17, v6, s2
	s_cselect_b32 s3, -1, 0
	s_cmp_eq_u32 s4, 0
	s_wait_alu 0xfffe
	v_cndmask_b32_e64 v17, v16, v9, s3
	v_cndmask_b32_e64 v16, v20, v8, s3
	s_cselect_b32 s4, -1, 0
	s_ashr_i32 s35, s34, 31
	s_add_co_i32 s18, s18, 8
	s_wait_alu 0xfffe
	s_lshl_b64 s[34:35], s[34:35], 3
	s_cmp_eq_u32 s30, s42
	s_wait_dscnt 0x0
	v_mul_f64_e32 v[12:13], v[16:17], v[12:13]
	s_wait_alu 0xfffe
	v_add_co_u32 v16, s5, v28, s34
	s_wait_alu 0xf1ff
	v_add_co_ci_u32_e64 v17, null, s35, v29, s5
	s_delay_alu instid0(VALU_DEP_3) | instskip(NEXT) | instid1(VALU_DEP_4)
	v_cndmask_b32_e64 v9, v9, v13, s3
	v_cndmask_b32_e64 v8, v8, v12, s3
	;; [unrolled: 1-line block ×4, first 2 shown]
	v_dual_cndmask_b32 v5, v5, v13 :: v_dual_cndmask_b32 v4, v4, v12
	v_cndmask_b32_e64 v3, v3, v13, s4
	v_cndmask_b32_e64 v2, v2, v12, s4
	flat_store_b64 v[16:17], v[12:13]
	s_cbranch_scc1 .LBB70_37
.LBB70_48:                              ;   Parent Loop BB70_5 Depth=1
                                        ;     Parent Loop BB70_35 Depth=2
                                        ;       Parent Loop BB70_38 Depth=3
                                        ; =>      This Loop Header: Depth=4
                                        ;           Child Loop BB70_50 Depth 5
	s_cmp_eq_u32 s30, 0
	s_cbranch_scc1 .LBB70_46
; %bb.49:                               ;   in Loop: Header=BB70_48 Depth=4
	s_mov_b64 s[34:35], 0
	s_wait_alu 0xfffe
	s_mov_b32 s5, s18
.LBB70_50:                              ;   Parent Loop BB70_5 Depth=1
                                        ;     Parent Loop BB70_35 Depth=2
                                        ;       Parent Loop BB70_38 Depth=3
                                        ;         Parent Loop BB70_48 Depth=4
                                        ; =>        This Inner Loop Header: Depth=5
	s_cmp_eq_u32 s34, 1
	s_cselect_b32 vcc_lo, -1, 0
	s_wait_alu 0xfffe
	v_dual_mov_b32 v12, s5 :: v_dual_cndmask_b32 v17, v2, v4
	s_cmp_eq_u32 s34, 2
	v_cndmask_b32_e32 v16, v3, v5, vcc_lo
	s_cselect_b32 s2, -1, 0
	s_cmp_eq_u32 s34, 3
	ds_load_b64 v[12:13], v12
	s_cselect_b32 vcc_lo, -1, 0
	s_cmp_eq_u32 s30, 1
	s_wait_alu 0xfffe
	v_cndmask_b32_e64 v16, v16, v7, s2
	v_cndmask_b32_e64 v20, v17, v6, s2
	s_cselect_b32 s2, -1, 0
	s_cmp_eq_u32 s30, 2
	s_wait_alu 0xfffe
	v_cndmask_b32_e64 v21, v3, v5, s2
	v_cndmask_b32_e64 v22, v2, v4, s2
	s_cselect_b32 s3, -1, 0
	s_cmp_eq_u32 s30, 3
	s_add_nc_u64 s[34:35], s[34:35], 1
	s_wait_alu 0xfffe
	v_cndmask_b32_e64 v22, v22, v6, s3
	v_cndmask_b32_e32 v17, v16, v9, vcc_lo
	v_cndmask_b32_e32 v16, v20, v8, vcc_lo
	v_cndmask_b32_e64 v20, v21, v7, s3
	s_cselect_b32 vcc_lo, -1, 0
	s_cmp_eq_u32 s30, 0
	s_cselect_b32 s4, -1, 0
	s_wait_alu 0xfffe
	v_dual_cndmask_b32 v21, v20, v9 :: v_dual_cndmask_b32 v20, v22, v8
	s_add_co_i32 s5, s5, 32
	s_cmp_eq_u32 s30, s34
	s_wait_dscnt 0x0
	s_delay_alu instid0(VALU_DEP_1) | instskip(NEXT) | instid1(VALU_DEP_1)
	v_fma_f64 v[12:13], -v[16:17], v[12:13], v[20:21]
	v_dual_cndmask_b32 v9, v9, v13 :: v_dual_cndmask_b32 v8, v8, v12
	v_cndmask_b32_e64 v7, v7, v13, s3
	v_cndmask_b32_e64 v6, v6, v12, s3
	;; [unrolled: 1-line block ×6, first 2 shown]
	s_cbranch_scc0 .LBB70_50
; %bb.51:                               ;   in Loop: Header=BB70_48 Depth=4
	s_mov_b64 s[4:5], s[30:31]
	s_branch .LBB70_47
.LBB70_52:                              ;   in Loop: Header=BB70_35 Depth=2
	s_cmp_lt_i32 s22, s36
	s_cselect_b32 s3, -1, 0
	s_add_co_i32 s2, s24, 1
	s_cmp_lt_u32 s24, 2
	s_cselect_b32 s4, -1, 0
	s_wait_alu 0xfffe
	s_and_b32 s3, s3, s4
	s_wait_alu 0xfffe
	s_and_not1_b32 vcc_lo, exec_lo, s3
	s_wait_alu 0xfffe
	s_cbranch_vccnz .LBB70_2
; %bb.53:                               ;   in Loop: Header=BB70_35 Depth=2
	s_mov_b32 s24, s2
	s_branch .LBB70_35
.LBB70_54:
	s_endpgm
	.section	.rodata,"a",@progbits
	.p2align	6, 0x0
	.amdhsa_kernel _ZL30rocblas_trsm_small_left_deviceILi4ELi4ELb1EddPKPKdPKPdEv13rocblas_fill_18rocblas_operation_17rocblas_diagonal_iiT3_T4_lilT5_lili
		.amdhsa_group_segment_fixed_size 128
		.amdhsa_private_segment_fixed_size 0
		.amdhsa_kernarg_size 360
		.amdhsa_user_sgpr_count 2
		.amdhsa_user_sgpr_dispatch_ptr 0
		.amdhsa_user_sgpr_queue_ptr 0
		.amdhsa_user_sgpr_kernarg_segment_ptr 1
		.amdhsa_user_sgpr_dispatch_id 0
		.amdhsa_user_sgpr_private_segment_size 0
		.amdhsa_wavefront_size32 1
		.amdhsa_uses_dynamic_stack 0
		.amdhsa_enable_private_segment 0
		.amdhsa_system_sgpr_workgroup_id_x 1
		.amdhsa_system_sgpr_workgroup_id_y 0
		.amdhsa_system_sgpr_workgroup_id_z 1
		.amdhsa_system_sgpr_workgroup_info 0
		.amdhsa_system_vgpr_workitem_id 0
		.amdhsa_next_free_vgpr 37
		.amdhsa_next_free_sgpr 45
		.amdhsa_reserve_vcc 1
		.amdhsa_float_round_mode_32 0
		.amdhsa_float_round_mode_16_64 0
		.amdhsa_float_denorm_mode_32 3
		.amdhsa_float_denorm_mode_16_64 3
		.amdhsa_fp16_overflow 0
		.amdhsa_workgroup_processor_mode 1
		.amdhsa_memory_ordered 1
		.amdhsa_forward_progress 1
		.amdhsa_inst_pref_size 27
		.amdhsa_round_robin_scheduling 0
		.amdhsa_exception_fp_ieee_invalid_op 0
		.amdhsa_exception_fp_denorm_src 0
		.amdhsa_exception_fp_ieee_div_zero 0
		.amdhsa_exception_fp_ieee_overflow 0
		.amdhsa_exception_fp_ieee_underflow 0
		.amdhsa_exception_fp_ieee_inexact 0
		.amdhsa_exception_int_div_zero 0
	.end_amdhsa_kernel
	.section	.text._ZL30rocblas_trsm_small_left_deviceILi4ELi4ELb1EddPKPKdPKPdEv13rocblas_fill_18rocblas_operation_17rocblas_diagonal_iiT3_T4_lilT5_lili,"axG",@progbits,_ZL30rocblas_trsm_small_left_deviceILi4ELi4ELb1EddPKPKdPKPdEv13rocblas_fill_18rocblas_operation_17rocblas_diagonal_iiT3_T4_lilT5_lili,comdat
.Lfunc_end70:
	.size	_ZL30rocblas_trsm_small_left_deviceILi4ELi4ELb1EddPKPKdPKPdEv13rocblas_fill_18rocblas_operation_17rocblas_diagonal_iiT3_T4_lilT5_lili, .Lfunc_end70-_ZL30rocblas_trsm_small_left_deviceILi4ELi4ELb1EddPKPKdPKPdEv13rocblas_fill_18rocblas_operation_17rocblas_diagonal_iiT3_T4_lilT5_lili
                                        ; -- End function
	.set _ZL30rocblas_trsm_small_left_deviceILi4ELi4ELb1EddPKPKdPKPdEv13rocblas_fill_18rocblas_operation_17rocblas_diagonal_iiT3_T4_lilT5_lili.num_vgpr, 37
	.set _ZL30rocblas_trsm_small_left_deviceILi4ELi4ELb1EddPKPKdPKPdEv13rocblas_fill_18rocblas_operation_17rocblas_diagonal_iiT3_T4_lilT5_lili.num_agpr, 0
	.set _ZL30rocblas_trsm_small_left_deviceILi4ELi4ELb1EddPKPKdPKPdEv13rocblas_fill_18rocblas_operation_17rocblas_diagonal_iiT3_T4_lilT5_lili.numbered_sgpr, 45
	.set _ZL30rocblas_trsm_small_left_deviceILi4ELi4ELb1EddPKPKdPKPdEv13rocblas_fill_18rocblas_operation_17rocblas_diagonal_iiT3_T4_lilT5_lili.num_named_barrier, 0
	.set _ZL30rocblas_trsm_small_left_deviceILi4ELi4ELb1EddPKPKdPKPdEv13rocblas_fill_18rocblas_operation_17rocblas_diagonal_iiT3_T4_lilT5_lili.private_seg_size, 0
	.set _ZL30rocblas_trsm_small_left_deviceILi4ELi4ELb1EddPKPKdPKPdEv13rocblas_fill_18rocblas_operation_17rocblas_diagonal_iiT3_T4_lilT5_lili.uses_vcc, 1
	.set _ZL30rocblas_trsm_small_left_deviceILi4ELi4ELb1EddPKPKdPKPdEv13rocblas_fill_18rocblas_operation_17rocblas_diagonal_iiT3_T4_lilT5_lili.uses_flat_scratch, 0
	.set _ZL30rocblas_trsm_small_left_deviceILi4ELi4ELb1EddPKPKdPKPdEv13rocblas_fill_18rocblas_operation_17rocblas_diagonal_iiT3_T4_lilT5_lili.has_dyn_sized_stack, 0
	.set _ZL30rocblas_trsm_small_left_deviceILi4ELi4ELb1EddPKPKdPKPdEv13rocblas_fill_18rocblas_operation_17rocblas_diagonal_iiT3_T4_lilT5_lili.has_recursion, 0
	.set _ZL30rocblas_trsm_small_left_deviceILi4ELi4ELb1EddPKPKdPKPdEv13rocblas_fill_18rocblas_operation_17rocblas_diagonal_iiT3_T4_lilT5_lili.has_indirect_call, 0
	.section	.AMDGPU.csdata,"",@progbits
; Kernel info:
; codeLenInByte = 3396
; TotalNumSgprs: 47
; NumVgprs: 37
; ScratchSize: 0
; MemoryBound: 0
; FloatMode: 240
; IeeeMode: 1
; LDSByteSize: 128 bytes/workgroup (compile time only)
; SGPRBlocks: 0
; VGPRBlocks: 4
; NumSGPRsForWavesPerEU: 47
; NumVGPRsForWavesPerEU: 37
; Occupancy: 16
; WaveLimiterHint : 1
; COMPUTE_PGM_RSRC2:SCRATCH_EN: 0
; COMPUTE_PGM_RSRC2:USER_SGPR: 2
; COMPUTE_PGM_RSRC2:TRAP_HANDLER: 0
; COMPUTE_PGM_RSRC2:TGID_X_EN: 1
; COMPUTE_PGM_RSRC2:TGID_Y_EN: 0
; COMPUTE_PGM_RSRC2:TGID_Z_EN: 1
; COMPUTE_PGM_RSRC2:TIDIG_COMP_CNT: 0
	.section	.text._ZL31rocblas_trsm_small_right_deviceIddPKPKdPKPdLi4EEv13rocblas_fill_18rocblas_operation_17rocblas_diagonal_iiT0_T1_lilT2_lili,"axG",@progbits,_ZL31rocblas_trsm_small_right_deviceIddPKPKdPKPdLi4EEv13rocblas_fill_18rocblas_operation_17rocblas_diagonal_iiT0_T1_lilT2_lili,comdat
	.globl	_ZL31rocblas_trsm_small_right_deviceIddPKPKdPKPdLi4EEv13rocblas_fill_18rocblas_operation_17rocblas_diagonal_iiT0_T1_lilT2_lili ; -- Begin function _ZL31rocblas_trsm_small_right_deviceIddPKPKdPKPdLi4EEv13rocblas_fill_18rocblas_operation_17rocblas_diagonal_iiT0_T1_lilT2_lili
	.p2align	8
	.type	_ZL31rocblas_trsm_small_right_deviceIddPKPKdPKPdLi4EEv13rocblas_fill_18rocblas_operation_17rocblas_diagonal_iiT0_T1_lilT2_lili,@function
_ZL31rocblas_trsm_small_right_deviceIddPKPKdPKPdLi4EEv13rocblas_fill_18rocblas_operation_17rocblas_diagonal_iiT0_T1_lilT2_lili: ; @_ZL31rocblas_trsm_small_right_deviceIddPKPKdPKPdLi4EEv13rocblas_fill_18rocblas_operation_17rocblas_diagonal_iiT0_T1_lilT2_lili
; %bb.0:
	s_load_b32 s24, s[0:1], 0x60
	s_lshr_b32 s2, ttmp7, 16
	s_wait_kmcnt 0x0
	s_cmp_ge_u32 s2, s24
	s_cbranch_scc1 .LBB71_67
; %bb.1:
	s_clause 0x6
	s_load_b96 s[16:18], s[0:1], 0x28
	s_load_b32 s22, s[0:1], 0x50
	s_load_b128 s[12:15], s[0:1], 0x0
	s_load_b32 s25, s[0:1], 0x10
	s_load_b32 s3, s[0:1], 0x68
	s_load_b128 s[4:7], s[0:1], 0x18
	s_load_b128 s[8:11], s[0:1], 0x40
	s_mov_b32 s20, ttmp9
	v_lshlrev_b32_e32 v7, 3, v0
	v_dual_mov_b32 v1, 0 :: v_dual_lshlrev_b32 v2, 5, v0
	s_delay_alu instid0(VALU_DEP_1)
	v_dual_mov_b32 v2, 0x3ff00000 :: v_dual_add_nc_u32 v15, v7, v2
	v_or_b32_e32 v8, 0x80, v7
	s_wait_kmcnt 0x0
	s_ashr_i32 s19, s18, 31
	s_ashr_i32 s23, s22, 31
	s_cmp_lg_u32 s12, 0x7a
	s_cselect_b32 s0, -1, 0
	s_min_i32 s1, s25, 4
	s_lshl_b32 s21, ttmp9, 2
	s_add_co_i32 s3, s3, -1
	s_add_co_i32 s26, s1, -1
	s_sub_co_i32 s15, s15, s21
	s_cmp_ge_u32 ttmp9, s3
	s_mul_i32 s42, s26, 40
	s_cselect_b32 s15, s15, 4
	s_ashr_i32 s21, ttmp9, 31
	v_cmp_gt_i32_e32 vcc_lo, s15, v0
	s_lshl_b64 s[20:21], s[20:21], 5
	s_cmp_eq_u32 s14, 0x84
	s_mov_b32 s3, 0
	s_cselect_b32 s27, -1, 0
	s_cmp_gt_i32 s25, 0
	s_cselect_b32 s14, -1, 0
	s_cmp_lg_u32 s13, 0x6f
	s_cselect_b32 s13, -1, 0
	s_cmp_lg_u32 s12, 0x79
	s_cselect_b32 s12, -1, 0
	s_or_b32 s28, s0, s13
	s_or_b32 s29, s12, s13
	s_cmp_gt_i32 s25, 3
	v_cndmask_b32_e64 v9, 0, 1, s12
	s_cselect_b32 s30, -1, 0
	s_lshl_b32 s46, s1, 5
	s_lshl_b32 s12, s26, 5
	s_add_co_i32 s13, s1, -2
	v_or_b32_e32 v3, s46, v7
	s_wait_alu 0xfffe
	s_and_b32 s31, vcc_lo, s14
	s_add_co_i32 s14, s1, -3
	v_add_nc_u32_e32 v10, s12, v8
	s_add_co_i32 s12, s1, -4
	s_lshl_b32 s34, s13, 3
	s_sub_co_i32 s35, s42, 40
	s_lshl_b32 s33, s13, 5
	s_wait_alu 0xfffe
	s_lshl_b32 s48, s14, 5
	s_lshl_b32 s49, s12, 5
	;; [unrolled: 1-line block ×3, first 2 shown]
	s_sub_co_i32 s38, s35, s34
	s_lshl_b32 s47, s1, 3
	v_cmp_gt_i32_e64 s0, s1, v0
	v_add_nc_u32_e32 v11, s33, v8
	v_add_nc_u32_e32 v12, s48, v8
	;; [unrolled: 1-line block ×4, first 2 shown]
	v_lshlrev_b32_e32 v0, 3, v0
	s_sub_co_i32 s37, s42, s36
	s_wait_alu 0xfffe
	s_add_co_i32 s38, s38, s47
	s_lshl_b32 s50, s14, 3
	s_lshl_b32 s51, s12, 3
	s_add_co_i32 s39, s37, s34
	s_sub_co_i32 s40, s38, 32
	s_sub_co_i32 s41, s38, 64
	s_addk_co_i32 s42, 0xff88
	s_add_co_i32 s43, s1, -5
	s_sub_co_i32 s44, s38, 40
	s_add_co_i32 s45, s38, 0xffffffb0
	s_lshl_b64 s[12:13], s[18:19], 3
	s_lshl_b64 s[14:15], s[22:23], 3
	s_sub_co_i32 s22, s46, 32
	s_sub_co_i32 s23, s46, 40
	s_add_co_i32 s46, s47, -8
	s_sub_co_i32 s47, s47, 40
	s_lshl_b64 s[16:17], s[16:17], 3
	s_lshl_b64 s[10:11], s[10:11], 3
	s_add_co_i32 s48, s48, s50
	s_add_co_i32 s49, s49, s51
	s_branch .LBB71_3
.LBB71_2:                               ;   in Loop: Header=BB71_3 Depth=1
	s_wait_alu 0xfffe
	s_or_b32 exec_lo, exec_lo, s18
	s_add_co_i32 s2, s2, 0x10000
	s_delay_alu instid0(SALU_CYCLE_1)
	s_cmp_lt_u32 s2, s24
	s_cbranch_scc0 .LBB71_67
.LBB71_3:                               ; =>This Loop Header: Depth=1
                                        ;     Child Loop BB71_5 Depth 2
                                        ;     Child Loop BB71_10 Depth 2
	;; [unrolled: 1-line block ×3, first 2 shown]
                                        ;       Child Loop BB71_20 Depth 3
                                        ;     Child Loop BB71_29 Depth 2
                                        ;     Child Loop BB71_34 Depth 2
                                        ;       Child Loop BB71_35 Depth 3
                                        ;       Child Loop BB71_37 Depth 3
                                        ;     Child Loop BB71_46 Depth 2
                                        ;     Child Loop BB71_51 Depth 2
                                        ;       Child Loop BB71_52 Depth 3
                                        ;       Child Loop BB71_54 Depth 3
                                        ;     Child Loop BB71_62 Depth 2
                                        ;       Child Loop BB71_63 Depth 3
                                        ;     Child Loop BB71_66 Depth 2
	s_lshl_b64 s[18:19], s[2:3], 3
	s_wait_alu 0xfffe
	s_add_nc_u64 s[50:51], s[8:9], s[18:19]
	global_load_b64 v[3:4], v1, s[50:51]
	s_and_saveexec_b32 s50, s0
	s_cbranch_execz .LBB71_8
; %bb.4:                                ;   in Loop: Header=BB71_3 Depth=1
	s_add_nc_u64 s[18:19], s[6:7], s[18:19]
	v_mov_b32_e32 v16, v7
	global_load_b64 v[5:6], v1, s[18:19]
	s_mov_b32 s18, s1
	s_wait_loadcnt 0x0
	v_add_co_u32 v5, vcc_lo, v5, s16
	s_wait_alu 0xfffd
	v_add_co_ci_u32_e64 v6, null, s17, v6, vcc_lo
	s_delay_alu instid0(VALU_DEP_2) | instskip(SKIP_1) | instid1(VALU_DEP_2)
	v_add_co_u32 v5, vcc_lo, v5, v0
	s_wait_alu 0xfffd
	v_add_co_ci_u32_e64 v6, null, 0, v6, vcc_lo
.LBB71_5:                               ;   Parent Loop BB71_3 Depth=1
                                        ; =>  This Inner Loop Header: Depth=2
	flat_load_b64 v[17:18], v[5:6]
	s_wait_alu 0xfffe
	v_add_co_u32 v5, vcc_lo, v5, s12
	s_wait_alu 0xfffd
	v_add_co_ci_u32_e64 v6, null, s13, v6, vcc_lo
	s_add_co_i32 s18, s18, -1
	s_wait_alu 0xfffe
	s_cmp_eq_u32 s18, 0
	s_wait_loadcnt_dscnt 0x0
	ds_store_b64 v16, v[17:18]
	v_add_nc_u32_e32 v16, 32, v16
	s_cbranch_scc0 .LBB71_5
; %bb.6:                                ;   in Loop: Header=BB71_3 Depth=1
	s_and_b32 vcc_lo, exec_lo, s27
	s_wait_alu 0xfffe
	s_cbranch_vccz .LBB71_8
; %bb.7:                                ;   in Loop: Header=BB71_3 Depth=1
	ds_store_b64 v15, v[1:2]
.LBB71_8:                               ;   in Loop: Header=BB71_3 Depth=1
	s_wait_alu 0xfffe
	s_or_b32 exec_lo, exec_lo, s50
	s_wait_loadcnt 0x0
	v_add_co_u32 v3, vcc_lo, v3, s10
	s_wait_alu 0xfffd
	v_add_co_ci_u32_e64 v4, null, s11, v4, vcc_lo
	s_delay_alu instid0(VALU_DEP_2) | instskip(SKIP_1) | instid1(VALU_DEP_2)
	v_add_co_u32 v16, vcc_lo, v3, s20
	s_wait_alu 0xfffd
	v_add_co_ci_u32_e64 v17, null, s21, v4, vcc_lo
	s_and_saveexec_b32 s18, s31
	s_cbranch_execz .LBB71_11
; %bb.9:                                ;   in Loop: Header=BB71_3 Depth=1
	v_add_co_u32 v3, vcc_lo, v16, v0
	s_wait_alu 0xfffd
	v_add_co_ci_u32_e64 v4, null, 0, v17, vcc_lo
	v_mov_b32_e32 v5, v8
	s_mov_b32 s19, s25
.LBB71_10:                              ;   Parent Loop BB71_3 Depth=1
                                        ; =>  This Inner Loop Header: Depth=2
	flat_load_b64 v[18:19], v[3:4]
	s_wait_alu 0xfffe
	v_add_co_u32 v3, vcc_lo, v3, s14
	s_wait_alu 0xfffd
	v_add_co_ci_u32_e64 v4, null, s15, v4, vcc_lo
	s_add_co_i32 s19, s19, -1
	s_wait_alu 0xfffe
	s_cmp_lg_u32 s19, 0
	s_wait_loadcnt_dscnt 0x0
	v_mul_f64_e32 v[18:19], s[4:5], v[18:19]
	ds_store_b64 v5, v[18:19]
	v_add_nc_u32_e32 v5, 32, v5
	s_cbranch_scc1 .LBB71_10
.LBB71_11:                              ;   in Loop: Header=BB71_3 Depth=1
	s_wait_alu 0xfffe
	s_or_b32 exec_lo, exec_lo, s18
	s_delay_alu instid0(SALU_CYCLE_1)
	s_and_b32 vcc_lo, exec_lo, s29
	s_mov_b32 s18, -1
	s_wait_dscnt 0x0
	; wave barrier
	global_inv scope:SCOPE_SE
	s_wait_alu 0xfffe
	s_cbranch_vccz .LBB71_56
; %bb.12:                               ;   in Loop: Header=BB71_3 Depth=1
	s_and_b32 vcc_lo, exec_lo, s28
	s_wait_alu 0xfffe
	s_cbranch_vccz .LBB71_39
; %bb.13:                               ;   in Loop: Header=BB71_3 Depth=1
	v_cmp_ne_u32_e32 vcc_lo, 1, v9
	s_cbranch_vccnz .LBB71_22
; %bb.14:                               ;   in Loop: Header=BB71_3 Depth=1
	s_and_b32 vcc_lo, exec_lo, s30
	s_mov_b32 s18, 0
	s_wait_alu 0xfffe
	s_cbranch_vccz .LBB71_16
; %bb.15:                               ;   in Loop: Header=BB71_3 Depth=1
	ds_load_2addr_b64 v[3:6], v8 offset1:4
	ds_load_b128 v[18:21], v1
	ds_load_b128 v[22:25], v1 offset:16
	s_mov_b32 s18, 4
	s_wait_dscnt 0x1
	v_div_scale_f64 v[26:27], null, v[18:19], v[18:19], v[3:4]
	v_div_scale_f64 v[32:33], vcc_lo, v[3:4], v[18:19], v[3:4]
	s_delay_alu instid0(VALU_DEP_2) | instskip(NEXT) | instid1(TRANS32_DEP_1)
	v_rcp_f64_e32 v[28:29], v[26:27]
	v_fma_f64 v[30:31], -v[26:27], v[28:29], 1.0
	s_delay_alu instid0(VALU_DEP_1) | instskip(NEXT) | instid1(VALU_DEP_1)
	v_fma_f64 v[28:29], v[28:29], v[30:31], v[28:29]
	v_fma_f64 v[30:31], -v[26:27], v[28:29], 1.0
	s_delay_alu instid0(VALU_DEP_1) | instskip(NEXT) | instid1(VALU_DEP_1)
	v_fma_f64 v[28:29], v[28:29], v[30:31], v[28:29]
	v_mul_f64_e32 v[30:31], v[32:33], v[28:29]
	s_delay_alu instid0(VALU_DEP_1) | instskip(SKIP_1) | instid1(VALU_DEP_1)
	v_fma_f64 v[26:27], -v[26:27], v[30:31], v[32:33]
	s_wait_alu 0xfffd
	v_div_fmas_f64 v[26:27], v[26:27], v[28:29], v[30:31]
	s_delay_alu instid0(VALU_DEP_1) | instskip(NEXT) | instid1(VALU_DEP_1)
	v_div_fixup_f64 v[30:31], v[26:27], v[18:19], v[3:4]
	v_fma_f64 v[32:33], -v[30:31], v[20:21], v[5:6]
	ds_load_2addr_b64 v[3:6], v1 offset0:5 offset1:6
	ds_load_b128 v[18:21], v1 offset:80
	s_wait_dscnt 0x1
	v_div_scale_f64 v[26:27], null, v[3:4], v[3:4], v[32:33]
	v_div_scale_f64 v[36:37], vcc_lo, v[32:33], v[3:4], v[32:33]
	s_delay_alu instid0(VALU_DEP_2) | instskip(NEXT) | instid1(TRANS32_DEP_1)
	v_rcp_f64_e32 v[28:29], v[26:27]
	v_fma_f64 v[34:35], -v[26:27], v[28:29], 1.0
	s_delay_alu instid0(VALU_DEP_1) | instskip(NEXT) | instid1(VALU_DEP_1)
	v_fma_f64 v[28:29], v[28:29], v[34:35], v[28:29]
	v_fma_f64 v[34:35], -v[26:27], v[28:29], 1.0
	s_delay_alu instid0(VALU_DEP_1) | instskip(NEXT) | instid1(VALU_DEP_1)
	v_fma_f64 v[28:29], v[28:29], v[34:35], v[28:29]
	v_mul_f64_e32 v[34:35], v[36:37], v[28:29]
	s_delay_alu instid0(VALU_DEP_1) | instskip(SKIP_1) | instid1(VALU_DEP_1)
	v_fma_f64 v[26:27], -v[26:27], v[34:35], v[36:37]
	s_wait_alu 0xfffd
	v_div_fmas_f64 v[34:35], v[26:27], v[28:29], v[34:35]
	ds_load_2addr_b64 v[26:29], v8 offset0:8 offset1:12
	s_wait_dscnt 0x0
	v_fma_f64 v[22:23], -v[30:31], v[22:23], v[26:27]
	v_fma_f64 v[24:25], -v[30:31], v[24:25], v[28:29]
	v_div_fixup_f64 v[26:27], v[34:35], v[3:4], v[32:33]
	s_delay_alu instid0(VALU_DEP_1) | instskip(SKIP_3) | instid1(VALU_DEP_2)
	v_fma_f64 v[22:23], -v[26:27], v[5:6], v[22:23]
	ds_store_2addr_b64 v8, v[30:31], v[26:27] offset1:4
	v_div_scale_f64 v[3:4], null, v[18:19], v[18:19], v[22:23]
	v_div_scale_f64 v[34:35], vcc_lo, v[22:23], v[18:19], v[22:23]
	v_rcp_f64_e32 v[5:6], v[3:4]
	s_delay_alu instid0(TRANS32_DEP_1) | instskip(NEXT) | instid1(VALU_DEP_1)
	v_fma_f64 v[32:33], -v[3:4], v[5:6], 1.0
	v_fma_f64 v[5:6], v[5:6], v[32:33], v[5:6]
	s_delay_alu instid0(VALU_DEP_1) | instskip(NEXT) | instid1(VALU_DEP_1)
	v_fma_f64 v[32:33], -v[3:4], v[5:6], 1.0
	v_fma_f64 v[5:6], v[5:6], v[32:33], v[5:6]
	s_delay_alu instid0(VALU_DEP_1) | instskip(NEXT) | instid1(VALU_DEP_1)
	v_mul_f64_e32 v[32:33], v[34:35], v[5:6]
	v_fma_f64 v[3:4], -v[3:4], v[32:33], v[34:35]
	s_wait_alu 0xfffd
	s_delay_alu instid0(VALU_DEP_1) | instskip(SKIP_4) | instid1(VALU_DEP_1)
	v_div_fmas_f64 v[28:29], v[3:4], v[5:6], v[32:33]
	ds_load_2addr_b64 v[3:6], v1 offset0:7 offset1:15
	s_wait_dscnt 0x0
	v_fma_f64 v[3:4], -v[26:27], v[3:4], v[24:25]
	v_div_fixup_f64 v[18:19], v[28:29], v[18:19], v[22:23]
	v_fma_f64 v[3:4], -v[18:19], v[20:21], v[3:4]
	s_delay_alu instid0(VALU_DEP_1) | instskip(NEXT) | instid1(VALU_DEP_1)
	v_div_scale_f64 v[20:21], null, v[5:6], v[5:6], v[3:4]
	v_rcp_f64_e32 v[22:23], v[20:21]
	s_delay_alu instid0(TRANS32_DEP_1) | instskip(NEXT) | instid1(VALU_DEP_1)
	v_fma_f64 v[24:25], -v[20:21], v[22:23], 1.0
	v_fma_f64 v[22:23], v[22:23], v[24:25], v[22:23]
	s_delay_alu instid0(VALU_DEP_1) | instskip(NEXT) | instid1(VALU_DEP_1)
	v_fma_f64 v[24:25], -v[20:21], v[22:23], 1.0
	v_fma_f64 v[22:23], v[22:23], v[24:25], v[22:23]
	v_div_scale_f64 v[24:25], vcc_lo, v[3:4], v[5:6], v[3:4]
	s_delay_alu instid0(VALU_DEP_1) | instskip(NEXT) | instid1(VALU_DEP_1)
	v_mul_f64_e32 v[28:29], v[24:25], v[22:23]
	v_fma_f64 v[20:21], -v[20:21], v[28:29], v[24:25]
	s_wait_alu 0xfffd
	s_delay_alu instid0(VALU_DEP_1) | instskip(NEXT) | instid1(VALU_DEP_1)
	v_div_fmas_f64 v[20:21], v[20:21], v[22:23], v[28:29]
	v_div_fixup_f64 v[3:4], v[20:21], v[5:6], v[3:4]
	ds_store_2addr_b64 v8, v[18:19], v[3:4] offset0:8 offset1:12
.LBB71_16:                              ;   in Loop: Header=BB71_3 Depth=1
	s_wait_alu 0xfffe
	s_cmp_ge_i32 s18, s1
	s_cbranch_scc1 .LBB71_21
; %bb.17:                               ;   in Loop: Header=BB71_3 Depth=1
	s_lshl_b32 s19, s18, 3
	s_branch .LBB71_19
.LBB71_18:                              ;   in Loop: Header=BB71_19 Depth=2
	s_lshl_b32 s51, s18, 3
	s_add_co_i32 s18, s18, 1
	s_wait_alu 0xfffe
	s_add_co_i32 s50, s51, s50
	s_add_co_i32 s19, s19, 8
	s_wait_alu 0xfffe
	v_mov_b32_e32 v6, s50
	s_cmp_ge_i32 s18, s1
	ds_load_b64 v[18:19], v6
	s_wait_dscnt 0x0
	v_div_scale_f64 v[20:21], null, v[18:19], v[18:19], v[3:4]
	s_delay_alu instid0(VALU_DEP_1) | instskip(NEXT) | instid1(TRANS32_DEP_1)
	v_rcp_f64_e32 v[22:23], v[20:21]
	v_fma_f64 v[24:25], -v[20:21], v[22:23], 1.0
	s_delay_alu instid0(VALU_DEP_1) | instskip(NEXT) | instid1(VALU_DEP_1)
	v_fma_f64 v[22:23], v[22:23], v[24:25], v[22:23]
	v_fma_f64 v[24:25], -v[20:21], v[22:23], 1.0
	s_delay_alu instid0(VALU_DEP_1) | instskip(SKIP_1) | instid1(VALU_DEP_1)
	v_fma_f64 v[22:23], v[22:23], v[24:25], v[22:23]
	v_div_scale_f64 v[24:25], vcc_lo, v[3:4], v[18:19], v[3:4]
	v_mul_f64_e32 v[26:27], v[24:25], v[22:23]
	s_delay_alu instid0(VALU_DEP_1) | instskip(SKIP_1) | instid1(VALU_DEP_1)
	v_fma_f64 v[20:21], -v[20:21], v[26:27], v[24:25]
	s_wait_alu 0xfffd
	v_div_fmas_f64 v[20:21], v[20:21], v[22:23], v[26:27]
	s_delay_alu instid0(VALU_DEP_1)
	v_div_fixup_f64 v[3:4], v[20:21], v[18:19], v[3:4]
	ds_store_b64 v5, v[3:4]
	s_cbranch_scc1 .LBB71_21
.LBB71_19:                              ;   Parent Loop BB71_3 Depth=1
                                        ; =>  This Loop Header: Depth=2
                                        ;       Child Loop BB71_20 Depth 3
	s_lshl_b32 s50, s18, 5
	s_cmp_eq_u32 s18, 0
	s_wait_alu 0xfffe
	v_dual_mov_b32 v6, v8 :: v_dual_add_nc_u32 v5, s50, v8
	s_mov_b32 s51, s19
	s_mov_b32 s52, s18
	ds_load_b64 v[3:4], v5
	s_cbranch_scc1 .LBB71_18
.LBB71_20:                              ;   Parent Loop BB71_3 Depth=1
                                        ;     Parent Loop BB71_19 Depth=2
                                        ; =>    This Inner Loop Header: Depth=3
	s_wait_alu 0xfffe
	v_mov_b32_e32 v20, s51
	s_add_co_i32 s52, s52, -1
	s_add_co_i32 s51, s51, 32
	s_wait_alu 0xfffe
	s_cmp_eq_u32 s52, 0
	ds_load_b64 v[18:19], v6
	ds_load_b64 v[20:21], v20
	v_add_nc_u32_e32 v6, 32, v6
	s_wait_dscnt 0x0
	v_fma_f64 v[3:4], -v[18:19], v[20:21], v[3:4]
	s_cbranch_scc0 .LBB71_20
	s_branch .LBB71_18
.LBB71_21:                              ;   in Loop: Header=BB71_3 Depth=1
	s_mov_b32 s18, 0
.LBB71_22:                              ;   in Loop: Header=BB71_3 Depth=1
	s_wait_alu 0xfffe
	s_and_b32 vcc_lo, exec_lo, s18
	s_wait_alu 0xfffe
	s_cbranch_vccz .LBB71_38
; %bb.23:                               ;   in Loop: Header=BB71_3 Depth=1
	s_and_b32 vcc_lo, exec_lo, s30
	s_mov_b32 s19, s26
	s_wait_alu 0xfffe
	s_cbranch_vccz .LBB71_25
; %bb.24:                               ;   in Loop: Header=BB71_3 Depth=1
	v_dual_mov_b32 v3, s39 :: v_dual_mov_b32 v26, s35
	s_mov_b32 s19, s43
	ds_load_b64 v[18:19], v10
	ds_load_2addr_b64 v[3:6], v3 offset1:1
	ds_load_b64 v[20:21], v11
	ds_load_b64 v[22:23], v12
	;; [unrolled: 1-line block ×4, first 2 shown]
	s_wait_dscnt 0x4
	v_div_scale_f64 v[28:29], null, v[5:6], v[5:6], v[18:19]
	v_div_scale_f64 v[34:35], vcc_lo, v[18:19], v[5:6], v[18:19]
	s_delay_alu instid0(VALU_DEP_2) | instskip(NEXT) | instid1(TRANS32_DEP_1)
	v_rcp_f64_e32 v[30:31], v[28:29]
	v_fma_f64 v[32:33], -v[28:29], v[30:31], 1.0
	s_delay_alu instid0(VALU_DEP_1) | instskip(NEXT) | instid1(VALU_DEP_1)
	v_fma_f64 v[30:31], v[30:31], v[32:33], v[30:31]
	v_fma_f64 v[32:33], -v[28:29], v[30:31], 1.0
	s_delay_alu instid0(VALU_DEP_1) | instskip(NEXT) | instid1(VALU_DEP_1)
	v_fma_f64 v[30:31], v[30:31], v[32:33], v[30:31]
	v_mul_f64_e32 v[32:33], v[34:35], v[30:31]
	s_delay_alu instid0(VALU_DEP_1) | instskip(SKIP_1) | instid1(VALU_DEP_1)
	v_fma_f64 v[28:29], -v[28:29], v[32:33], v[34:35]
	s_wait_alu 0xfffd
	v_div_fmas_f64 v[28:29], v[28:29], v[30:31], v[32:33]
	s_delay_alu instid0(VALU_DEP_1) | instskip(SKIP_1) | instid1(VALU_DEP_1)
	v_div_fixup_f64 v[28:29], v[28:29], v[5:6], v[18:19]
	s_wait_dscnt 0x3
	v_fma_f64 v[30:31], -v[28:29], v[3:4], v[20:21]
	s_wait_dscnt 0x0
	s_delay_alu instid0(VALU_DEP_1) | instskip(SKIP_1) | instid1(VALU_DEP_2)
	v_div_scale_f64 v[3:4], null, v[26:27], v[26:27], v[30:31]
	v_div_scale_f64 v[20:21], vcc_lo, v[30:31], v[26:27], v[30:31]
	v_rcp_f64_e32 v[5:6], v[3:4]
	s_delay_alu instid0(TRANS32_DEP_1) | instskip(NEXT) | instid1(VALU_DEP_1)
	v_fma_f64 v[18:19], -v[3:4], v[5:6], 1.0
	v_fma_f64 v[5:6], v[5:6], v[18:19], v[5:6]
	s_delay_alu instid0(VALU_DEP_1) | instskip(NEXT) | instid1(VALU_DEP_1)
	v_fma_f64 v[18:19], -v[3:4], v[5:6], 1.0
	v_fma_f64 v[5:6], v[5:6], v[18:19], v[5:6]
	s_delay_alu instid0(VALU_DEP_1) | instskip(NEXT) | instid1(VALU_DEP_1)
	v_mul_f64_e32 v[18:19], v[20:21], v[5:6]
	v_fma_f64 v[3:4], -v[3:4], v[18:19], v[20:21]
	s_wait_alu 0xfffd
	s_delay_alu instid0(VALU_DEP_1)
	v_div_fmas_f64 v[32:33], v[3:4], v[5:6], v[18:19]
	v_dual_mov_b32 v3, s38 :: v_dual_mov_b32 v18, s40
	ds_load_2addr_b64 v[3:6], v3 offset1:1
	ds_load_2addr_b64 v[18:21], v18 offset1:1
	s_wait_dscnt 0x1
	v_fma_f64 v[5:6], -v[28:29], v[5:6], v[22:23]
	v_fma_f64 v[3:4], -v[28:29], v[3:4], v[24:25]
	v_div_fixup_f64 v[26:27], v[32:33], v[26:27], v[30:31]
	v_mov_b32_e32 v30, s42
	ds_load_b64 v[30:31], v30
	s_wait_dscnt 0x1
	v_fma_f64 v[5:6], -v[26:27], v[20:21], v[5:6]
	v_mov_b32_e32 v20, s41
	v_fma_f64 v[3:4], -v[26:27], v[18:19], v[3:4]
	ds_load_2addr_b64 v[20:23], v20 offset1:1
	s_wait_dscnt 0x0
	v_div_scale_f64 v[32:33], null, v[22:23], v[22:23], v[5:6]
	v_div_scale_f64 v[38:39], vcc_lo, v[5:6], v[22:23], v[5:6]
	s_delay_alu instid0(VALU_DEP_2) | instskip(NEXT) | instid1(TRANS32_DEP_1)
	v_rcp_f64_e32 v[34:35], v[32:33]
	v_fma_f64 v[36:37], -v[32:33], v[34:35], 1.0
	s_delay_alu instid0(VALU_DEP_1) | instskip(NEXT) | instid1(VALU_DEP_1)
	v_fma_f64 v[34:35], v[34:35], v[36:37], v[34:35]
	v_fma_f64 v[36:37], -v[32:33], v[34:35], 1.0
	s_delay_alu instid0(VALU_DEP_1) | instskip(NEXT) | instid1(VALU_DEP_1)
	v_fma_f64 v[34:35], v[34:35], v[36:37], v[34:35]
	v_mul_f64_e32 v[36:37], v[38:39], v[34:35]
	s_delay_alu instid0(VALU_DEP_1) | instskip(SKIP_1) | instid1(VALU_DEP_1)
	v_fma_f64 v[32:33], -v[32:33], v[36:37], v[38:39]
	s_wait_alu 0xfffd
	v_div_fmas_f64 v[24:25], v[32:33], v[34:35], v[36:37]
	s_delay_alu instid0(VALU_DEP_1) | instskip(NEXT) | instid1(VALU_DEP_1)
	v_div_fixup_f64 v[5:6], v[24:25], v[22:23], v[5:6]
	v_fma_f64 v[3:4], -v[5:6], v[20:21], v[3:4]
	s_delay_alu instid0(VALU_DEP_1) | instskip(NEXT) | instid1(VALU_DEP_1)
	v_div_scale_f64 v[18:19], null, v[30:31], v[30:31], v[3:4]
	v_rcp_f64_e32 v[20:21], v[18:19]
	s_delay_alu instid0(TRANS32_DEP_1) | instskip(NEXT) | instid1(VALU_DEP_1)
	v_fma_f64 v[22:23], -v[18:19], v[20:21], 1.0
	v_fma_f64 v[20:21], v[20:21], v[22:23], v[20:21]
	s_delay_alu instid0(VALU_DEP_1) | instskip(NEXT) | instid1(VALU_DEP_1)
	v_fma_f64 v[22:23], -v[18:19], v[20:21], 1.0
	v_fma_f64 v[20:21], v[20:21], v[22:23], v[20:21]
	v_div_scale_f64 v[22:23], vcc_lo, v[3:4], v[30:31], v[3:4]
	s_delay_alu instid0(VALU_DEP_1) | instskip(NEXT) | instid1(VALU_DEP_1)
	v_mul_f64_e32 v[24:25], v[22:23], v[20:21]
	v_fma_f64 v[18:19], -v[18:19], v[24:25], v[22:23]
	s_wait_alu 0xfffd
	s_delay_alu instid0(VALU_DEP_1) | instskip(NEXT) | instid1(VALU_DEP_1)
	v_div_fmas_f64 v[18:19], v[18:19], v[20:21], v[24:25]
	v_div_fixup_f64 v[3:4], v[18:19], v[30:31], v[3:4]
	ds_store_b64 v10, v[28:29]
	ds_store_b64 v11, v[26:27]
	;; [unrolled: 1-line block ×4, first 2 shown]
.LBB71_25:                              ;   in Loop: Header=BB71_3 Depth=1
	s_wait_alu 0xfffe
	s_cmp_lt_i32 s19, 0
	s_cbranch_scc1 .LBB71_38
; %bb.26:                               ;   in Loop: Header=BB71_3 Depth=1
	s_bitcmp1_b32 s19, 0
	s_cselect_b32 s18, -1, 0
	s_wait_alu 0xfffe
	s_and_b32 vcc_lo, exec_lo, s18
	s_mov_b32 s18, s19
	s_wait_alu 0xfffe
	s_cbranch_vccnz .LBB71_31
; %bb.27:                               ;   in Loop: Header=BB71_3 Depth=1
	s_lshl_b32 s18, s19, 5
	s_cmp_le_i32 s26, s19
	s_wait_alu 0xfffe
	v_add_nc_u32_e32 v5, s18, v8
	ds_load_b64 v[3:4], v5
	s_cbranch_scc1 .LBB71_30
; %bb.28:                               ;   in Loop: Header=BB71_3 Depth=1
	v_mov_b32_e32 v6, v14
	s_lshl_b32 s50, s19, 3
	s_mov_b32 s51, s26
	s_wait_alu 0xfffe
	s_add_co_i32 s50, s22, s50
.LBB71_29:                              ;   Parent Loop BB71_3 Depth=1
                                        ; =>  This Inner Loop Header: Depth=2
	s_wait_alu 0xfffe
	v_mov_b32_e32 v20, s50
	s_add_co_i32 s51, s51, -1
	s_sub_co_i32 s50, s50, 32
	s_wait_alu 0xfffe
	s_cmp_gt_i32 s51, s19
	ds_load_b64 v[18:19], v6
	ds_load_b64 v[20:21], v20
	v_subrev_nc_u32_e32 v6, 32, v6
	s_wait_dscnt 0x0
	v_fma_f64 v[3:4], -v[18:19], v[20:21], v[3:4]
	s_cbranch_scc1 .LBB71_29
.LBB71_30:                              ;   in Loop: Header=BB71_3 Depth=1
	s_lshl_b32 s50, s19, 3
	s_wait_alu 0xfffe
	s_add_co_i32 s18, s50, s18
	s_wait_alu 0xfffe
	v_mov_b32_e32 v6, s18
	s_add_co_i32 s18, s19, -1
	ds_load_b64 v[18:19], v6
	s_wait_dscnt 0x0
	v_div_scale_f64 v[20:21], null, v[18:19], v[18:19], v[3:4]
	s_delay_alu instid0(VALU_DEP_1) | instskip(NEXT) | instid1(TRANS32_DEP_1)
	v_rcp_f64_e32 v[22:23], v[20:21]
	v_fma_f64 v[24:25], -v[20:21], v[22:23], 1.0
	s_delay_alu instid0(VALU_DEP_1) | instskip(NEXT) | instid1(VALU_DEP_1)
	v_fma_f64 v[22:23], v[22:23], v[24:25], v[22:23]
	v_fma_f64 v[24:25], -v[20:21], v[22:23], 1.0
	s_delay_alu instid0(VALU_DEP_1) | instskip(SKIP_1) | instid1(VALU_DEP_1)
	v_fma_f64 v[22:23], v[22:23], v[24:25], v[22:23]
	v_div_scale_f64 v[24:25], vcc_lo, v[3:4], v[18:19], v[3:4]
	v_mul_f64_e32 v[26:27], v[24:25], v[22:23]
	s_delay_alu instid0(VALU_DEP_1) | instskip(SKIP_1) | instid1(VALU_DEP_1)
	v_fma_f64 v[20:21], -v[20:21], v[26:27], v[24:25]
	s_wait_alu 0xfffd
	v_div_fmas_f64 v[20:21], v[20:21], v[22:23], v[26:27]
	s_delay_alu instid0(VALU_DEP_1)
	v_div_fixup_f64 v[3:4], v[20:21], v[18:19], v[3:4]
	ds_store_b64 v5, v[3:4]
.LBB71_31:                              ;   in Loop: Header=BB71_3 Depth=1
	s_cmp_eq_u32 s19, 0
	s_cbranch_scc1 .LBB71_38
; %bb.32:                               ;   in Loop: Header=BB71_3 Depth=1
	s_wait_alu 0xfffe
	s_lshl_b32 s50, s18, 3
	s_wait_alu 0xfffe
	s_add_co_i32 s19, s22, s50
	s_add_co_i32 s50, s23, s50
	s_branch .LBB71_34
.LBB71_33:                              ;   in Loop: Header=BB71_34 Depth=2
	s_add_co_i32 s51, s51, s52
	s_add_co_i32 s19, s19, -16
	s_wait_alu 0xfffe
	s_add_co_i32 s51, s51, -8
	s_add_co_i32 s50, s50, -16
	s_wait_alu 0xfffe
	v_mov_b32_e32 v3, s51
	s_add_co_i32 s51, s18, -2
	s_cmp_lt_i32 s18, 2
	s_wait_alu 0xfffe
	s_mov_b32 s18, s51
	ds_load_b64 v[3:4], v3
	s_wait_dscnt 0x0
	v_div_scale_f64 v[20:21], null, v[3:4], v[3:4], v[5:6]
	s_delay_alu instid0(VALU_DEP_1) | instskip(NEXT) | instid1(TRANS32_DEP_1)
	v_rcp_f64_e32 v[22:23], v[20:21]
	v_fma_f64 v[24:25], -v[20:21], v[22:23], 1.0
	s_delay_alu instid0(VALU_DEP_1) | instskip(NEXT) | instid1(VALU_DEP_1)
	v_fma_f64 v[22:23], v[22:23], v[24:25], v[22:23]
	v_fma_f64 v[24:25], -v[20:21], v[22:23], 1.0
	s_delay_alu instid0(VALU_DEP_1) | instskip(SKIP_1) | instid1(VALU_DEP_1)
	v_fma_f64 v[22:23], v[22:23], v[24:25], v[22:23]
	v_div_scale_f64 v[24:25], vcc_lo, v[5:6], v[3:4], v[5:6]
	v_mul_f64_e32 v[26:27], v[24:25], v[22:23]
	s_delay_alu instid0(VALU_DEP_1) | instskip(SKIP_1) | instid1(VALU_DEP_1)
	v_fma_f64 v[20:21], -v[20:21], v[26:27], v[24:25]
	s_wait_alu 0xfffd
	v_div_fmas_f64 v[20:21], v[20:21], v[22:23], v[26:27]
	s_delay_alu instid0(VALU_DEP_1)
	v_div_fixup_f64 v[3:4], v[20:21], v[3:4], v[5:6]
	ds_store_b64 v19, v[3:4]
	s_cbranch_scc1 .LBB71_38
.LBB71_34:                              ;   Parent Loop BB71_3 Depth=1
                                        ; =>  This Loop Header: Depth=2
                                        ;       Child Loop BB71_35 Depth 3
                                        ;       Child Loop BB71_37 Depth 3
	s_wait_alu 0xfffe
	s_lshl_b32 s52, s18, 5
	s_cmp_le_i32 s26, s18
	s_wait_alu 0xfffe
	v_dual_mov_b32 v5, v14 :: v_dual_add_nc_u32 v18, s52, v8
	s_mov_b32 s51, s19
	s_mov_b32 s53, s26
	ds_load_b64 v[3:4], v18
	s_cbranch_scc1 .LBB71_36
.LBB71_35:                              ;   Parent Loop BB71_3 Depth=1
                                        ;     Parent Loop BB71_34 Depth=2
                                        ; =>    This Inner Loop Header: Depth=3
	s_wait_alu 0xfffe
	v_mov_b32_e32 v6, s51
	s_add_co_i32 s53, s53, -1
	s_sub_co_i32 s51, s51, 32
	s_wait_alu 0xfffe
	s_cmp_le_i32 s53, s18
	ds_load_b64 v[19:20], v5
	ds_load_b64 v[21:22], v6
	v_subrev_nc_u32_e32 v5, 32, v5
	s_wait_dscnt 0x0
	v_fma_f64 v[3:4], -v[19:20], v[21:22], v[3:4]
	s_cbranch_scc0 .LBB71_35
.LBB71_36:                              ;   in Loop: Header=BB71_34 Depth=2
	s_lshl_b32 s51, s18, 3
	s_mov_b32 s54, s1
	s_wait_alu 0xfffe
	s_add_co_i32 s53, s51, s52
	s_sub_co_i32 s52, s52, 32
	s_wait_alu 0xfffe
	v_mov_b32_e32 v5, s53
	v_add_nc_u32_e32 v19, s52, v8
	s_cmp_le_i32 s1, s18
	s_mov_b32 s53, s50
	ds_load_b64 v[20:21], v5
	ds_load_b64 v[5:6], v19
	s_wait_dscnt 0x1
	v_div_scale_f64 v[22:23], null, v[20:21], v[20:21], v[3:4]
	s_delay_alu instid0(VALU_DEP_1) | instskip(NEXT) | instid1(TRANS32_DEP_1)
	v_rcp_f64_e32 v[24:25], v[22:23]
	v_fma_f64 v[26:27], -v[22:23], v[24:25], 1.0
	s_delay_alu instid0(VALU_DEP_1) | instskip(NEXT) | instid1(VALU_DEP_1)
	v_fma_f64 v[24:25], v[24:25], v[26:27], v[24:25]
	v_fma_f64 v[26:27], -v[22:23], v[24:25], 1.0
	s_delay_alu instid0(VALU_DEP_1) | instskip(SKIP_1) | instid1(VALU_DEP_1)
	v_fma_f64 v[24:25], v[24:25], v[26:27], v[24:25]
	v_div_scale_f64 v[26:27], vcc_lo, v[3:4], v[20:21], v[3:4]
	v_mul_f64_e32 v[28:29], v[26:27], v[24:25]
	s_delay_alu instid0(VALU_DEP_1) | instskip(SKIP_1) | instid1(VALU_DEP_1)
	v_fma_f64 v[22:23], -v[22:23], v[28:29], v[26:27]
	s_wait_alu 0xfffd
	v_div_fmas_f64 v[22:23], v[22:23], v[24:25], v[28:29]
	s_delay_alu instid0(VALU_DEP_1)
	v_div_fixup_f64 v[20:21], v[22:23], v[20:21], v[3:4]
	v_mov_b32_e32 v3, v14
	ds_store_b64 v18, v[20:21]
	s_cbranch_scc1 .LBB71_33
.LBB71_37:                              ;   Parent Loop BB71_3 Depth=1
                                        ;     Parent Loop BB71_34 Depth=2
                                        ; =>    This Inner Loop Header: Depth=3
	s_wait_alu 0xfffe
	v_mov_b32_e32 v4, s53
	s_add_co_i32 s54, s54, -1
	s_sub_co_i32 s53, s53, 32
	s_cmp_gt_i32 s54, s18
	ds_load_b64 v[20:21], v3
	ds_load_b64 v[22:23], v4
	v_subrev_nc_u32_e32 v3, 32, v3
	s_wait_dscnt 0x0
	v_fma_f64 v[5:6], -v[20:21], v[22:23], v[5:6]
	s_cbranch_scc1 .LBB71_37
	s_branch .LBB71_33
.LBB71_38:                              ;   in Loop: Header=BB71_3 Depth=1
	s_mov_b32 s18, 0
.LBB71_39:                              ;   in Loop: Header=BB71_3 Depth=1
	s_wait_alu 0xfffe
	s_and_not1_b32 vcc_lo, exec_lo, s18
	s_wait_alu 0xfffe
	s_cbranch_vccnz .LBB71_55
; %bb.40:                               ;   in Loop: Header=BB71_3 Depth=1
	s_and_b32 vcc_lo, exec_lo, s30
	s_mov_b32 s19, s26
	s_wait_alu 0xfffe
	s_cbranch_vccz .LBB71_42
; %bb.41:                               ;   in Loop: Header=BB71_3 Depth=1
	s_add_co_i32 s18, s37, s36
	s_mov_b32 s19, s43
	s_wait_alu 0xfffe
	v_mov_b32_e32 v3, s18
	s_add_co_i32 s18, s33, s34
	ds_load_b64 v[18:19], v10
	ds_load_b64 v[20:21], v3
	s_wait_alu 0xfffe
	v_mov_b32_e32 v3, s18
	ds_load_b64 v[22:23], v11
	ds_load_b64 v[24:25], v12
	;; [unrolled: 1-line block ×3, first 2 shown]
	ds_load_2addr_b64 v[3:6], v3 offset1:1
	s_wait_dscnt 0x4
	v_div_scale_f64 v[28:29], null, v[20:21], v[20:21], v[18:19]
	v_div_scale_f64 v[34:35], vcc_lo, v[18:19], v[20:21], v[18:19]
	s_delay_alu instid0(VALU_DEP_2) | instskip(NEXT) | instid1(TRANS32_DEP_1)
	v_rcp_f64_e32 v[30:31], v[28:29]
	v_fma_f64 v[32:33], -v[28:29], v[30:31], 1.0
	s_delay_alu instid0(VALU_DEP_1) | instskip(NEXT) | instid1(VALU_DEP_1)
	v_fma_f64 v[30:31], v[30:31], v[32:33], v[30:31]
	v_fma_f64 v[32:33], -v[28:29], v[30:31], 1.0
	s_delay_alu instid0(VALU_DEP_1) | instskip(NEXT) | instid1(VALU_DEP_1)
	v_fma_f64 v[30:31], v[30:31], v[32:33], v[30:31]
	v_mul_f64_e32 v[32:33], v[34:35], v[30:31]
	s_delay_alu instid0(VALU_DEP_1) | instskip(SKIP_1) | instid1(VALU_DEP_1)
	v_fma_f64 v[28:29], -v[28:29], v[32:33], v[34:35]
	s_wait_alu 0xfffd
	v_div_fmas_f64 v[28:29], v[28:29], v[30:31], v[32:33]
	s_delay_alu instid0(VALU_DEP_1) | instskip(SKIP_1) | instid1(VALU_DEP_1)
	v_div_fixup_f64 v[28:29], v[28:29], v[20:21], v[18:19]
	s_wait_dscnt 0x0
	v_fma_f64 v[5:6], -v[28:29], v[5:6], v[22:23]
	s_delay_alu instid0(VALU_DEP_1) | instskip(SKIP_1) | instid1(VALU_DEP_2)
	v_div_scale_f64 v[18:19], null, v[3:4], v[3:4], v[5:6]
	v_div_scale_f64 v[30:31], vcc_lo, v[5:6], v[3:4], v[5:6]
	v_rcp_f64_e32 v[20:21], v[18:19]
	s_delay_alu instid0(TRANS32_DEP_1) | instskip(NEXT) | instid1(VALU_DEP_1)
	v_fma_f64 v[22:23], -v[18:19], v[20:21], 1.0
	v_fma_f64 v[20:21], v[20:21], v[22:23], v[20:21]
	s_delay_alu instid0(VALU_DEP_1) | instskip(NEXT) | instid1(VALU_DEP_1)
	v_fma_f64 v[22:23], -v[18:19], v[20:21], 1.0
	v_fma_f64 v[20:21], v[20:21], v[22:23], v[20:21]
	s_delay_alu instid0(VALU_DEP_1) | instskip(NEXT) | instid1(VALU_DEP_1)
	v_mul_f64_e32 v[22:23], v[30:31], v[20:21]
	v_fma_f64 v[18:19], -v[18:19], v[22:23], v[30:31]
	s_wait_alu 0xfffd
	s_delay_alu instid0(VALU_DEP_1)
	v_div_fmas_f64 v[22:23], v[18:19], v[20:21], v[22:23]
	v_mov_b32_e32 v18, s44
	ds_load_b64 v[30:31], v18
	v_mov_b32_e32 v18, s48
	ds_load_2addr_b64 v[18:21], v18 offset1:1
	s_wait_dscnt 0x1
	v_fma_f64 v[24:25], -v[28:29], v[30:31], v[24:25]
	v_div_fixup_f64 v[30:31], v[22:23], v[3:4], v[5:6]
	s_wait_dscnt 0x0
	s_delay_alu instid0(VALU_DEP_1) | instskip(NEXT) | instid1(VALU_DEP_1)
	v_fma_f64 v[24:25], -v[30:31], v[20:21], v[24:25]
	v_div_scale_f64 v[3:4], null, v[18:19], v[18:19], v[24:25]
	v_div_scale_f64 v[22:23], vcc_lo, v[24:25], v[18:19], v[24:25]
	s_delay_alu instid0(VALU_DEP_2) | instskip(NEXT) | instid1(TRANS32_DEP_1)
	v_rcp_f64_e32 v[5:6], v[3:4]
	v_fma_f64 v[20:21], -v[3:4], v[5:6], 1.0
	s_delay_alu instid0(VALU_DEP_1) | instskip(NEXT) | instid1(VALU_DEP_1)
	v_fma_f64 v[5:6], v[5:6], v[20:21], v[5:6]
	v_fma_f64 v[20:21], -v[3:4], v[5:6], 1.0
	s_delay_alu instid0(VALU_DEP_1) | instskip(SKIP_1) | instid1(VALU_DEP_2)
	v_fma_f64 v[32:33], v[5:6], v[20:21], v[5:6]
	v_mov_b32_e32 v20, s49
	v_mul_f64_e32 v[34:35], v[22:23], v[32:33]
	s_delay_alu instid0(VALU_DEP_1)
	v_fma_f64 v[36:37], -v[3:4], v[34:35], v[22:23]
	v_mov_b32_e32 v3, s45
	ds_load_2addr_b64 v[20:23], v20 offset1:1
	ds_load_2addr_b64 v[3:6], v3 offset1:1
	s_wait_dscnt 0x0
	v_fma_f64 v[5:6], -v[28:29], v[5:6], v[26:27]
	s_wait_alu 0xfffd
	v_div_fmas_f64 v[26:27], v[36:37], v[32:33], v[34:35]
	s_delay_alu instid0(VALU_DEP_2) | instskip(NEXT) | instid1(VALU_DEP_2)
	v_fma_f64 v[3:4], -v[30:31], v[3:4], v[5:6]
	v_div_fixup_f64 v[5:6], v[26:27], v[18:19], v[24:25]
	s_delay_alu instid0(VALU_DEP_1) | instskip(NEXT) | instid1(VALU_DEP_1)
	v_fma_f64 v[3:4], -v[5:6], v[22:23], v[3:4]
	v_div_scale_f64 v[18:19], null, v[20:21], v[20:21], v[3:4]
	s_delay_alu instid0(VALU_DEP_1) | instskip(NEXT) | instid1(TRANS32_DEP_1)
	v_rcp_f64_e32 v[22:23], v[18:19]
	v_fma_f64 v[24:25], -v[18:19], v[22:23], 1.0
	s_delay_alu instid0(VALU_DEP_1) | instskip(NEXT) | instid1(VALU_DEP_1)
	v_fma_f64 v[22:23], v[22:23], v[24:25], v[22:23]
	v_fma_f64 v[24:25], -v[18:19], v[22:23], 1.0
	s_delay_alu instid0(VALU_DEP_1) | instskip(SKIP_1) | instid1(VALU_DEP_1)
	v_fma_f64 v[22:23], v[22:23], v[24:25], v[22:23]
	v_div_scale_f64 v[24:25], vcc_lo, v[3:4], v[20:21], v[3:4]
	v_mul_f64_e32 v[26:27], v[24:25], v[22:23]
	s_delay_alu instid0(VALU_DEP_1) | instskip(SKIP_1) | instid1(VALU_DEP_1)
	v_fma_f64 v[18:19], -v[18:19], v[26:27], v[24:25]
	s_wait_alu 0xfffd
	v_div_fmas_f64 v[18:19], v[18:19], v[22:23], v[26:27]
	s_delay_alu instid0(VALU_DEP_1)
	v_div_fixup_f64 v[3:4], v[18:19], v[20:21], v[3:4]
	ds_store_b64 v10, v[28:29]
	ds_store_b64 v11, v[30:31]
	;; [unrolled: 1-line block ×4, first 2 shown]
.LBB71_42:                              ;   in Loop: Header=BB71_3 Depth=1
	s_cmp_lt_i32 s19, 0
	s_cbranch_scc1 .LBB71_55
; %bb.43:                               ;   in Loop: Header=BB71_3 Depth=1
	s_bitcmp1_b32 s19, 0
	s_cselect_b32 s18, -1, 0
	s_wait_alu 0xfffe
	s_and_b32 vcc_lo, exec_lo, s18
	s_mov_b32 s18, s19
	s_wait_alu 0xfffe
	s_cbranch_vccnz .LBB71_48
; %bb.44:                               ;   in Loop: Header=BB71_3 Depth=1
	v_lshl_add_u32 v5, s19, 5, v8
	s_cmp_le_i32 s26, s19
	ds_load_b64 v[3:4], v5
	s_cbranch_scc1 .LBB71_47
; %bb.45:                               ;   in Loop: Header=BB71_3 Depth=1
	v_mov_b32_e32 v6, v14
	s_lshl_b32 s18, s19, 5
	s_mov_b32 s50, s26
	s_wait_alu 0xfffe
	s_add_co_i32 s18, s46, s18
.LBB71_46:                              ;   Parent Loop BB71_3 Depth=1
                                        ; =>  This Inner Loop Header: Depth=2
	s_wait_alu 0xfffe
	v_mov_b32_e32 v20, s18
	s_add_co_i32 s50, s50, -1
	s_add_co_i32 s18, s18, -8
	s_wait_alu 0xfffe
	s_cmp_gt_u32 s50, s19
	ds_load_b64 v[18:19], v6
	ds_load_b64 v[20:21], v20
	v_subrev_nc_u32_e32 v6, 32, v6
	s_wait_dscnt 0x0
	v_fma_f64 v[3:4], -v[18:19], v[20:21], v[3:4]
	s_cbranch_scc1 .LBB71_46
.LBB71_47:                              ;   in Loop: Header=BB71_3 Depth=1
	s_mul_i32 s18, s19, 40
	s_wait_alu 0xfffe
	v_mov_b32_e32 v6, s18
	s_add_co_i32 s18, s19, -1
	ds_load_b64 v[18:19], v6
	s_wait_dscnt 0x0
	v_div_scale_f64 v[20:21], null, v[18:19], v[18:19], v[3:4]
	s_delay_alu instid0(VALU_DEP_1) | instskip(NEXT) | instid1(TRANS32_DEP_1)
	v_rcp_f64_e32 v[22:23], v[20:21]
	v_fma_f64 v[24:25], -v[20:21], v[22:23], 1.0
	s_delay_alu instid0(VALU_DEP_1) | instskip(NEXT) | instid1(VALU_DEP_1)
	v_fma_f64 v[22:23], v[22:23], v[24:25], v[22:23]
	v_fma_f64 v[24:25], -v[20:21], v[22:23], 1.0
	s_delay_alu instid0(VALU_DEP_1) | instskip(SKIP_1) | instid1(VALU_DEP_1)
	v_fma_f64 v[22:23], v[22:23], v[24:25], v[22:23]
	v_div_scale_f64 v[24:25], vcc_lo, v[3:4], v[18:19], v[3:4]
	v_mul_f64_e32 v[26:27], v[24:25], v[22:23]
	s_delay_alu instid0(VALU_DEP_1) | instskip(SKIP_1) | instid1(VALU_DEP_1)
	v_fma_f64 v[20:21], -v[20:21], v[26:27], v[24:25]
	s_wait_alu 0xfffd
	v_div_fmas_f64 v[20:21], v[20:21], v[22:23], v[26:27]
	s_delay_alu instid0(VALU_DEP_1)
	v_div_fixup_f64 v[3:4], v[20:21], v[18:19], v[3:4]
	ds_store_b64 v5, v[3:4]
.LBB71_48:                              ;   in Loop: Header=BB71_3 Depth=1
	s_cmp_eq_u32 s19, 0
	s_cbranch_scc1 .LBB71_55
; %bb.49:                               ;   in Loop: Header=BB71_3 Depth=1
	s_wait_alu 0xfffe
	s_lshl_b32 s50, s18, 5
	s_wait_alu 0xfffe
	s_add_co_i32 s19, s46, s50
	s_add_co_i32 s50, s47, s50
	s_branch .LBB71_51
.LBB71_50:                              ;   in Loop: Header=BB71_51 Depth=2
	s_sub_co_i32 s52, s52, 40
	s_add_co_i32 s18, s18, -2
	s_wait_alu 0xfffe
	v_mov_b32_e32 v3, s52
	s_sub_co_i32 s19, s19, 64
	s_sub_co_i32 s50, s50, 64
	s_cmp_eq_u32 s51, 0
	ds_load_b64 v[3:4], v3
	s_wait_dscnt 0x0
	v_div_scale_f64 v[20:21], null, v[3:4], v[3:4], v[5:6]
	s_delay_alu instid0(VALU_DEP_1) | instskip(NEXT) | instid1(TRANS32_DEP_1)
	v_rcp_f64_e32 v[22:23], v[20:21]
	v_fma_f64 v[24:25], -v[20:21], v[22:23], 1.0
	s_delay_alu instid0(VALU_DEP_1) | instskip(NEXT) | instid1(VALU_DEP_1)
	v_fma_f64 v[22:23], v[22:23], v[24:25], v[22:23]
	v_fma_f64 v[24:25], -v[20:21], v[22:23], 1.0
	s_delay_alu instid0(VALU_DEP_1) | instskip(SKIP_1) | instid1(VALU_DEP_1)
	v_fma_f64 v[22:23], v[22:23], v[24:25], v[22:23]
	v_div_scale_f64 v[24:25], vcc_lo, v[5:6], v[3:4], v[5:6]
	v_mul_f64_e32 v[26:27], v[24:25], v[22:23]
	s_delay_alu instid0(VALU_DEP_1) | instskip(SKIP_1) | instid1(VALU_DEP_1)
	v_fma_f64 v[20:21], -v[20:21], v[26:27], v[24:25]
	s_wait_alu 0xfffd
	v_div_fmas_f64 v[20:21], v[20:21], v[22:23], v[26:27]
	s_delay_alu instid0(VALU_DEP_1)
	v_div_fixup_f64 v[3:4], v[20:21], v[3:4], v[5:6]
	ds_store_b64 v19, v[3:4]
	s_cbranch_scc1 .LBB71_55
.LBB71_51:                              ;   Parent Loop BB71_3 Depth=1
                                        ; =>  This Loop Header: Depth=2
                                        ;       Child Loop BB71_52 Depth 3
                                        ;       Child Loop BB71_54 Depth 3
	v_lshl_add_u32 v18, s18, 5, v8
	v_mov_b32_e32 v5, v14
	s_cmp_le_i32 s26, s18
	s_wait_alu 0xfffe
	s_mov_b32 s51, s19
	s_mov_b32 s52, s26
	ds_load_b64 v[3:4], v18
	s_cbranch_scc1 .LBB71_53
.LBB71_52:                              ;   Parent Loop BB71_3 Depth=1
                                        ;     Parent Loop BB71_51 Depth=2
                                        ; =>    This Inner Loop Header: Depth=3
	s_wait_alu 0xfffe
	v_mov_b32_e32 v6, s51
	s_add_co_i32 s52, s52, -1
	s_add_co_i32 s51, s51, -8
	s_wait_alu 0xfffe
	s_cmp_le_u32 s52, s18
	ds_load_b64 v[19:20], v5
	ds_load_b64 v[21:22], v6
	v_subrev_nc_u32_e32 v5, 32, v5
	s_wait_dscnt 0x0
	v_fma_f64 v[3:4], -v[19:20], v[21:22], v[3:4]
	s_cbranch_scc0 .LBB71_52
.LBB71_53:                              ;   in Loop: Header=BB71_51 Depth=2
	s_mul_i32 s52, s18, 40
	s_add_co_i32 s51, s18, -1
	s_wait_alu 0xfffe
	v_mov_b32_e32 v5, s52
	v_lshl_add_u32 v19, s51, 5, v8
	s_cmp_le_i32 s1, s18
	s_mov_b32 s53, s50
	s_mov_b32 s54, s26
	ds_load_b64 v[20:21], v5
	ds_load_b64 v[5:6], v19
	s_wait_dscnt 0x1
	v_div_scale_f64 v[22:23], null, v[20:21], v[20:21], v[3:4]
	s_delay_alu instid0(VALU_DEP_1) | instskip(NEXT) | instid1(TRANS32_DEP_1)
	v_rcp_f64_e32 v[24:25], v[22:23]
	v_fma_f64 v[26:27], -v[22:23], v[24:25], 1.0
	s_delay_alu instid0(VALU_DEP_1) | instskip(NEXT) | instid1(VALU_DEP_1)
	v_fma_f64 v[24:25], v[24:25], v[26:27], v[24:25]
	v_fma_f64 v[26:27], -v[22:23], v[24:25], 1.0
	s_delay_alu instid0(VALU_DEP_1) | instskip(SKIP_1) | instid1(VALU_DEP_1)
	v_fma_f64 v[24:25], v[24:25], v[26:27], v[24:25]
	v_div_scale_f64 v[26:27], vcc_lo, v[3:4], v[20:21], v[3:4]
	v_mul_f64_e32 v[28:29], v[26:27], v[24:25]
	s_delay_alu instid0(VALU_DEP_1) | instskip(SKIP_1) | instid1(VALU_DEP_1)
	v_fma_f64 v[22:23], -v[22:23], v[28:29], v[26:27]
	s_wait_alu 0xfffd
	v_div_fmas_f64 v[22:23], v[22:23], v[24:25], v[28:29]
	s_delay_alu instid0(VALU_DEP_1)
	v_div_fixup_f64 v[20:21], v[22:23], v[20:21], v[3:4]
	v_mov_b32_e32 v3, v14
	ds_store_b64 v18, v[20:21]
	s_cbranch_scc1 .LBB71_50
.LBB71_54:                              ;   Parent Loop BB71_3 Depth=1
                                        ;     Parent Loop BB71_51 Depth=2
                                        ; =>    This Inner Loop Header: Depth=3
	s_wait_alu 0xfffe
	v_mov_b32_e32 v4, s53
	s_add_co_i32 s54, s54, -1
	s_add_co_i32 s53, s53, -8
	s_cmp_gt_u32 s54, s51
	ds_load_b64 v[20:21], v3
	ds_load_b64 v[22:23], v4
	v_subrev_nc_u32_e32 v3, 32, v3
	s_wait_dscnt 0x0
	v_fma_f64 v[5:6], -v[20:21], v[22:23], v[5:6]
	s_cbranch_scc1 .LBB71_54
	s_branch .LBB71_50
.LBB71_55:                              ;   in Loop: Header=BB71_3 Depth=1
	s_mov_b32 s18, 0
.LBB71_56:                              ;   in Loop: Header=BB71_3 Depth=1
	s_wait_alu 0xfffe
	s_and_not1_b32 vcc_lo, exec_lo, s18
	s_wait_alu 0xfffe
	s_cbranch_vccnz .LBB71_64
; %bb.57:                               ;   in Loop: Header=BB71_3 Depth=1
	s_and_b32 vcc_lo, exec_lo, s30
	s_mov_b32 s18, 0
	s_wait_alu 0xfffe
	s_cbranch_vccz .LBB71_59
; %bb.58:                               ;   in Loop: Header=BB71_3 Depth=1
	ds_load_2addr_b64 v[3:6], v1 offset1:10
	ds_load_2addr_b64 v[18:21], v8 offset1:4
	s_mov_b32 s18, 4
	s_wait_dscnt 0x0
	v_div_scale_f64 v[22:23], null, v[3:4], v[3:4], v[18:19]
	v_div_scale_f64 v[28:29], vcc_lo, v[18:19], v[3:4], v[18:19]
	s_delay_alu instid0(VALU_DEP_2) | instskip(NEXT) | instid1(TRANS32_DEP_1)
	v_rcp_f64_e32 v[24:25], v[22:23]
	v_fma_f64 v[26:27], -v[22:23], v[24:25], 1.0
	s_delay_alu instid0(VALU_DEP_1) | instskip(NEXT) | instid1(VALU_DEP_1)
	v_fma_f64 v[24:25], v[24:25], v[26:27], v[24:25]
	v_fma_f64 v[26:27], -v[22:23], v[24:25], 1.0
	s_delay_alu instid0(VALU_DEP_1) | instskip(NEXT) | instid1(VALU_DEP_1)
	v_fma_f64 v[24:25], v[24:25], v[26:27], v[24:25]
	v_mul_f64_e32 v[26:27], v[28:29], v[24:25]
	s_delay_alu instid0(VALU_DEP_1) | instskip(SKIP_1) | instid1(VALU_DEP_1)
	v_fma_f64 v[22:23], -v[22:23], v[26:27], v[28:29]
	s_wait_alu 0xfffd
	v_div_fmas_f64 v[22:23], v[22:23], v[24:25], v[26:27]
	s_delay_alu instid0(VALU_DEP_1) | instskip(SKIP_3) | instid1(VALU_DEP_1)
	v_div_fixup_f64 v[3:4], v[22:23], v[3:4], v[18:19]
	ds_load_b128 v[22:25], v1 offset:32
	s_wait_dscnt 0x0
	v_fma_f64 v[22:23], -v[3:4], v[22:23], v[20:21]
	v_div_scale_f64 v[18:19], null, v[24:25], v[24:25], v[22:23]
	v_div_scale_f64 v[28:29], vcc_lo, v[22:23], v[24:25], v[22:23]
	s_delay_alu instid0(VALU_DEP_2) | instskip(NEXT) | instid1(TRANS32_DEP_1)
	v_rcp_f64_e32 v[20:21], v[18:19]
	v_fma_f64 v[26:27], -v[18:19], v[20:21], 1.0
	s_delay_alu instid0(VALU_DEP_1) | instskip(NEXT) | instid1(VALU_DEP_1)
	v_fma_f64 v[20:21], v[20:21], v[26:27], v[20:21]
	v_fma_f64 v[26:27], -v[18:19], v[20:21], 1.0
	s_delay_alu instid0(VALU_DEP_1) | instskip(NEXT) | instid1(VALU_DEP_1)
	v_fma_f64 v[20:21], v[20:21], v[26:27], v[20:21]
	v_mul_f64_e32 v[26:27], v[28:29], v[20:21]
	s_delay_alu instid0(VALU_DEP_1) | instskip(SKIP_1) | instid1(VALU_DEP_1)
	v_fma_f64 v[18:19], -v[18:19], v[26:27], v[28:29]
	s_wait_alu 0xfffd
	v_div_fmas_f64 v[30:31], v[18:19], v[20:21], v[26:27]
	ds_load_b128 v[18:21], v1 offset:64
	ds_load_2addr_b64 v[26:29], v8 offset0:8 offset1:12
	s_wait_dscnt 0x0
	v_fma_f64 v[18:19], -v[3:4], v[18:19], v[26:27]
	v_div_fixup_f64 v[26:27], v[30:31], v[24:25], v[22:23]
	s_delay_alu instid0(VALU_DEP_1) | instskip(NEXT) | instid1(VALU_DEP_1)
	v_fma_f64 v[30:31], -v[26:27], v[20:21], v[18:19]
	v_div_scale_f64 v[18:19], null, v[5:6], v[5:6], v[30:31]
	v_div_scale_f64 v[24:25], vcc_lo, v[30:31], v[5:6], v[30:31]
	s_delay_alu instid0(VALU_DEP_2) | instskip(NEXT) | instid1(TRANS32_DEP_1)
	v_rcp_f64_e32 v[20:21], v[18:19]
	v_fma_f64 v[22:23], -v[18:19], v[20:21], 1.0
	s_delay_alu instid0(VALU_DEP_1) | instskip(NEXT) | instid1(VALU_DEP_1)
	v_fma_f64 v[20:21], v[20:21], v[22:23], v[20:21]
	v_fma_f64 v[22:23], -v[18:19], v[20:21], 1.0
	s_delay_alu instid0(VALU_DEP_1) | instskip(NEXT) | instid1(VALU_DEP_1)
	v_fma_f64 v[32:33], v[20:21], v[22:23], v[20:21]
	v_mul_f64_e32 v[34:35], v[24:25], v[32:33]
	s_delay_alu instid0(VALU_DEP_1)
	v_fma_f64 v[36:37], -v[18:19], v[34:35], v[24:25]
	ds_load_b128 v[18:21], v1 offset:96
	ds_load_b128 v[22:25], v1 offset:112
	ds_store_2addr_b64 v8, v[3:4], v[26:27] offset1:4
	s_wait_dscnt 0x2
	v_fma_f64 v[18:19], -v[3:4], v[18:19], v[28:29]
	s_wait_alu 0xfffd
	v_div_fmas_f64 v[28:29], v[36:37], v[32:33], v[34:35]
	s_delay_alu instid0(VALU_DEP_2) | instskip(NEXT) | instid1(VALU_DEP_2)
	v_fma_f64 v[18:19], -v[26:27], v[20:21], v[18:19]
	v_div_fixup_f64 v[5:6], v[28:29], v[5:6], v[30:31]
	s_wait_dscnt 0x1
	s_delay_alu instid0(VALU_DEP_1) | instskip(NEXT) | instid1(VALU_DEP_1)
	v_fma_f64 v[18:19], -v[5:6], v[22:23], v[18:19]
	v_div_scale_f64 v[20:21], null, v[24:25], v[24:25], v[18:19]
	s_delay_alu instid0(VALU_DEP_1) | instskip(NEXT) | instid1(TRANS32_DEP_1)
	v_rcp_f64_e32 v[22:23], v[20:21]
	v_fma_f64 v[28:29], -v[20:21], v[22:23], 1.0
	s_delay_alu instid0(VALU_DEP_1) | instskip(NEXT) | instid1(VALU_DEP_1)
	v_fma_f64 v[22:23], v[22:23], v[28:29], v[22:23]
	v_fma_f64 v[28:29], -v[20:21], v[22:23], 1.0
	s_delay_alu instid0(VALU_DEP_1) | instskip(SKIP_1) | instid1(VALU_DEP_1)
	v_fma_f64 v[22:23], v[22:23], v[28:29], v[22:23]
	v_div_scale_f64 v[28:29], vcc_lo, v[18:19], v[24:25], v[18:19]
	v_mul_f64_e32 v[30:31], v[28:29], v[22:23]
	s_delay_alu instid0(VALU_DEP_1) | instskip(SKIP_1) | instid1(VALU_DEP_1)
	v_fma_f64 v[20:21], -v[20:21], v[30:31], v[28:29]
	s_wait_alu 0xfffd
	v_div_fmas_f64 v[20:21], v[20:21], v[22:23], v[30:31]
	s_delay_alu instid0(VALU_DEP_1)
	v_div_fixup_f64 v[18:19], v[20:21], v[24:25], v[18:19]
	ds_store_2addr_b64 v8, v[5:6], v[18:19] offset0:8 offset1:12
.LBB71_59:                              ;   in Loop: Header=BB71_3 Depth=1
	s_wait_alu 0xfffe
	s_cmp_ge_i32 s18, s1
	s_cbranch_scc1 .LBB71_64
; %bb.60:                               ;   in Loop: Header=BB71_3 Depth=1
	s_lshl_b32 s19, s18, 5
	s_branch .LBB71_62
.LBB71_61:                              ;   in Loop: Header=BB71_62 Depth=2
	s_mul_i32 s50, s18, 40
	s_add_co_i32 s18, s18, 1
	s_wait_alu 0xfffe
	v_mov_b32_e32 v6, s50
	s_add_co_i32 s19, s19, 32
	s_cmp_ge_i32 s18, s1
	ds_load_b64 v[18:19], v6
	s_wait_dscnt 0x0
	v_div_scale_f64 v[20:21], null, v[18:19], v[18:19], v[3:4]
	s_delay_alu instid0(VALU_DEP_1) | instskip(NEXT) | instid1(TRANS32_DEP_1)
	v_rcp_f64_e32 v[22:23], v[20:21]
	v_fma_f64 v[24:25], -v[20:21], v[22:23], 1.0
	s_delay_alu instid0(VALU_DEP_1) | instskip(NEXT) | instid1(VALU_DEP_1)
	v_fma_f64 v[22:23], v[22:23], v[24:25], v[22:23]
	v_fma_f64 v[24:25], -v[20:21], v[22:23], 1.0
	s_delay_alu instid0(VALU_DEP_1) | instskip(SKIP_1) | instid1(VALU_DEP_1)
	v_fma_f64 v[22:23], v[22:23], v[24:25], v[22:23]
	v_div_scale_f64 v[24:25], vcc_lo, v[3:4], v[18:19], v[3:4]
	v_mul_f64_e32 v[26:27], v[24:25], v[22:23]
	s_delay_alu instid0(VALU_DEP_1) | instskip(SKIP_1) | instid1(VALU_DEP_1)
	v_fma_f64 v[20:21], -v[20:21], v[26:27], v[24:25]
	s_wait_alu 0xfffd
	v_div_fmas_f64 v[20:21], v[20:21], v[22:23], v[26:27]
	s_delay_alu instid0(VALU_DEP_1)
	v_div_fixup_f64 v[3:4], v[20:21], v[18:19], v[3:4]
	ds_store_b64 v5, v[3:4]
	s_cbranch_scc1 .LBB71_64
.LBB71_62:                              ;   Parent Loop BB71_3 Depth=1
                                        ; =>  This Loop Header: Depth=2
                                        ;       Child Loop BB71_63 Depth 3
	v_lshl_add_u32 v5, s18, 5, v8
	v_mov_b32_e32 v6, v8
	s_cmp_eq_u32 s18, 0
	s_wait_alu 0xfffe
	s_mov_b32 s50, s19
	s_mov_b32 s51, s18
	ds_load_b64 v[3:4], v5
	s_cbranch_scc1 .LBB71_61
.LBB71_63:                              ;   Parent Loop BB71_3 Depth=1
                                        ;     Parent Loop BB71_62 Depth=2
                                        ; =>    This Inner Loop Header: Depth=3
	s_wait_alu 0xfffe
	v_mov_b32_e32 v20, s50
	s_add_co_i32 s51, s51, -1
	s_add_co_i32 s50, s50, 8
	s_wait_alu 0xfffe
	s_cmp_eq_u32 s51, 0
	ds_load_b64 v[18:19], v6
	ds_load_b64 v[20:21], v20
	v_add_nc_u32_e32 v6, 32, v6
	s_wait_dscnt 0x0
	v_fma_f64 v[3:4], -v[18:19], v[20:21], v[3:4]
	s_cbranch_scc0 .LBB71_63
	s_branch .LBB71_61
.LBB71_64:                              ;   in Loop: Header=BB71_3 Depth=1
	s_and_saveexec_b32 s18, s31
	s_cbranch_execz .LBB71_2
; %bb.65:                               ;   in Loop: Header=BB71_3 Depth=1
	v_add_co_u32 v3, vcc_lo, v16, v0
	s_wait_alu 0xfffd
	v_add_co_ci_u32_e64 v4, null, 0, v17, vcc_lo
	v_mov_b32_e32 v5, v8
	s_mov_b32 s19, s25
.LBB71_66:                              ;   Parent Loop BB71_3 Depth=1
                                        ; =>  This Inner Loop Header: Depth=2
	ds_load_b64 v[16:17], v5
	v_add_nc_u32_e32 v5, 32, v5
	s_wait_alu 0xfffe
	s_add_co_i32 s19, s19, -1
	s_wait_alu 0xfffe
	s_cmp_lg_u32 s19, 0
	s_wait_dscnt 0x0
	flat_store_b64 v[3:4], v[16:17]
	v_add_co_u32 v3, vcc_lo, v3, s14
	s_wait_alu 0xfffd
	v_add_co_ci_u32_e64 v4, null, s15, v4, vcc_lo
	s_cbranch_scc1 .LBB71_66
	s_branch .LBB71_2
.LBB71_67:
	s_endpgm
	.section	.rodata,"a",@progbits
	.p2align	6, 0x0
	.amdhsa_kernel _ZL31rocblas_trsm_small_right_deviceIddPKPKdPKPdLi4EEv13rocblas_fill_18rocblas_operation_17rocblas_diagonal_iiT0_T1_lilT2_lili
		.amdhsa_group_segment_fixed_size 256
		.amdhsa_private_segment_fixed_size 0
		.amdhsa_kernarg_size 360
		.amdhsa_user_sgpr_count 2
		.amdhsa_user_sgpr_dispatch_ptr 0
		.amdhsa_user_sgpr_queue_ptr 0
		.amdhsa_user_sgpr_kernarg_segment_ptr 1
		.amdhsa_user_sgpr_dispatch_id 0
		.amdhsa_user_sgpr_private_segment_size 0
		.amdhsa_wavefront_size32 1
		.amdhsa_uses_dynamic_stack 0
		.amdhsa_enable_private_segment 0
		.amdhsa_system_sgpr_workgroup_id_x 1
		.amdhsa_system_sgpr_workgroup_id_y 0
		.amdhsa_system_sgpr_workgroup_id_z 1
		.amdhsa_system_sgpr_workgroup_info 0
		.amdhsa_system_vgpr_workitem_id 0
		.amdhsa_next_free_vgpr 40
		.amdhsa_next_free_sgpr 55
		.amdhsa_reserve_vcc 1
		.amdhsa_float_round_mode_32 0
		.amdhsa_float_round_mode_16_64 0
		.amdhsa_float_denorm_mode_32 3
		.amdhsa_float_denorm_mode_16_64 3
		.amdhsa_fp16_overflow 0
		.amdhsa_workgroup_processor_mode 1
		.amdhsa_memory_ordered 1
		.amdhsa_forward_progress 1
		.amdhsa_inst_pref_size 45
		.amdhsa_round_robin_scheduling 0
		.amdhsa_exception_fp_ieee_invalid_op 0
		.amdhsa_exception_fp_denorm_src 0
		.amdhsa_exception_fp_ieee_div_zero 0
		.amdhsa_exception_fp_ieee_overflow 0
		.amdhsa_exception_fp_ieee_underflow 0
		.amdhsa_exception_fp_ieee_inexact 0
		.amdhsa_exception_int_div_zero 0
	.end_amdhsa_kernel
	.section	.text._ZL31rocblas_trsm_small_right_deviceIddPKPKdPKPdLi4EEv13rocblas_fill_18rocblas_operation_17rocblas_diagonal_iiT0_T1_lilT2_lili,"axG",@progbits,_ZL31rocblas_trsm_small_right_deviceIddPKPKdPKPdLi4EEv13rocblas_fill_18rocblas_operation_17rocblas_diagonal_iiT0_T1_lilT2_lili,comdat
.Lfunc_end71:
	.size	_ZL31rocblas_trsm_small_right_deviceIddPKPKdPKPdLi4EEv13rocblas_fill_18rocblas_operation_17rocblas_diagonal_iiT0_T1_lilT2_lili, .Lfunc_end71-_ZL31rocblas_trsm_small_right_deviceIddPKPKdPKPdLi4EEv13rocblas_fill_18rocblas_operation_17rocblas_diagonal_iiT0_T1_lilT2_lili
                                        ; -- End function
	.set _ZL31rocblas_trsm_small_right_deviceIddPKPKdPKPdLi4EEv13rocblas_fill_18rocblas_operation_17rocblas_diagonal_iiT0_T1_lilT2_lili.num_vgpr, 40
	.set _ZL31rocblas_trsm_small_right_deviceIddPKPKdPKPdLi4EEv13rocblas_fill_18rocblas_operation_17rocblas_diagonal_iiT0_T1_lilT2_lili.num_agpr, 0
	.set _ZL31rocblas_trsm_small_right_deviceIddPKPKdPKPdLi4EEv13rocblas_fill_18rocblas_operation_17rocblas_diagonal_iiT0_T1_lilT2_lili.numbered_sgpr, 55
	.set _ZL31rocblas_trsm_small_right_deviceIddPKPKdPKPdLi4EEv13rocblas_fill_18rocblas_operation_17rocblas_diagonal_iiT0_T1_lilT2_lili.num_named_barrier, 0
	.set _ZL31rocblas_trsm_small_right_deviceIddPKPKdPKPdLi4EEv13rocblas_fill_18rocblas_operation_17rocblas_diagonal_iiT0_T1_lilT2_lili.private_seg_size, 0
	.set _ZL31rocblas_trsm_small_right_deviceIddPKPKdPKPdLi4EEv13rocblas_fill_18rocblas_operation_17rocblas_diagonal_iiT0_T1_lilT2_lili.uses_vcc, 1
	.set _ZL31rocblas_trsm_small_right_deviceIddPKPKdPKPdLi4EEv13rocblas_fill_18rocblas_operation_17rocblas_diagonal_iiT0_T1_lilT2_lili.uses_flat_scratch, 0
	.set _ZL31rocblas_trsm_small_right_deviceIddPKPKdPKPdLi4EEv13rocblas_fill_18rocblas_operation_17rocblas_diagonal_iiT0_T1_lilT2_lili.has_dyn_sized_stack, 0
	.set _ZL31rocblas_trsm_small_right_deviceIddPKPKdPKPdLi4EEv13rocblas_fill_18rocblas_operation_17rocblas_diagonal_iiT0_T1_lilT2_lili.has_recursion, 0
	.set _ZL31rocblas_trsm_small_right_deviceIddPKPKdPKPdLi4EEv13rocblas_fill_18rocblas_operation_17rocblas_diagonal_iiT0_T1_lilT2_lili.has_indirect_call, 0
	.section	.AMDGPU.csdata,"",@progbits
; Kernel info:
; codeLenInByte = 5748
; TotalNumSgprs: 57
; NumVgprs: 40
; ScratchSize: 0
; MemoryBound: 0
; FloatMode: 240
; IeeeMode: 1
; LDSByteSize: 256 bytes/workgroup (compile time only)
; SGPRBlocks: 0
; VGPRBlocks: 4
; NumSGPRsForWavesPerEU: 57
; NumVGPRsForWavesPerEU: 40
; Occupancy: 16
; WaveLimiterHint : 0
; COMPUTE_PGM_RSRC2:SCRATCH_EN: 0
; COMPUTE_PGM_RSRC2:USER_SGPR: 2
; COMPUTE_PGM_RSRC2:TRAP_HANDLER: 0
; COMPUTE_PGM_RSRC2:TGID_X_EN: 1
; COMPUTE_PGM_RSRC2:TGID_Y_EN: 0
; COMPUTE_PGM_RSRC2:TGID_Z_EN: 1
; COMPUTE_PGM_RSRC2:TIDIG_COMP_CNT: 0
	.section	.text._ZL38rocblas_trsm_small_left_device_sharedBILi8ELi8ELb0EddPKPKdPKPdEv13rocblas_fill_18rocblas_operation_17rocblas_diagonal_iiT3_T4_lilT5_lili,"axG",@progbits,_ZL38rocblas_trsm_small_left_device_sharedBILi8ELi8ELb0EddPKPKdPKPdEv13rocblas_fill_18rocblas_operation_17rocblas_diagonal_iiT3_T4_lilT5_lili,comdat
	.globl	_ZL38rocblas_trsm_small_left_device_sharedBILi8ELi8ELb0EddPKPKdPKPdEv13rocblas_fill_18rocblas_operation_17rocblas_diagonal_iiT3_T4_lilT5_lili ; -- Begin function _ZL38rocblas_trsm_small_left_device_sharedBILi8ELi8ELb0EddPKPKdPKPdEv13rocblas_fill_18rocblas_operation_17rocblas_diagonal_iiT3_T4_lilT5_lili
	.p2align	8
	.type	_ZL38rocblas_trsm_small_left_device_sharedBILi8ELi8ELb0EddPKPKdPKPdEv13rocblas_fill_18rocblas_operation_17rocblas_diagonal_iiT3_T4_lilT5_lili,@function
_ZL38rocblas_trsm_small_left_device_sharedBILi8ELi8ELb0EddPKPKdPKPdEv13rocblas_fill_18rocblas_operation_17rocblas_diagonal_iiT3_T4_lilT5_lili: ; @_ZL38rocblas_trsm_small_left_device_sharedBILi8ELi8ELb0EddPKPKdPKPdEv13rocblas_fill_18rocblas_operation_17rocblas_diagonal_iiT3_T4_lilT5_lili
; %bb.0:
	s_load_b32 s26, s[0:1], 0x60
	s_lshr_b32 s2, ttmp7, 16
	s_wait_kmcnt 0x0
	s_cmp_ge_u32 s2, s26
	s_cbranch_scc1 .LBB72_56
; %bb.1:
	s_clause 0x5
	s_load_b96 s[16:18], s[0:1], 0x28
	s_load_b32 s20, s[0:1], 0x50
	s_load_b128 s[12:15], s[0:1], 0x4
	s_load_b32 s3, s[0:1], 0x68
	s_load_b128 s[4:7], s[0:1], 0x18
	s_load_b128 s[8:11], s[0:1], 0x40
	v_dual_mov_b32 v1, 0 :: v_dual_lshlrev_b32 v38, 3, v0
	s_lshl_b32 s22, ttmp9, 3
	v_lshlrev_b32_e32 v19, 6, v0
	s_mov_b32 s19, 0
	s_delay_alu instid0(VALU_DEP_2)
	v_or_b32_e32 v39, 0x200, v38
	v_dual_mov_b32 v15, v1 :: v_dual_mov_b32 v16, v1
	v_dual_mov_b32 v2, v1 :: v_dual_mov_b32 v3, v1
	;; [unrolled: 1-line block ×4, first 2 shown]
	v_mov_b32_e32 v8, v1
	s_wait_kmcnt 0x0
	s_ashr_i32 s25, s18, 31
	s_min_i32 s1, s14, 8
	s_add_co_i32 s3, s3, -1
	s_ashr_i32 s21, s20, 31
	s_sub_co_i32 s0, s15, s22
	s_add_co_i32 s27, s1, -1
	v_mad_co_i64_i32 v[17:18], null, s20, v0, 0
	s_cmp_ge_u32 ttmp9, s3
	v_dual_mov_b32 v9, v1 :: v_dual_mov_b32 v10, v1
	s_cselect_b32 s3, s0, 8
	s_ashr_i32 s23, s22, 31
	s_cmp_lg_u32 s13, 0x84
	v_cmp_gt_i32_e32 vcc_lo, s3, v0
	s_cselect_b32 s28, -1, 0
	s_cmp_gt_i32 s14, 0
	v_dual_mov_b32 v11, v1 :: v_dual_mov_b32 v12, v1
	v_dual_mov_b32 v13, v1 :: v_dual_mov_b32 v14, v1
	v_cmp_gt_i32_e64 s0, s1, v0
	s_cselect_b32 s3, -1, 0
	s_cmp_lg_u32 s12, 0x6f
	v_lshlrev_b32_e32 v0, 3, v0
	v_lshlrev_b64_e32 v[34:35], 3, v[17:18]
	v_mov_b32_e32 v17, v16
	v_mov_b32_e32 v16, v15
	;; [unrolled: 1-line block ×4, first 2 shown]
	v_dual_mov_b32 v13, v12 :: v_dual_add_nc_u32 v40, v38, v19
	v_mov_b32_e32 v12, v11
	v_mov_b32_e32 v11, v10
	;; [unrolled: 1-line block ×11, first 2 shown]
	s_mov_b32 s24, s18
	s_mul_u64 s[20:21], s[20:21], s[22:23]
	s_cselect_b32 s29, -1, 0
	s_wait_alu 0xfffe
	s_and_b32 s30, vcc_lo, s3
	s_lshl_b32 s3, s1, 6
	s_lshl_b64 s[12:13], s[24:25], 3
	s_wait_alu 0xfffe
	s_sub_co_i32 s31, s3, 64
	s_lshl_b64 s[14:15], s[16:17], 3
	s_lshl_b64 s[10:11], s[10:11], 3
	;; [unrolled: 1-line block ×3, first 2 shown]
	s_branch .LBB72_3
.LBB72_2:                               ;   in Loop: Header=BB72_3 Depth=1
	s_wait_alu 0xfffe
	s_or_b32 exec_lo, exec_lo, s3
	v_dual_mov_b32 v2, v18 :: v_dual_mov_b32 v3, v19
	v_dual_mov_b32 v4, v20 :: v_dual_mov_b32 v5, v21
	;; [unrolled: 1-line block ×8, first 2 shown]
	s_add_co_i32 s2, s2, 0x10000
	s_wait_alu 0xfffe
	s_cmp_lt_u32 s2, s26
	s_cbranch_scc0 .LBB72_56
.LBB72_3:                               ; =>This Loop Header: Depth=1
                                        ;     Child Loop BB72_5 Depth 2
                                        ;     Child Loop BB72_11 Depth 2
	;; [unrolled: 1-line block ×3, first 2 shown]
                                        ;       Child Loop BB72_17 Depth 3
                                        ;         Child Loop BB72_18 Depth 4
                                        ;         Child Loop BB72_21 Depth 4
                                        ;           Child Loop BB72_22 Depth 5
                                        ;         Child Loop BB72_27 Depth 4
                                        ;           Child Loop BB72_29 Depth 5
                                        ;     Child Loop BB72_35 Depth 2
                                        ;       Child Loop BB72_38 Depth 3
                                        ;         Child Loop BB72_39 Depth 4
                                        ;         Child Loop BB72_41 Depth 4
                                        ;           Child Loop BB72_42 Depth 5
                                        ;         Child Loop BB72_47 Depth 4
                                        ;           Child Loop BB72_49 Depth 5
                                        ;     Child Loop BB72_55 Depth 2
	s_mov_b32 s3, s19
	s_wait_alu 0xfffe
	s_lshl_b64 s[20:21], s[2:3], 3
	s_wait_alu 0xfffe
	s_add_nc_u64 s[22:23], s[8:9], s[20:21]
	global_load_b64 v[18:19], v1, s[22:23]
	s_and_saveexec_b32 s3, s0
	s_cbranch_execz .LBB72_9
; %bb.4:                                ;   in Loop: Header=BB72_3 Depth=1
	s_add_nc_u64 s[20:21], s[6:7], s[20:21]
	v_mov_b32_e32 v22, v38
	global_load_b64 v[20:21], v1, s[20:21]
	s_mov_b32 s18, s1
	s_wait_loadcnt 0x0
	v_add_co_u32 v20, vcc_lo, v20, s14
	s_wait_alu 0xfffd
	v_add_co_ci_u32_e64 v21, null, s15, v21, vcc_lo
	s_delay_alu instid0(VALU_DEP_2) | instskip(SKIP_1) | instid1(VALU_DEP_2)
	v_add_co_u32 v20, vcc_lo, v20, v0
	s_wait_alu 0xfffd
	v_add_co_ci_u32_e64 v21, null, 0, v21, vcc_lo
.LBB72_5:                               ;   Parent Loop BB72_3 Depth=1
                                        ; =>  This Inner Loop Header: Depth=2
	flat_load_b64 v[23:24], v[20:21]
	v_add_co_u32 v20, vcc_lo, v20, s12
	s_wait_alu 0xfffd
	v_add_co_ci_u32_e64 v21, null, s13, v21, vcc_lo
	s_add_co_i32 s18, s18, -1
	s_delay_alu instid0(SALU_CYCLE_1)
	s_cmp_eq_u32 s18, 0
	s_wait_loadcnt_dscnt 0x0
	ds_store_b64 v22, v[23:24]
	v_add_nc_u32_e32 v22, 64, v22
	s_cbranch_scc0 .LBB72_5
; %bb.6:                                ;   in Loop: Header=BB72_3 Depth=1
	v_mov_b32_e32 v20, 0
	v_mov_b32_e32 v21, 0x3ff00000
	s_and_b32 vcc_lo, exec_lo, s28
	s_wait_alu 0xfffe
	s_cbranch_vccz .LBB72_8
; %bb.7:                                ;   in Loop: Header=BB72_3 Depth=1
	ds_load_b64 v[20:21], v40
	s_wait_dscnt 0x0
	v_div_scale_f64 v[22:23], null, v[20:21], v[20:21], 1.0
	s_delay_alu instid0(VALU_DEP_1) | instskip(NEXT) | instid1(TRANS32_DEP_1)
	v_rcp_f64_e32 v[24:25], v[22:23]
	v_fma_f64 v[26:27], -v[22:23], v[24:25], 1.0
	s_delay_alu instid0(VALU_DEP_1) | instskip(NEXT) | instid1(VALU_DEP_1)
	v_fma_f64 v[24:25], v[24:25], v[26:27], v[24:25]
	v_fma_f64 v[26:27], -v[22:23], v[24:25], 1.0
	s_delay_alu instid0(VALU_DEP_1) | instskip(SKIP_1) | instid1(VALU_DEP_1)
	v_fma_f64 v[24:25], v[24:25], v[26:27], v[24:25]
	v_div_scale_f64 v[26:27], vcc_lo, 1.0, v[20:21], 1.0
	v_mul_f64_e32 v[28:29], v[26:27], v[24:25]
	s_delay_alu instid0(VALU_DEP_1) | instskip(SKIP_1) | instid1(VALU_DEP_1)
	v_fma_f64 v[22:23], -v[22:23], v[28:29], v[26:27]
	s_wait_alu 0xfffd
	v_div_fmas_f64 v[22:23], v[22:23], v[24:25], v[28:29]
	s_delay_alu instid0(VALU_DEP_1)
	v_div_fixup_f64 v[20:21], v[22:23], v[20:21], 1.0
.LBB72_8:                               ;   in Loop: Header=BB72_3 Depth=1
	ds_store_b64 v40, v[20:21]
.LBB72_9:                               ;   in Loop: Header=BB72_3 Depth=1
	s_wait_alu 0xfffe
	s_or_b32 exec_lo, exec_lo, s3
	s_wait_loadcnt 0x0
	v_add_co_u32 v18, vcc_lo, v18, s10
	s_wait_alu 0xfffd
	v_add_co_ci_u32_e64 v19, null, s11, v19, vcc_lo
	s_delay_alu instid0(VALU_DEP_2) | instskip(SKIP_1) | instid1(VALU_DEP_2)
	v_add_co_u32 v41, vcc_lo, v18, s16
	s_wait_alu 0xfffd
	v_add_co_ci_u32_e64 v42, null, s17, v19, vcc_lo
	s_and_saveexec_b32 s3, s30
	s_cbranch_execz .LBB72_12
; %bb.10:                               ;   in Loop: Header=BB72_3 Depth=1
	v_add_co_u32 v18, vcc_lo, v41, v34
	s_wait_alu 0xfffd
	v_add_co_ci_u32_e64 v19, null, v42, v35, vcc_lo
	v_mov_b32_e32 v20, v39
	s_mov_b32 s18, s1
.LBB72_11:                              ;   Parent Loop BB72_3 Depth=1
                                        ; =>  This Inner Loop Header: Depth=2
	flat_load_b64 v[21:22], v[18:19]
	v_add_co_u32 v18, vcc_lo, v18, 8
	s_wait_alu 0xfffd
	v_add_co_ci_u32_e64 v19, null, 0, v19, vcc_lo
	s_add_co_i32 s18, s18, -1
	s_delay_alu instid0(SALU_CYCLE_1)
	s_cmp_lg_u32 s18, 0
	s_wait_loadcnt_dscnt 0x0
	v_mul_f64_e32 v[21:22], s[4:5], v[21:22]
	ds_store_b64 v20, v[21:22]
	v_add_nc_u32_e32 v20, 64, v20
	s_cbranch_scc1 .LBB72_11
.LBB72_12:                              ;   in Loop: Header=BB72_3 Depth=1
	s_wait_alu 0xfffe
	s_or_b32 exec_lo, exec_lo, s3
	s_delay_alu instid0(SALU_CYCLE_1)
	s_and_not1_b32 vcc_lo, exec_lo, s29
	s_mov_b32 s3, -1
	s_wait_dscnt 0x0
	; wave barrier
	global_inv scope:SCOPE_SE
                                        ; implicit-def: $vgpr18_vgpr19_vgpr20_vgpr21_vgpr22_vgpr23_vgpr24_vgpr25_vgpr26_vgpr27_vgpr28_vgpr29_vgpr30_vgpr31_vgpr32_vgpr33
	s_wait_alu 0xfffe
	s_cbranch_vccnz .LBB72_33
; %bb.13:                               ;   in Loop: Header=BB72_3 Depth=1
	v_dual_mov_b32 v33, v17 :: v_dual_mov_b32 v32, v16
	v_dual_mov_b32 v31, v15 :: v_dual_mov_b32 v30, v14
	;; [unrolled: 1-line block ×8, first 2 shown]
	s_mov_b32 s18, 0
	s_delay_alu instid0(SALU_CYCLE_1)
	s_mov_b32 s3, s18
.LBB72_14:                              ;   Parent Loop BB72_3 Depth=1
                                        ; =>  This Loop Header: Depth=2
                                        ;       Child Loop BB72_17 Depth 3
                                        ;         Child Loop BB72_18 Depth 4
                                        ;         Child Loop BB72_21 Depth 4
                                        ;           Child Loop BB72_22 Depth 5
                                        ;         Child Loop BB72_27 Depth 4
                                        ;           Child Loop BB72_29 Depth 5
	s_getpc_b64 s[20:21]
	s_wait_alu 0xfffe
	s_sext_i32_i16 s21, s21
	s_add_co_u32 s20, s20, __const._ZL38rocblas_trsm_small_left_device_sharedBILi8ELi8ELb0EddPKPKdPKPdEv13rocblas_fill_18rocblas_operation_17rocblas_diagonal_iiT3_T4_lilT5_lili.step_sizes@rel32@lo+12
	s_wait_alu 0xfffe
	s_add_co_ci_u32 s21, s21, __const._ZL38rocblas_trsm_small_left_device_sharedBILi8ELi8ELb0EddPKPKdPKPdEv13rocblas_fill_18rocblas_operation_17rocblas_diagonal_iiT3_T4_lilT5_lili.step_sizes@rel32@hi+24
	s_lshl_b64 s[22:23], s[18:19], 2
	s_wait_alu 0xfffe
	s_add_nc_u64 s[20:21], s[20:21], s[22:23]
	s_load_b32 s33, s[20:21], 0x0
	s_wait_kmcnt 0x0
	s_add_co_i32 s34, s33, -1
	s_wait_alu 0xfffe
	s_add_co_i32 s20, s34, s3
	s_wait_alu 0xfffe
	s_cmp_ge_i32 s20, s1
	s_cbranch_scc1 .LBB72_30
; %bb.15:                               ;   in Loop: Header=BB72_14 Depth=2
	s_lshl_b32 s35, s3, 6
	s_max_i32 s36, s33, 1
	s_wait_alu 0xfffe
	v_add_nc_u32_e32 v43, s35, v39
	s_lshl_b32 s37, s33, 6
	s_mul_i32 s38, s3, 0x48
	s_mul_i32 s39, s33, 0x48
	s_branch .LBB72_17
.LBB72_16:                              ;   in Loop: Header=BB72_17 Depth=3
	s_add_co_i32 s3, s3, s33
	v_add_nc_u32_e32 v43, s37, v43
	s_wait_alu 0xfffe
	s_add_co_i32 s20, s34, s3
	s_add_co_i32 s35, s35, s37
	;; [unrolled: 1-line block ×3, first 2 shown]
	s_wait_alu 0xfffe
	s_cmp_ge_i32 s20, s1
	s_cbranch_scc1 .LBB72_30
.LBB72_17:                              ;   Parent Loop BB72_3 Depth=1
                                        ;     Parent Loop BB72_14 Depth=2
                                        ; =>    This Loop Header: Depth=3
                                        ;         Child Loop BB72_18 Depth 4
                                        ;         Child Loop BB72_21 Depth 4
                                        ;           Child Loop BB72_22 Depth 5
                                        ;         Child Loop BB72_27 Depth 4
                                        ;           Child Loop BB72_29 Depth 5
	v_mov_b32_e32 v36, v43
	s_mov_b64 s[20:21], 0
.LBB72_18:                              ;   Parent Loop BB72_3 Depth=1
                                        ;     Parent Loop BB72_14 Depth=2
                                        ;       Parent Loop BB72_17 Depth=3
                                        ; =>      This Inner Loop Header: Depth=4
	ds_load_b64 v[44:45], v36
	v_add_nc_u32_e32 v36, 64, v36
	s_wait_alu 0xfffe
	s_lshl_b32 m0, s20, 1
	s_add_nc_u64 s[20:21], s[20:21], 1
	s_wait_alu 0xfffe
	s_cmp_eq_u32 s36, s20
	s_wait_dscnt 0x0
	v_movreld_b32_e32 v18, v44
	v_movreld_b32_e32 v19, v45
	s_cbranch_scc0 .LBB72_18
; %bb.19:                               ;   in Loop: Header=BB72_17 Depth=3
	s_cmp_lt_i32 s3, 1
	s_cbranch_scc1 .LBB72_24
; %bb.20:                               ;   in Loop: Header=BB72_17 Depth=3
	s_mov_b32 s22, 0
	s_mov_b32 s23, s35
.LBB72_21:                              ;   Parent Loop BB72_3 Depth=1
                                        ;     Parent Loop BB72_14 Depth=2
                                        ;       Parent Loop BB72_17 Depth=3
                                        ; =>      This Loop Header: Depth=4
                                        ;           Child Loop BB72_22 Depth 5
	s_wait_alu 0xfffe
	v_lshl_add_u32 v36, s22, 6, v39
	s_mov_b64 s[20:21], 0
	s_mov_b32 s24, s23
	ds_load_b64 v[36:37], v36
.LBB72_22:                              ;   Parent Loop BB72_3 Depth=1
                                        ;     Parent Loop BB72_14 Depth=2
                                        ;       Parent Loop BB72_17 Depth=3
                                        ;         Parent Loop BB72_21 Depth=4
                                        ; =>        This Inner Loop Header: Depth=5
	s_wait_alu 0xfffe
	v_mov_b32_e32 v44, s24
	s_lshl_b32 m0, s20, 1
	s_add_nc_u64 s[20:21], s[20:21], 1
	v_movrels_b32_e32 v47, v19
	v_movrels_b32_e32 v46, v18
	ds_load_b64 v[44:45], v44
	s_add_co_i32 s24, s24, 64
	s_wait_alu 0xfffe
	s_cmp_eq_u32 s36, s20
	s_wait_dscnt 0x0
	v_fma_f64 v[44:45], -v[36:37], v[44:45], v[46:47]
	s_delay_alu instid0(VALU_DEP_1) | instskip(NEXT) | instid1(VALU_DEP_2)
	v_movreld_b32_e32 v18, v44
	v_movreld_b32_e32 v19, v45
	s_cbranch_scc0 .LBB72_22
; %bb.23:                               ;   in Loop: Header=BB72_21 Depth=4
	s_add_co_i32 s22, s22, 1
	s_add_co_i32 s23, s23, 8
	s_wait_alu 0xfffe
	s_cmp_eq_u32 s22, s3
	s_cbranch_scc0 .LBB72_21
.LBB72_24:                              ;   in Loop: Header=BB72_17 Depth=3
	s_lshl_b32 s40, s3, 6
	s_mov_b64 s[20:21], 0
	s_mov_b32 s41, s38
	s_branch .LBB72_27
.LBB72_25:                              ;   in Loop: Header=BB72_27 Depth=4
	s_mov_b32 s43, s3
	s_mov_b64 s[22:23], 0
	s_mov_b32 s42, s40
.LBB72_26:                              ;   in Loop: Header=BB72_27 Depth=4
	s_wait_alu 0xfffe
	s_mul_i32 s23, s43, 0x48
	s_lshl_b32 m0, s22, 1
	s_wait_alu 0xfffe
	v_mov_b32_e32 v36, s23
	v_movrels_b32_e32 v45, v19
	v_movrels_b32_e32 v44, v18
	s_add_nc_u64 s[20:21], s[20:21], 1
	s_add_co_i32 s41, s41, 64
	ds_load_b64 v[36:37], v36
	s_wait_alu 0xfffe
	s_cmp_eq_u32 s20, s36
	s_wait_dscnt 0x0
	v_mul_f64_e32 v[36:37], v[44:45], v[36:37]
	v_add_nc_u32_e32 v44, s42, v39
	s_delay_alu instid0(VALU_DEP_2) | instskip(NEXT) | instid1(VALU_DEP_3)
	v_movreld_b32_e32 v18, v36
	v_movreld_b32_e32 v19, v37
	ds_store_b64 v44, v[36:37]
	s_cbranch_scc1 .LBB72_16
.LBB72_27:                              ;   Parent Loop BB72_3 Depth=1
                                        ;     Parent Loop BB72_14 Depth=2
                                        ;       Parent Loop BB72_17 Depth=3
                                        ; =>      This Loop Header: Depth=4
                                        ;           Child Loop BB72_29 Depth 5
	s_wait_alu 0xfffe
	s_cmp_eq_u32 s20, 0
	s_cbranch_scc1 .LBB72_25
; %bb.28:                               ;   in Loop: Header=BB72_27 Depth=4
	s_add_co_i32 s43, s20, s3
	s_mov_b64 s[22:23], s[20:21]
	s_mov_b64 s[24:25], 0
	s_wait_alu 0xfffe
	s_lshl_b32 s42, s43, 6
	s_lshl_b32 s23, s20, 1
	s_mov_b32 s44, s41
.LBB72_29:                              ;   Parent Loop BB72_3 Depth=1
                                        ;     Parent Loop BB72_14 Depth=2
                                        ;       Parent Loop BB72_17 Depth=3
                                        ;         Parent Loop BB72_27 Depth=4
                                        ; =>        This Inner Loop Header: Depth=5
	s_wait_alu 0xfffe
	v_mov_b32_e32 v36, s44
	s_lshl_b32 m0, s24, 1
	s_add_nc_u64 s[24:25], s[24:25], 1
	v_movrels_b32_e32 v45, v19
	v_movrels_b32_e32 v44, v18
	ds_load_b64 v[36:37], v36
	s_mov_b32 m0, s23
	s_add_co_i32 s44, s44, 8
	v_movrels_b32_e32 v47, v19
	v_movrels_b32_e32 v46, v18
	s_wait_alu 0xfffe
	s_cmp_eq_u32 s20, s24
	s_wait_dscnt 0x0
	s_delay_alu instid0(VALU_DEP_1) | instskip(NEXT) | instid1(VALU_DEP_1)
	v_fma_f64 v[36:37], -v[44:45], v[36:37], v[46:47]
	v_movreld_b32_e32 v18, v36
	s_delay_alu instid0(VALU_DEP_2)
	v_movreld_b32_e32 v19, v37
	s_cbranch_scc0 .LBB72_29
	s_branch .LBB72_26
.LBB72_30:                              ;   in Loop: Header=BB72_14 Depth=2
	s_cmp_lt_i32 s3, s1
	s_cselect_b32 s21, -1, 0
	s_add_co_i32 s20, s18, 1
	s_cmp_lt_u32 s18, 2
	s_cselect_b32 s18, -1, 0
	s_wait_alu 0xfffe
	s_and_b32 s18, s21, s18
	s_delay_alu instid0(SALU_CYCLE_1)
	s_and_b32 vcc_lo, exec_lo, s18
	s_wait_alu 0xfffe
	s_cbranch_vccz .LBB72_32
; %bb.31:                               ;   in Loop: Header=BB72_14 Depth=2
	s_mov_b32 s18, s20
	s_branch .LBB72_14
.LBB72_32:                              ;   in Loop: Header=BB72_3 Depth=1
	s_mov_b32 s3, 0
.LBB72_33:                              ;   in Loop: Header=BB72_3 Depth=1
	s_wait_alu 0xfffe
	s_and_b32 vcc_lo, exec_lo, s3
	s_wait_alu 0xfffe
	s_cbranch_vccz .LBB72_53
; %bb.34:                               ;   in Loop: Header=BB72_3 Depth=1
	s_mov_b32 s18, 0
	s_mov_b32 s3, s27
.LBB72_35:                              ;   Parent Loop BB72_3 Depth=1
                                        ; =>  This Loop Header: Depth=2
                                        ;       Child Loop BB72_38 Depth 3
                                        ;         Child Loop BB72_39 Depth 4
                                        ;         Child Loop BB72_41 Depth 4
                                        ;           Child Loop BB72_42 Depth 5
                                        ;         Child Loop BB72_47 Depth 4
                                        ;           Child Loop BB72_49 Depth 5
	s_getpc_b64 s[20:21]
	s_wait_alu 0xfffe
	s_sext_i32_i16 s21, s21
	s_add_co_u32 s20, s20, __const._ZL38rocblas_trsm_small_left_device_sharedBILi8ELi8ELb0EddPKPKdPKPdEv13rocblas_fill_18rocblas_operation_17rocblas_diagonal_iiT3_T4_lilT5_lili.step_sizes@rel32@lo+12
	s_wait_alu 0xfffe
	s_add_co_ci_u32 s21, s21, __const._ZL38rocblas_trsm_small_left_device_sharedBILi8ELi8ELb0EddPKPKdPKPdEv13rocblas_fill_18rocblas_operation_17rocblas_diagonal_iiT3_T4_lilT5_lili.step_sizes@rel32@hi+24
	s_lshl_b64 s[22:23], s[18:19], 2
	s_wait_alu 0xfffe
	s_add_nc_u64 s[20:21], s[20:21], s[22:23]
	s_load_b32 s33, s[20:21], 0x0
	s_wait_kmcnt 0x0
	s_add_co_i32 s34, s33, -1
	s_wait_alu 0xfffe
	s_cmp_lt_i32 s3, s34
	s_cbranch_scc1 .LBB72_50
; %bb.36:                               ;   in Loop: Header=BB72_35 Depth=2
	s_lshl_b32 s20, s33, 6
	v_lshl_add_u32 v20, s3, 6, v39
	s_wait_alu 0xfffe
	s_sub_co_i32 s36, 0, s20
	s_lshl_b32 s20, s3, 3
	s_lshl_b32 s21, s33, 3
	s_max_i32 s35, s33, 1
	s_wait_alu 0xfffe
	s_add_co_i32 s37, s31, s20
	s_sub_co_i32 s38, 0, s21
	s_mul_i32 s39, s3, 0x48
	s_mul_i32 s40, s33, 0xffffffb8
	s_branch .LBB72_38
.LBB72_37:                              ;   in Loop: Header=BB72_38 Depth=3
	v_add_nc_u32_e32 v20, s36, v20
	s_sub_co_i32 s3, s3, s33
	s_add_co_i32 s37, s37, s38
	s_add_co_i32 s39, s39, s40
	s_wait_alu 0xfffe
	s_cmp_lt_i32 s3, s34
	s_cbranch_scc1 .LBB72_50
.LBB72_38:                              ;   Parent Loop BB72_3 Depth=1
                                        ;     Parent Loop BB72_35 Depth=2
                                        ; =>    This Loop Header: Depth=3
                                        ;         Child Loop BB72_39 Depth 4
                                        ;         Child Loop BB72_41 Depth 4
                                        ;           Child Loop BB72_42 Depth 5
                                        ;         Child Loop BB72_47 Depth 4
                                        ;           Child Loop BB72_49 Depth 5
	v_mov_b32_e32 v18, v20
	s_mov_b64 s[20:21], 0
.LBB72_39:                              ;   Parent Loop BB72_3 Depth=1
                                        ;     Parent Loop BB72_35 Depth=2
                                        ;       Parent Loop BB72_38 Depth=3
                                        ; =>      This Inner Loop Header: Depth=4
	ds_load_b64 v[21:22], v18
	v_subrev_nc_u32_e32 v18, 64, v18
	s_wait_alu 0xfffe
	s_lshl_b32 m0, s20, 1
	s_add_nc_u64 s[20:21], s[20:21], 1
	s_wait_alu 0xfffe
	s_cmp_eq_u32 s35, s20
	s_wait_dscnt 0x0
	v_movreld_b32_e32 v2, v21
	v_movreld_b32_e32 v3, v22
	s_cbranch_scc0 .LBB72_39
; %bb.40:                               ;   in Loop: Header=BB72_38 Depth=3
	s_cmp_le_i32 s27, s3
	s_mov_b32 s22, s37
	s_mov_b32 s23, s27
	s_cbranch_scc1 .LBB72_44
.LBB72_41:                              ;   Parent Loop BB72_3 Depth=1
                                        ;     Parent Loop BB72_35 Depth=2
                                        ;       Parent Loop BB72_38 Depth=3
                                        ; =>      This Loop Header: Depth=4
                                        ;           Child Loop BB72_42 Depth 5
	s_wait_alu 0xfffe
	v_lshl_add_u32 v18, s23, 6, v39
	s_mov_b64 s[20:21], 0
	s_mov_b32 s24, s22
	ds_load_b64 v[18:19], v18
.LBB72_42:                              ;   Parent Loop BB72_3 Depth=1
                                        ;     Parent Loop BB72_35 Depth=2
                                        ;       Parent Loop BB72_38 Depth=3
                                        ;         Parent Loop BB72_41 Depth=4
                                        ; =>        This Inner Loop Header: Depth=5
	s_wait_alu 0xfffe
	v_mov_b32_e32 v21, s24
	s_lshl_b32 m0, s20, 1
	s_add_nc_u64 s[20:21], s[20:21], 1
	v_movrels_b32_e32 v24, v3
	v_movrels_b32_e32 v23, v2
	ds_load_b64 v[21:22], v21
	s_add_co_i32 s24, s24, -8
	s_wait_alu 0xfffe
	s_cmp_eq_u32 s35, s20
	s_wait_dscnt 0x0
	v_fma_f64 v[21:22], -v[18:19], v[21:22], v[23:24]
	s_delay_alu instid0(VALU_DEP_1) | instskip(NEXT) | instid1(VALU_DEP_2)
	v_movreld_b32_e32 v2, v21
	v_movreld_b32_e32 v3, v22
	s_cbranch_scc0 .LBB72_42
; %bb.43:                               ;   in Loop: Header=BB72_41 Depth=4
	s_add_co_i32 s23, s23, -1
	s_sub_co_i32 s22, s22, 64
	s_wait_alu 0xfffe
	s_cmp_le_i32 s23, s3
	s_cbranch_scc0 .LBB72_41
.LBB72_44:                              ;   in Loop: Header=BB72_38 Depth=3
	s_mov_b64 s[20:21], 0
	s_mov_b32 s41, s39
	s_branch .LBB72_47
.LBB72_45:                              ;   in Loop: Header=BB72_47 Depth=4
	s_mov_b32 s42, s3
	s_mov_b64 s[22:23], 0
.LBB72_46:                              ;   in Loop: Header=BB72_47 Depth=4
	s_wait_alu 0xfffe
	s_mul_i32 s23, s42, 0x48
	s_lshl_b32 m0, s22, 1
	s_wait_alu 0xfffe
	v_mov_b32_e32 v18, s23
	v_movrels_b32_e32 v22, v3
	v_movrels_b32_e32 v21, v2
	s_add_nc_u64 s[20:21], s[20:21], 1
	s_add_co_i32 s41, s41, -8
	ds_load_b64 v[18:19], v18
	s_wait_alu 0xfffe
	s_cmp_eq_u32 s20, s35
	s_wait_dscnt 0x0
	v_mul_f64_e32 v[18:19], v[21:22], v[18:19]
	v_lshl_add_u32 v21, s42, 6, v39
	s_delay_alu instid0(VALU_DEP_2) | instskip(NEXT) | instid1(VALU_DEP_3)
	v_movreld_b32_e32 v2, v18
	v_movreld_b32_e32 v3, v19
	ds_store_b64 v21, v[18:19]
	s_cbranch_scc1 .LBB72_37
.LBB72_47:                              ;   Parent Loop BB72_3 Depth=1
                                        ;     Parent Loop BB72_35 Depth=2
                                        ;       Parent Loop BB72_38 Depth=3
                                        ; =>      This Loop Header: Depth=4
                                        ;           Child Loop BB72_49 Depth 5
	s_wait_alu 0xfffe
	s_cmp_eq_u32 s20, 0
	s_cbranch_scc1 .LBB72_45
; %bb.48:                               ;   in Loop: Header=BB72_47 Depth=4
	s_mov_b64 s[22:23], s[20:21]
	s_sub_co_i32 s42, s3, s20
	s_mov_b64 s[24:25], 0
	s_lshl_b32 s23, s20, 1
	s_mov_b32 s43, s41
.LBB72_49:                              ;   Parent Loop BB72_3 Depth=1
                                        ;     Parent Loop BB72_35 Depth=2
                                        ;       Parent Loop BB72_38 Depth=3
                                        ;         Parent Loop BB72_47 Depth=4
                                        ; =>        This Inner Loop Header: Depth=5
	s_wait_alu 0xfffe
	v_mov_b32_e32 v18, s43
	s_lshl_b32 m0, s24, 1
	s_add_nc_u64 s[24:25], s[24:25], 1
	v_movrels_b32_e32 v22, v3
	v_movrels_b32_e32 v21, v2
	ds_load_b64 v[18:19], v18
	s_mov_b32 m0, s23
	s_sub_co_i32 s43, s43, 64
	v_movrels_b32_e32 v24, v3
	v_movrels_b32_e32 v23, v2
	s_wait_alu 0xfffe
	s_cmp_eq_u32 s20, s24
	s_wait_dscnt 0x0
	s_delay_alu instid0(VALU_DEP_1) | instskip(NEXT) | instid1(VALU_DEP_1)
	v_fma_f64 v[18:19], -v[21:22], v[18:19], v[23:24]
	v_movreld_b32_e32 v2, v18
	s_delay_alu instid0(VALU_DEP_2)
	v_movreld_b32_e32 v3, v19
	s_cbranch_scc0 .LBB72_49
	s_branch .LBB72_46
.LBB72_50:                              ;   in Loop: Header=BB72_35 Depth=2
	s_cmp_gt_i32 s3, -1
	s_cselect_b32 s21, -1, 0
	s_add_co_i32 s20, s18, 1
	s_cmp_lt_u32 s18, 2
	s_cselect_b32 s18, -1, 0
	s_wait_alu 0xfffe
	s_and_b32 s18, s21, s18
	s_delay_alu instid0(SALU_CYCLE_1)
	s_and_not1_b32 vcc_lo, exec_lo, s18
	s_wait_alu 0xfffe
	s_cbranch_vccnz .LBB72_52
; %bb.51:                               ;   in Loop: Header=BB72_35 Depth=2
	s_mov_b32 s18, s20
	s_branch .LBB72_35
.LBB72_52:                              ;   in Loop: Header=BB72_3 Depth=1
	v_dual_mov_b32 v33, v17 :: v_dual_mov_b32 v32, v16
	v_dual_mov_b32 v31, v15 :: v_dual_mov_b32 v30, v14
	;; [unrolled: 1-line block ×8, first 2 shown]
.LBB72_53:                              ;   in Loop: Header=BB72_3 Depth=1
	; wave barrier
	s_wait_loadcnt_dscnt 0x0
	global_inv scope:SCOPE_SE
	s_and_saveexec_b32 s3, s30
	s_cbranch_execz .LBB72_2
; %bb.54:                               ;   in Loop: Header=BB72_3 Depth=1
	v_add_co_u32 v2, vcc_lo, v41, v34
	s_wait_alu 0xfffd
	v_add_co_ci_u32_e64 v3, null, v42, v35, vcc_lo
	v_mov_b32_e32 v4, v39
	s_mov_b32 s18, s1
.LBB72_55:                              ;   Parent Loop BB72_3 Depth=1
                                        ; =>  This Inner Loop Header: Depth=2
	ds_load_b64 v[5:6], v4
	v_add_nc_u32_e32 v4, 64, v4
	s_add_co_i32 s18, s18, -1
	s_delay_alu instid0(SALU_CYCLE_1)
	s_cmp_lg_u32 s18, 0
	s_wait_dscnt 0x0
	flat_store_b64 v[2:3], v[5:6]
	v_add_co_u32 v2, vcc_lo, v2, 8
	s_wait_alu 0xfffd
	v_add_co_ci_u32_e64 v3, null, 0, v3, vcc_lo
	s_cbranch_scc1 .LBB72_55
	s_branch .LBB72_2
.LBB72_56:
	s_endpgm
	.section	.rodata,"a",@progbits
	.p2align	6, 0x0
	.amdhsa_kernel _ZL38rocblas_trsm_small_left_device_sharedBILi8ELi8ELb0EddPKPKdPKPdEv13rocblas_fill_18rocblas_operation_17rocblas_diagonal_iiT3_T4_lilT5_lili
		.amdhsa_group_segment_fixed_size 1024
		.amdhsa_private_segment_fixed_size 0
		.amdhsa_kernarg_size 360
		.amdhsa_user_sgpr_count 2
		.amdhsa_user_sgpr_dispatch_ptr 0
		.amdhsa_user_sgpr_queue_ptr 0
		.amdhsa_user_sgpr_kernarg_segment_ptr 1
		.amdhsa_user_sgpr_dispatch_id 0
		.amdhsa_user_sgpr_private_segment_size 0
		.amdhsa_wavefront_size32 1
		.amdhsa_uses_dynamic_stack 0
		.amdhsa_enable_private_segment 0
		.amdhsa_system_sgpr_workgroup_id_x 1
		.amdhsa_system_sgpr_workgroup_id_y 0
		.amdhsa_system_sgpr_workgroup_id_z 1
		.amdhsa_system_sgpr_workgroup_info 0
		.amdhsa_system_vgpr_workitem_id 0
		.amdhsa_next_free_vgpr 48
		.amdhsa_next_free_sgpr 45
		.amdhsa_reserve_vcc 1
		.amdhsa_float_round_mode_32 0
		.amdhsa_float_round_mode_16_64 0
		.amdhsa_float_denorm_mode_32 3
		.amdhsa_float_denorm_mode_16_64 3
		.amdhsa_fp16_overflow 0
		.amdhsa_workgroup_processor_mode 1
		.amdhsa_memory_ordered 1
		.amdhsa_forward_progress 1
		.amdhsa_inst_pref_size 21
		.amdhsa_round_robin_scheduling 0
		.amdhsa_exception_fp_ieee_invalid_op 0
		.amdhsa_exception_fp_denorm_src 0
		.amdhsa_exception_fp_ieee_div_zero 0
		.amdhsa_exception_fp_ieee_overflow 0
		.amdhsa_exception_fp_ieee_underflow 0
		.amdhsa_exception_fp_ieee_inexact 0
		.amdhsa_exception_int_div_zero 0
	.end_amdhsa_kernel
	.section	.text._ZL38rocblas_trsm_small_left_device_sharedBILi8ELi8ELb0EddPKPKdPKPdEv13rocblas_fill_18rocblas_operation_17rocblas_diagonal_iiT3_T4_lilT5_lili,"axG",@progbits,_ZL38rocblas_trsm_small_left_device_sharedBILi8ELi8ELb0EddPKPKdPKPdEv13rocblas_fill_18rocblas_operation_17rocblas_diagonal_iiT3_T4_lilT5_lili,comdat
.Lfunc_end72:
	.size	_ZL38rocblas_trsm_small_left_device_sharedBILi8ELi8ELb0EddPKPKdPKPdEv13rocblas_fill_18rocblas_operation_17rocblas_diagonal_iiT3_T4_lilT5_lili, .Lfunc_end72-_ZL38rocblas_trsm_small_left_device_sharedBILi8ELi8ELb0EddPKPKdPKPdEv13rocblas_fill_18rocblas_operation_17rocblas_diagonal_iiT3_T4_lilT5_lili
                                        ; -- End function
	.set _ZL38rocblas_trsm_small_left_device_sharedBILi8ELi8ELb0EddPKPKdPKPdEv13rocblas_fill_18rocblas_operation_17rocblas_diagonal_iiT3_T4_lilT5_lili.num_vgpr, 48
	.set _ZL38rocblas_trsm_small_left_device_sharedBILi8ELi8ELb0EddPKPKdPKPdEv13rocblas_fill_18rocblas_operation_17rocblas_diagonal_iiT3_T4_lilT5_lili.num_agpr, 0
	.set _ZL38rocblas_trsm_small_left_device_sharedBILi8ELi8ELb0EddPKPKdPKPdEv13rocblas_fill_18rocblas_operation_17rocblas_diagonal_iiT3_T4_lilT5_lili.numbered_sgpr, 45
	.set _ZL38rocblas_trsm_small_left_device_sharedBILi8ELi8ELb0EddPKPKdPKPdEv13rocblas_fill_18rocblas_operation_17rocblas_diagonal_iiT3_T4_lilT5_lili.num_named_barrier, 0
	.set _ZL38rocblas_trsm_small_left_device_sharedBILi8ELi8ELb0EddPKPKdPKPdEv13rocblas_fill_18rocblas_operation_17rocblas_diagonal_iiT3_T4_lilT5_lili.private_seg_size, 0
	.set _ZL38rocblas_trsm_small_left_device_sharedBILi8ELi8ELb0EddPKPKdPKPdEv13rocblas_fill_18rocblas_operation_17rocblas_diagonal_iiT3_T4_lilT5_lili.uses_vcc, 1
	.set _ZL38rocblas_trsm_small_left_device_sharedBILi8ELi8ELb0EddPKPKdPKPdEv13rocblas_fill_18rocblas_operation_17rocblas_diagonal_iiT3_T4_lilT5_lili.uses_flat_scratch, 0
	.set _ZL38rocblas_trsm_small_left_device_sharedBILi8ELi8ELb0EddPKPKdPKPdEv13rocblas_fill_18rocblas_operation_17rocblas_diagonal_iiT3_T4_lilT5_lili.has_dyn_sized_stack, 0
	.set _ZL38rocblas_trsm_small_left_device_sharedBILi8ELi8ELb0EddPKPKdPKPdEv13rocblas_fill_18rocblas_operation_17rocblas_diagonal_iiT3_T4_lilT5_lili.has_recursion, 0
	.set _ZL38rocblas_trsm_small_left_device_sharedBILi8ELi8ELb0EddPKPKdPKPdEv13rocblas_fill_18rocblas_operation_17rocblas_diagonal_iiT3_T4_lilT5_lili.has_indirect_call, 0
	.section	.AMDGPU.csdata,"",@progbits
; Kernel info:
; codeLenInByte = 2596
; TotalNumSgprs: 47
; NumVgprs: 48
; ScratchSize: 0
; MemoryBound: 0
; FloatMode: 240
; IeeeMode: 1
; LDSByteSize: 1024 bytes/workgroup (compile time only)
; SGPRBlocks: 0
; VGPRBlocks: 5
; NumSGPRsForWavesPerEU: 47
; NumVGPRsForWavesPerEU: 48
; Occupancy: 16
; WaveLimiterHint : 0
; COMPUTE_PGM_RSRC2:SCRATCH_EN: 0
; COMPUTE_PGM_RSRC2:USER_SGPR: 2
; COMPUTE_PGM_RSRC2:TRAP_HANDLER: 0
; COMPUTE_PGM_RSRC2:TGID_X_EN: 1
; COMPUTE_PGM_RSRC2:TGID_Y_EN: 0
; COMPUTE_PGM_RSRC2:TGID_Z_EN: 1
; COMPUTE_PGM_RSRC2:TIDIG_COMP_CNT: 0
	.section	.text._ZL30rocblas_trsm_small_left_deviceILi8ELi8ELb0EddPKPKdPKPdEv13rocblas_fill_18rocblas_operation_17rocblas_diagonal_iiT3_T4_lilT5_lili,"axG",@progbits,_ZL30rocblas_trsm_small_left_deviceILi8ELi8ELb0EddPKPKdPKPdEv13rocblas_fill_18rocblas_operation_17rocblas_diagonal_iiT3_T4_lilT5_lili,comdat
	.globl	_ZL30rocblas_trsm_small_left_deviceILi8ELi8ELb0EddPKPKdPKPdEv13rocblas_fill_18rocblas_operation_17rocblas_diagonal_iiT3_T4_lilT5_lili ; -- Begin function _ZL30rocblas_trsm_small_left_deviceILi8ELi8ELb0EddPKPKdPKPdEv13rocblas_fill_18rocblas_operation_17rocblas_diagonal_iiT3_T4_lilT5_lili
	.p2align	8
	.type	_ZL30rocblas_trsm_small_left_deviceILi8ELi8ELb0EddPKPKdPKPdEv13rocblas_fill_18rocblas_operation_17rocblas_diagonal_iiT3_T4_lilT5_lili,@function
_ZL30rocblas_trsm_small_left_deviceILi8ELi8ELb0EddPKPKdPKPdEv13rocblas_fill_18rocblas_operation_17rocblas_diagonal_iiT3_T4_lilT5_lili: ; @_ZL30rocblas_trsm_small_left_deviceILi8ELi8ELb0EddPKPKdPKPdEv13rocblas_fill_18rocblas_operation_17rocblas_diagonal_iiT3_T4_lilT5_lili
; %bb.0:
	s_load_b32 s33, s[0:1], 0x60
	s_lshr_b32 s2, ttmp7, 16
	s_wait_kmcnt 0x0
	s_cmp_ge_u32 s2, s33
	s_cbranch_scc1 .LBB73_53
; %bb.1:
	s_clause 0x5
	s_load_b96 s[16:18], s[0:1], 0x28
	s_load_b128 s[12:15], s[0:1], 0x4
	s_load_b32 s3, s[0:1], 0x68
	s_load_b32 s20, s[0:1], 0x50
	s_load_b128 s[4:7], s[0:1], 0x18
	s_load_b128 s[8:11], s[0:1], 0x40
	s_lshl_b32 s0, ttmp9, 3
	v_dual_mov_b32 v1, 0 :: v_dual_lshlrev_b32 v42, 3, v0
	v_or_b32_e32 v2, s0, v0
	v_lshlrev_b32_e32 v17, 6, v0
	s_mov_b32 s41, 0
	s_delay_alu instid0(VALU_DEP_3)
	v_dual_mov_b32 v15, v1 :: v_dual_mov_b32 v16, v1
	v_dual_mov_b32 v5, v1 :: v_dual_mov_b32 v6, v1
	;; [unrolled: 1-line block ×4, first 2 shown]
	s_wait_kmcnt 0x0
	s_min_i32 s36, s14, 8
	s_add_co_i32 s3, s3, -1
	v_mad_co_i64_i32 v[2:3], null, s20, v2, 0
	s_ashr_i32 s19, s18, 31
	s_sub_co_i32 s0, s15, s0
	s_add_co_i32 s37, s36, -1
	s_wait_alu 0xfffe
	s_cmp_ge_u32 ttmp9, s3
	v_dual_mov_b32 v11, v1 :: v_dual_mov_b32 v12, v1
	s_cselect_b32 s1, s0, 8
	s_cmp_lg_u32 s13, 0x84
	v_lshlrev_b64_e32 v[34:35], 3, v[2:3]
	s_cselect_b32 s38, -1, 0
	s_cmp_lg_u32 s12, 0x6f
	v_mov_b32_e32 v2, v1
	s_cselect_b32 s39, -1, 0
	s_lshl_b64 s[10:11], s[10:11], 3
	v_dual_mov_b32 v3, v1 :: v_dual_mov_b32 v4, v1
	v_dual_mov_b32 v13, v1 :: v_dual_mov_b32 v14, v1
	v_add_co_u32 v43, vcc_lo, v34, s10
	v_cmp_gt_i32_e64 s0, s36, v0
	s_wait_alu 0xfffe
	v_cmp_gt_i32_e64 s1, s1, v0
	v_lshlrev_b32_e32 v0, 3, v0
	v_add_nc_u32_e32 v45, v42, v17
	v_mov_b32_e32 v17, v16
	v_add_co_ci_u32_e64 v44, null, s11, v35, vcc_lo
	v_mov_b32_e32 v16, v15
	v_mov_b32_e32 v15, v14
	;; [unrolled: 1-line block ×15, first 2 shown]
	s_lshl_b32 s3, s36, 6
	s_lshl_b64 s[12:13], s[18:19], 3
	s_sub_co_i32 s40, s3, 64
	s_mov_b32 s15, 0
	s_lshl_b64 s[16:17], s[16:17], 3
	s_branch .LBB73_5
.LBB73_2:                               ;   in Loop: Header=BB73_5 Depth=1
	v_dual_mov_b32 v33, v17 :: v_dual_mov_b32 v32, v16
	v_dual_mov_b32 v31, v15 :: v_dual_mov_b32 v30, v14
	;; [unrolled: 1-line block ×8, first 2 shown]
.LBB73_3:                               ;   in Loop: Header=BB73_5 Depth=1
	s_add_co_i32 s2, s2, 0x10000
	s_delay_alu instid0(SALU_CYCLE_1) | instskip(SKIP_1) | instid1(SALU_CYCLE_1)
	s_cmp_ge_u32 s2, s33
	s_cselect_b32 s14, -1, 0
	s_or_not1_b32 s14, s14, exec_lo
.LBB73_4:                               ;   in Loop: Header=BB73_5 Depth=1
	s_or_b32 exec_lo, exec_lo, s3
	v_dual_mov_b32 v2, v18 :: v_dual_mov_b32 v3, v19
	v_dual_mov_b32 v4, v20 :: v_dual_mov_b32 v5, v21
	v_dual_mov_b32 v6, v22 :: v_dual_mov_b32 v7, v23
	v_dual_mov_b32 v8, v24 :: v_dual_mov_b32 v9, v25
	v_dual_mov_b32 v10, v26 :: v_dual_mov_b32 v11, v27
	v_dual_mov_b32 v12, v28 :: v_dual_mov_b32 v13, v29
	v_dual_mov_b32 v14, v30 :: v_dual_mov_b32 v15, v31
	v_dual_mov_b32 v16, v32 :: v_dual_mov_b32 v17, v33
	s_and_b32 s3, exec_lo, s14
	s_delay_alu instid0(SALU_CYCLE_1) | instskip(NEXT) | instid1(SALU_CYCLE_1)
	s_or_b32 s41, s3, s41
	s_and_not1_b32 exec_lo, exec_lo, s41
	s_cbranch_execz .LBB73_53
.LBB73_5:                               ; =>This Loop Header: Depth=1
                                        ;     Child Loop BB73_7 Depth 2
                                        ;     Child Loop BB73_14 Depth 2
                                        ;       Child Loop BB73_17 Depth 3
                                        ;         Child Loop BB73_18 Depth 4
                                        ;         Child Loop BB73_21 Depth 4
                                        ;           Child Loop BB73_22 Depth 5
                                        ;         Child Loop BB73_27 Depth 4
                                        ;           Child Loop BB73_29 Depth 5
                                        ;     Child Loop BB73_35 Depth 2
                                        ;       Child Loop BB73_38 Depth 3
                                        ;         Child Loop BB73_39 Depth 4
                                        ;         Child Loop BB73_41 Depth 4
                                        ;           Child Loop BB73_42 Depth 5
                                        ;         Child Loop BB73_47 Depth 4
                                        ;           Child Loop BB73_49 Depth 5
	s_mov_b32 s3, s15
	s_delay_alu instid0(SALU_CYCLE_1) | instskip(NEXT) | instid1(SALU_CYCLE_1)
	s_lshl_b64 s[18:19], s[2:3], 3
	s_add_nc_u64 s[20:21], s[8:9], s[18:19]
	global_load_b64 v[36:37], v1, s[20:21]
	s_and_saveexec_b32 s3, s0
	s_cbranch_execz .LBB73_11
; %bb.6:                                ;   in Loop: Header=BB73_5 Depth=1
	s_add_nc_u64 s[18:19], s[6:7], s[18:19]
	v_mov_b32_e32 v20, v42
	global_load_b64 v[18:19], v1, s[18:19]
	s_mov_b32 s14, s36
	s_wait_loadcnt 0x0
	v_add_co_u32 v18, vcc_lo, v18, s16
	s_wait_alu 0xfffd
	v_add_co_ci_u32_e64 v19, null, s17, v19, vcc_lo
	s_delay_alu instid0(VALU_DEP_2) | instskip(SKIP_1) | instid1(VALU_DEP_2)
	v_add_co_u32 v18, vcc_lo, v18, v0
	s_wait_alu 0xfffd
	v_add_co_ci_u32_e64 v19, null, 0, v19, vcc_lo
.LBB73_7:                               ;   Parent Loop BB73_5 Depth=1
                                        ; =>  This Inner Loop Header: Depth=2
	flat_load_b64 v[21:22], v[18:19]
	v_add_co_u32 v18, vcc_lo, v18, s12
	s_wait_alu 0xfffd
	v_add_co_ci_u32_e64 v19, null, s13, v19, vcc_lo
	s_add_co_i32 s14, s14, -1
	s_delay_alu instid0(SALU_CYCLE_1)
	s_cmp_eq_u32 s14, 0
	s_wait_loadcnt_dscnt 0x0
	ds_store_b64 v20, v[21:22]
	v_add_nc_u32_e32 v20, 64, v20
	s_cbranch_scc0 .LBB73_7
; %bb.8:                                ;   in Loop: Header=BB73_5 Depth=1
	v_mov_b32_e32 v18, 0
	v_mov_b32_e32 v19, 0x3ff00000
	s_and_b32 vcc_lo, exec_lo, s38
	s_wait_alu 0xfffe
	s_cbranch_vccz .LBB73_10
; %bb.9:                                ;   in Loop: Header=BB73_5 Depth=1
	ds_load_b64 v[18:19], v45
	s_wait_dscnt 0x0
	v_div_scale_f64 v[20:21], null, v[18:19], v[18:19], 1.0
	s_delay_alu instid0(VALU_DEP_1) | instskip(NEXT) | instid1(TRANS32_DEP_1)
	v_rcp_f64_e32 v[22:23], v[20:21]
	v_fma_f64 v[24:25], -v[20:21], v[22:23], 1.0
	s_delay_alu instid0(VALU_DEP_1) | instskip(NEXT) | instid1(VALU_DEP_1)
	v_fma_f64 v[22:23], v[22:23], v[24:25], v[22:23]
	v_fma_f64 v[24:25], -v[20:21], v[22:23], 1.0
	s_delay_alu instid0(VALU_DEP_1) | instskip(SKIP_1) | instid1(VALU_DEP_1)
	v_fma_f64 v[22:23], v[22:23], v[24:25], v[22:23]
	v_div_scale_f64 v[24:25], vcc_lo, 1.0, v[18:19], 1.0
	v_mul_f64_e32 v[26:27], v[24:25], v[22:23]
	s_delay_alu instid0(VALU_DEP_1) | instskip(SKIP_1) | instid1(VALU_DEP_1)
	v_fma_f64 v[20:21], -v[20:21], v[26:27], v[24:25]
	s_wait_alu 0xfffd
	v_div_fmas_f64 v[20:21], v[20:21], v[22:23], v[26:27]
	s_delay_alu instid0(VALU_DEP_1)
	v_div_fixup_f64 v[18:19], v[20:21], v[18:19], 1.0
.LBB73_10:                              ;   in Loop: Header=BB73_5 Depth=1
	ds_store_b64 v45, v[18:19]
.LBB73_11:                              ;   in Loop: Header=BB73_5 Depth=1
	s_or_b32 exec_lo, exec_lo, s3
	s_mov_b32 s14, -1
	; wave barrier
	s_wait_loadcnt_dscnt 0x0
	global_inv scope:SCOPE_SE
                                        ; implicit-def: $vgpr18_vgpr19_vgpr20_vgpr21_vgpr22_vgpr23_vgpr24_vgpr25_vgpr26_vgpr27_vgpr28_vgpr29_vgpr30_vgpr31_vgpr32_vgpr33
	s_and_saveexec_b32 s3, s1
	s_cbranch_execz .LBB73_4
; %bb.12:                               ;   in Loop: Header=BB73_5 Depth=1
	v_add_co_u32 v18, vcc_lo, v36, s10
	s_wait_alu 0xfffd
	v_add_co_ci_u32_e64 v19, null, s11, v37, vcc_lo
	s_delay_alu instid0(VALU_DEP_2) | instskip(SKIP_1) | instid1(VALU_DEP_2)
	v_add_co_u32 v46, vcc_lo, v18, v34
	s_wait_alu 0xfffd
	v_add_co_ci_u32_e64 v47, null, v19, v35, vcc_lo
	s_and_not1_b32 vcc_lo, exec_lo, s39
                                        ; implicit-def: $vgpr18_vgpr19_vgpr20_vgpr21_vgpr22_vgpr23_vgpr24_vgpr25_vgpr26_vgpr27_vgpr28_vgpr29_vgpr30_vgpr31_vgpr32_vgpr33
	s_wait_alu 0xfffe
	s_cbranch_vccnz .LBB73_33
; %bb.13:                               ;   in Loop: Header=BB73_5 Depth=1
	v_add_co_u32 v48, vcc_lo, v36, v43
	v_dual_mov_b32 v33, v17 :: v_dual_mov_b32 v32, v16
	v_dual_mov_b32 v31, v15 :: v_dual_mov_b32 v30, v14
	;; [unrolled: 1-line block ×8, first 2 shown]
	s_wait_alu 0xfffd
	v_add_co_ci_u32_e64 v49, null, v37, v44, vcc_lo
	s_mov_b32 s20, 0
	s_mov_b32 s18, 0
.LBB73_14:                              ;   Parent Loop BB73_5 Depth=1
                                        ; =>  This Loop Header: Depth=2
                                        ;       Child Loop BB73_17 Depth 3
                                        ;         Child Loop BB73_18 Depth 4
                                        ;         Child Loop BB73_21 Depth 4
                                        ;           Child Loop BB73_22 Depth 5
                                        ;         Child Loop BB73_27 Depth 4
                                        ;           Child Loop BB73_29 Depth 5
	s_mov_b32 s21, s15
	s_getpc_b64 s[22:23]
	s_wait_alu 0xfffe
	s_sext_i32_i16 s23, s23
	s_add_co_u32 s22, s22, __const._ZL30rocblas_trsm_small_left_deviceILi8ELi8ELb0EddPKPKdPKPdEv13rocblas_fill_18rocblas_operation_17rocblas_diagonal_iiT3_T4_lilT5_lili.step_sizes@rel32@lo+12
	s_wait_alu 0xfffe
	s_add_co_ci_u32 s23, s23, __const._ZL30rocblas_trsm_small_left_deviceILi8ELi8ELb0EddPKPKdPKPdEv13rocblas_fill_18rocblas_operation_17rocblas_diagonal_iiT3_T4_lilT5_lili.step_sizes@rel32@hi+24
	s_lshl_b64 s[24:25], s[20:21], 2
	s_wait_alu 0xfffe
	s_add_nc_u64 s[22:23], s[22:23], s[24:25]
	s_load_b32 s22, s[22:23], 0x0
	s_wait_kmcnt 0x0
	s_add_co_i32 s21, s22, -1
	s_wait_alu 0xfffe
	s_add_co_i32 s14, s21, s18
	s_delay_alu instid0(SALU_CYCLE_1)
	s_cmp_ge_i32 s14, s36
	s_cbranch_scc1 .LBB73_30
; %bb.15:                               ;   in Loop: Header=BB73_14 Depth=2
	s_ashr_i32 s19, s18, 31
	s_ashr_i32 s23, s22, 31
	s_lshl_b64 s[24:25], s[18:19], 3
	s_max_i32 s42, s22, 1
	s_wait_alu 0xfffe
	v_add_co_u32 v38, vcc_lo, v48, s24
	s_wait_alu 0xfffd
	v_add_co_ci_u32_e64 v39, null, s25, v49, vcc_lo
	s_lshl_b64 s[24:25], s[22:23], 3
	s_lshl_b32 s19, s18, 6
	s_lshl_b32 s23, s22, 6
	s_mul_i32 s43, s18, 0x48
	s_mul_i32 s44, s22, 0x48
	s_branch .LBB73_17
.LBB73_16:                              ;   in Loop: Header=BB73_17 Depth=3
	v_add_co_u32 v38, vcc_lo, v38, s24
	s_add_co_i32 s18, s18, s22
	s_wait_alu 0xfffd
	v_add_co_ci_u32_e64 v39, null, s25, v39, vcc_lo
	s_add_co_i32 s14, s21, s18
	s_add_co_i32 s19, s19, s23
	;; [unrolled: 1-line block ×3, first 2 shown]
	s_cmp_ge_i32 s14, s36
	s_cbranch_scc1 .LBB73_30
.LBB73_17:                              ;   Parent Loop BB73_5 Depth=1
                                        ;     Parent Loop BB73_14 Depth=2
                                        ; =>    This Loop Header: Depth=3
                                        ;         Child Loop BB73_18 Depth 4
                                        ;         Child Loop BB73_21 Depth 4
                                        ;           Child Loop BB73_22 Depth 5
                                        ;         Child Loop BB73_27 Depth 4
                                        ;           Child Loop BB73_29 Depth 5
	v_dual_mov_b32 v41, v39 :: v_dual_mov_b32 v40, v38
	s_mov_b64 s[26:27], 0
.LBB73_18:                              ;   Parent Loop BB73_5 Depth=1
                                        ;     Parent Loop BB73_14 Depth=2
                                        ;       Parent Loop BB73_17 Depth=3
                                        ; =>      This Inner Loop Header: Depth=4
	flat_load_b64 v[50:51], v[40:41]
	v_add_co_u32 v40, vcc_lo, v40, 8
	s_wait_alu 0xfffd
	v_add_co_ci_u32_e64 v41, null, 0, v41, vcc_lo
	s_wait_alu 0xfffe
	s_lshl_b32 m0, s26, 1
	s_add_nc_u64 s[26:27], s[26:27], 1
	s_wait_alu 0xfffe
	s_cmp_eq_u32 s42, s26
	s_wait_loadcnt_dscnt 0x0
	v_mul_f64_e32 v[50:51], s[4:5], v[50:51]
	s_delay_alu instid0(VALU_DEP_1) | instskip(NEXT) | instid1(VALU_DEP_2)
	v_movreld_b32_e32 v18, v50
	v_movreld_b32_e32 v19, v51
	s_cbranch_scc0 .LBB73_18
; %bb.19:                               ;   in Loop: Header=BB73_17 Depth=3
	s_cmp_lt_i32 s18, 1
	s_cbranch_scc1 .LBB73_24
; %bb.20:                               ;   in Loop: Header=BB73_17 Depth=3
	s_mov_b32 s14, 0
	s_mov_b32 s28, s19
.LBB73_21:                              ;   Parent Loop BB73_5 Depth=1
                                        ;     Parent Loop BB73_14 Depth=2
                                        ;       Parent Loop BB73_17 Depth=3
                                        ; =>      This Loop Header: Depth=4
                                        ;           Child Loop BB73_22 Depth 5
	s_lshl_b64 s[26:27], s[14:15], 3
	s_wait_alu 0xfffe
	s_mov_b32 s29, s28
	v_add_co_u32 v40, vcc_lo, v46, s26
	s_wait_alu 0xfffd
	v_add_co_ci_u32_e64 v41, null, s27, v47, vcc_lo
	s_mov_b64 s[26:27], 0
	flat_load_b64 v[40:41], v[40:41]
.LBB73_22:                              ;   Parent Loop BB73_5 Depth=1
                                        ;     Parent Loop BB73_14 Depth=2
                                        ;       Parent Loop BB73_17 Depth=3
                                        ;         Parent Loop BB73_21 Depth=4
                                        ; =>        This Inner Loop Header: Depth=5
	s_wait_alu 0xfffe
	v_mov_b32_e32 v50, s29
	s_lshl_b32 m0, s26, 1
	s_add_nc_u64 s[26:27], s[26:27], 1
	v_movrels_b32_e32 v53, v19
	v_movrels_b32_e32 v52, v18
	ds_load_b64 v[50:51], v50
	s_add_co_i32 s29, s29, 64
	s_wait_alu 0xfffe
	s_cmp_eq_u32 s42, s26
	s_wait_loadcnt_dscnt 0x0
	v_fma_f64 v[50:51], -v[40:41], v[50:51], v[52:53]
	s_delay_alu instid0(VALU_DEP_1) | instskip(NEXT) | instid1(VALU_DEP_2)
	v_movreld_b32_e32 v18, v50
	v_movreld_b32_e32 v19, v51
	s_cbranch_scc0 .LBB73_22
; %bb.23:                               ;   in Loop: Header=BB73_21 Depth=4
	s_add_co_i32 s14, s14, 1
	s_add_co_i32 s28, s28, 8
	s_cmp_eq_u32 s14, s18
	s_cbranch_scc0 .LBB73_21
.LBB73_24:                              ;   in Loop: Header=BB73_17 Depth=3
	s_mov_b64 s[26:27], 0
	s_mov_b32 s14, s43
	s_branch .LBB73_27
.LBB73_25:                              ;   in Loop: Header=BB73_27 Depth=4
	s_mov_b32 s28, s18
	s_mov_b64 s[30:31], 0
.LBB73_26:                              ;   in Loop: Header=BB73_27 Depth=4
	s_wait_alu 0xfffe
	s_mul_i32 s29, s28, 0x48
	s_lshl_b32 m0, s30, 1
	s_wait_alu 0xfffe
	v_mov_b32_e32 v40, s29
	v_movrels_b32_e32 v51, v19
	v_movrels_b32_e32 v50, v18
	s_ashr_i32 s29, s28, 31
	s_add_nc_u64 s[26:27], s[26:27], 1
	ds_load_b64 v[40:41], v40
	s_wait_alu 0xfffe
	s_lshl_b64 s[28:29], s[28:29], 3
	s_add_co_i32 s14, s14, 64
	s_cmp_eq_u32 s26, s42
	s_wait_dscnt 0x0
	v_mul_f64_e32 v[40:41], v[50:51], v[40:41]
	s_wait_alu 0xfffe
	v_add_co_u32 v50, vcc_lo, v46, s28
	s_wait_alu 0xfffd
	v_add_co_ci_u32_e64 v51, null, s29, v47, vcc_lo
	s_delay_alu instid0(VALU_DEP_3) | instskip(NEXT) | instid1(VALU_DEP_4)
	v_movreld_b32_e32 v18, v40
	v_movreld_b32_e32 v19, v41
	flat_store_b64 v[50:51], v[40:41]
	s_cbranch_scc1 .LBB73_16
.LBB73_27:                              ;   Parent Loop BB73_5 Depth=1
                                        ;     Parent Loop BB73_14 Depth=2
                                        ;       Parent Loop BB73_17 Depth=3
                                        ; =>      This Loop Header: Depth=4
                                        ;           Child Loop BB73_29 Depth 5
	s_wait_alu 0xfffe
	s_cmp_eq_u32 s26, 0
	s_cbranch_scc1 .LBB73_25
; %bb.28:                               ;   in Loop: Header=BB73_27 Depth=4
	s_mov_b64 s[30:31], s[26:27]
	s_add_co_i32 s28, s26, s18
	s_mov_b64 s[34:35], 0
	s_lshl_b32 s29, s26, 1
	s_mov_b32 s31, s14
.LBB73_29:                              ;   Parent Loop BB73_5 Depth=1
                                        ;     Parent Loop BB73_14 Depth=2
                                        ;       Parent Loop BB73_17 Depth=3
                                        ;         Parent Loop BB73_27 Depth=4
                                        ; =>        This Inner Loop Header: Depth=5
	s_wait_alu 0xfffe
	v_mov_b32_e32 v40, s31
	s_lshl_b32 m0, s34, 1
	s_add_nc_u64 s[34:35], s[34:35], 1
	v_movrels_b32_e32 v51, v19
	v_movrels_b32_e32 v50, v18
	ds_load_b64 v[40:41], v40
	s_mov_b32 m0, s29
	s_add_co_i32 s31, s31, 8
	v_movrels_b32_e32 v53, v19
	v_movrels_b32_e32 v52, v18
	s_cmp_eq_u32 s26, s34
	s_wait_dscnt 0x0
	s_delay_alu instid0(VALU_DEP_1) | instskip(NEXT) | instid1(VALU_DEP_1)
	v_fma_f64 v[40:41], -v[50:51], v[40:41], v[52:53]
	v_movreld_b32_e32 v18, v40
	s_delay_alu instid0(VALU_DEP_2)
	v_movreld_b32_e32 v19, v41
	s_cbranch_scc0 .LBB73_29
	s_branch .LBB73_26
.LBB73_30:                              ;   in Loop: Header=BB73_14 Depth=2
	s_cmp_lt_i32 s18, s36
	s_cselect_b32 s19, -1, 0
	s_add_co_i32 s14, s20, 1
	s_cmp_lt_u32 s20, 2
	s_cselect_b32 s20, -1, 0
	s_wait_alu 0xfffe
	s_and_b32 s19, s19, s20
	s_delay_alu instid0(SALU_CYCLE_1)
	s_and_b32 vcc_lo, exec_lo, s19
	s_wait_alu 0xfffe
	s_cbranch_vccz .LBB73_32
; %bb.31:                               ;   in Loop: Header=BB73_14 Depth=2
	s_mov_b32 s20, s14
	s_branch .LBB73_14
.LBB73_32:                              ;   in Loop: Header=BB73_5 Depth=1
	s_mov_b32 s14, 0
.LBB73_33:                              ;   in Loop: Header=BB73_5 Depth=1
	s_delay_alu instid0(SALU_CYCLE_1)
	s_and_b32 vcc_lo, exec_lo, s14
	s_wait_alu 0xfffe
	s_cbranch_vccz .LBB73_3
; %bb.34:                               ;   in Loop: Header=BB73_5 Depth=1
	v_add_co_u32 v20, vcc_lo, v36, v43
	s_wait_alu 0xfffd
	v_add_co_ci_u32_e64 v21, null, v37, v44, vcc_lo
	s_mov_b32 s14, 0
	s_mov_b32 s18, s37
.LBB73_35:                              ;   Parent Loop BB73_5 Depth=1
                                        ; =>  This Loop Header: Depth=2
                                        ;       Child Loop BB73_38 Depth 3
                                        ;         Child Loop BB73_39 Depth 4
                                        ;         Child Loop BB73_41 Depth 4
                                        ;           Child Loop BB73_42 Depth 5
                                        ;         Child Loop BB73_47 Depth 4
                                        ;           Child Loop BB73_49 Depth 5
	s_getpc_b64 s[20:21]
	s_wait_alu 0xfffe
	s_sext_i32_i16 s21, s21
	s_add_co_u32 s20, s20, __const._ZL30rocblas_trsm_small_left_deviceILi8ELi8ELb0EddPKPKdPKPdEv13rocblas_fill_18rocblas_operation_17rocblas_diagonal_iiT3_T4_lilT5_lili.step_sizes@rel32@lo+12
	s_wait_alu 0xfffe
	s_add_co_ci_u32 s21, s21, __const._ZL30rocblas_trsm_small_left_deviceILi8ELi8ELb0EddPKPKdPKPdEv13rocblas_fill_18rocblas_operation_17rocblas_diagonal_iiT3_T4_lilT5_lili.step_sizes@rel32@hi+24
	s_lshl_b64 s[22:23], s[14:15], 2
	s_wait_alu 0xfffe
	s_add_nc_u64 s[20:21], s[20:21], s[22:23]
	s_load_b32 s28, s[20:21], 0x0
	s_wait_kmcnt 0x0
	s_add_co_i32 s29, s28, -1
	s_wait_alu 0xfffe
	s_cmp_lt_i32 s18, s29
	s_cbranch_scc1 .LBB73_51
; %bb.36:                               ;   in Loop: Header=BB73_35 Depth=2
	s_lshl_b32 s19, s18, 3
	s_lshl_b32 s20, s28, 3
	s_max_i32 s30, s28, 1
	s_add_co_i32 s31, s40, s19
	s_wait_alu 0xfffe
	s_sub_co_i32 s34, 0, s20
	s_mul_i32 s35, s18, 0x48
	s_mul_i32 s42, s28, 0xffffffb8
	s_branch .LBB73_38
.LBB73_37:                              ;   in Loop: Header=BB73_38 Depth=3
	s_sub_co_i32 s18, s18, s28
	s_add_co_i32 s31, s31, s34
	s_add_co_i32 s35, s35, s42
	s_cmp_lt_i32 s18, s29
	s_cbranch_scc1 .LBB73_51
.LBB73_38:                              ;   Parent Loop BB73_5 Depth=1
                                        ;     Parent Loop BB73_35 Depth=2
                                        ; =>    This Loop Header: Depth=3
                                        ;         Child Loop BB73_39 Depth 4
                                        ;         Child Loop BB73_41 Depth 4
                                        ;           Child Loop BB73_42 Depth 5
                                        ;         Child Loop BB73_47 Depth 4
                                        ;           Child Loop BB73_49 Depth 5
	s_ashr_i32 s19, s18, 31
	s_delay_alu instid0(SALU_CYCLE_1)
	s_lshl_b64 s[20:21], s[18:19], 3
	s_wait_alu 0xfffe
	v_add_co_u32 v18, vcc_lo, v20, s20
	s_wait_alu 0xfffd
	v_add_co_ci_u32_e64 v19, null, s21, v21, vcc_lo
	s_mov_b64 s[20:21], 0
.LBB73_39:                              ;   Parent Loop BB73_5 Depth=1
                                        ;     Parent Loop BB73_35 Depth=2
                                        ;       Parent Loop BB73_38 Depth=3
                                        ; =>      This Inner Loop Header: Depth=4
	flat_load_b64 v[22:23], v[18:19]
	v_add_co_u32 v18, vcc_lo, v18, -8
	s_wait_alu 0xfffd
	v_add_co_ci_u32_e64 v19, null, -1, v19, vcc_lo
	s_wait_alu 0xfffe
	s_lshl_b32 m0, s20, 1
	s_add_nc_u64 s[20:21], s[20:21], 1
	s_wait_alu 0xfffe
	s_cmp_eq_u32 s30, s20
	s_wait_loadcnt_dscnt 0x0
	v_mul_f64_e32 v[22:23], s[4:5], v[22:23]
	s_delay_alu instid0(VALU_DEP_1) | instskip(NEXT) | instid1(VALU_DEP_2)
	v_movreld_b32_e32 v2, v22
	v_movreld_b32_e32 v3, v23
	s_cbranch_scc0 .LBB73_39
; %bb.40:                               ;   in Loop: Header=BB73_38 Depth=3
	s_cmp_le_i32 s37, s18
	s_mov_b32 s24, s31
	s_mov_b32 s20, s37
	s_cbranch_scc1 .LBB73_44
.LBB73_41:                              ;   Parent Loop BB73_5 Depth=1
                                        ;     Parent Loop BB73_35 Depth=2
                                        ;       Parent Loop BB73_38 Depth=3
                                        ; =>      This Loop Header: Depth=4
                                        ;           Child Loop BB73_42 Depth 5
	s_wait_alu 0xfffe
	s_ashr_i32 s21, s20, 31
	s_wait_alu 0xfffe
	s_lshl_b64 s[22:23], s[20:21], 3
	s_mov_b32 s21, s24
	s_wait_alu 0xfffe
	v_add_co_u32 v18, vcc_lo, v46, s22
	s_wait_alu 0xfffd
	v_add_co_ci_u32_e64 v19, null, s23, v47, vcc_lo
	s_mov_b64 s[22:23], 0
	flat_load_b64 v[18:19], v[18:19]
.LBB73_42:                              ;   Parent Loop BB73_5 Depth=1
                                        ;     Parent Loop BB73_35 Depth=2
                                        ;       Parent Loop BB73_38 Depth=3
                                        ;         Parent Loop BB73_41 Depth=4
                                        ; =>        This Inner Loop Header: Depth=5
	s_wait_alu 0xfffe
	v_mov_b32_e32 v22, s21
	s_lshl_b32 m0, s22, 1
	s_add_nc_u64 s[22:23], s[22:23], 1
	v_movrels_b32_e32 v25, v3
	v_movrels_b32_e32 v24, v2
	ds_load_b64 v[22:23], v22
	s_add_co_i32 s21, s21, -8
	s_wait_alu 0xfffe
	s_cmp_eq_u32 s30, s22
	s_wait_loadcnt_dscnt 0x0
	v_fma_f64 v[22:23], -v[18:19], v[22:23], v[24:25]
	s_delay_alu instid0(VALU_DEP_1) | instskip(NEXT) | instid1(VALU_DEP_2)
	v_movreld_b32_e32 v2, v22
	v_movreld_b32_e32 v3, v23
	s_cbranch_scc0 .LBB73_42
; %bb.43:                               ;   in Loop: Header=BB73_41 Depth=4
	s_add_co_i32 s20, s20, -1
	s_sub_co_i32 s24, s24, 64
	s_wait_alu 0xfffe
	s_cmp_le_i32 s20, s18
	s_cbranch_scc0 .LBB73_41
.LBB73_44:                              ;   in Loop: Header=BB73_38 Depth=3
	s_mov_b64 s[20:21], 0
	s_mov_b32 s43, s35
	s_branch .LBB73_47
.LBB73_45:                              ;   in Loop: Header=BB73_47 Depth=4
	s_mov_b32 s26, s18
	s_mov_b64 s[22:23], 0
	s_mov_b64 s[24:25], s[18:19]
.LBB73_46:                              ;   in Loop: Header=BB73_47 Depth=4
	s_wait_alu 0xfffe
	s_mul_i32 s23, s26, 0x48
	s_lshl_b32 m0, s22, 1
	s_wait_alu 0xfffe
	v_mov_b32_e32 v18, s23
	v_movrels_b32_e32 v23, v3
	v_movrels_b32_e32 v22, v2
	s_lshl_b64 s[22:23], s[24:25], 3
	s_add_nc_u64 s[20:21], s[20:21], 1
	ds_load_b64 v[18:19], v18
	s_add_co_i32 s43, s43, -8
	s_wait_alu 0xfffe
	s_cmp_eq_u32 s20, s30
	s_wait_dscnt 0x0
	v_mul_f64_e32 v[18:19], v[22:23], v[18:19]
	v_add_co_u32 v22, vcc_lo, v46, s22
	s_wait_alu 0xfffd
	v_add_co_ci_u32_e64 v23, null, s23, v47, vcc_lo
	s_delay_alu instid0(VALU_DEP_3) | instskip(NEXT) | instid1(VALU_DEP_4)
	v_movreld_b32_e32 v2, v18
	v_movreld_b32_e32 v3, v19
	flat_store_b64 v[22:23], v[18:19]
	s_cbranch_scc1 .LBB73_37
.LBB73_47:                              ;   Parent Loop BB73_5 Depth=1
                                        ;     Parent Loop BB73_35 Depth=2
                                        ;       Parent Loop BB73_38 Depth=3
                                        ; =>      This Loop Header: Depth=4
                                        ;           Child Loop BB73_49 Depth 5
	s_wait_alu 0xfffe
	s_cmp_eq_u32 s20, 0
	s_cbranch_scc1 .LBB73_45
; %bb.48:                               ;   in Loop: Header=BB73_47 Depth=4
	s_mov_b64 s[22:23], s[20:21]
	s_mov_b64 s[24:25], 0
	s_lshl_b32 s23, s20, 1
	s_mov_b32 s26, s43
.LBB73_49:                              ;   Parent Loop BB73_5 Depth=1
                                        ;     Parent Loop BB73_35 Depth=2
                                        ;       Parent Loop BB73_38 Depth=3
                                        ;         Parent Loop BB73_47 Depth=4
                                        ; =>        This Inner Loop Header: Depth=5
	s_wait_alu 0xfffe
	v_mov_b32_e32 v18, s26
	s_lshl_b32 m0, s24, 1
	s_add_nc_u64 s[24:25], s[24:25], 1
	v_movrels_b32_e32 v23, v3
	v_movrels_b32_e32 v22, v2
	ds_load_b64 v[18:19], v18
	s_mov_b32 m0, s23
	s_sub_co_i32 s26, s26, 64
	v_movrels_b32_e32 v25, v3
	v_movrels_b32_e32 v24, v2
	s_wait_alu 0xfffe
	s_cmp_eq_u32 s20, s24
	s_wait_dscnt 0x0
	s_delay_alu instid0(VALU_DEP_1) | instskip(NEXT) | instid1(VALU_DEP_1)
	v_fma_f64 v[18:19], -v[22:23], v[18:19], v[24:25]
	v_movreld_b32_e32 v2, v18
	s_delay_alu instid0(VALU_DEP_2)
	v_movreld_b32_e32 v3, v19
	s_cbranch_scc0 .LBB73_49
; %bb.50:                               ;   in Loop: Header=BB73_47 Depth=4
	s_sub_co_i32 s26, s18, s20
	s_wait_alu 0xfffe
	s_ashr_i32 s27, s26, 31
	s_wait_alu 0xfffe
	s_mov_b64 s[24:25], s[26:27]
	s_branch .LBB73_46
.LBB73_51:                              ;   in Loop: Header=BB73_35 Depth=2
	s_cmp_gt_i32 s18, -1
	s_cselect_b32 s20, -1, 0
	s_add_co_i32 s19, s14, 1
	s_cmp_lt_u32 s14, 2
	s_cselect_b32 s14, -1, 0
	s_wait_alu 0xfffe
	s_and_b32 s14, s20, s14
	s_delay_alu instid0(SALU_CYCLE_1)
	s_and_not1_b32 vcc_lo, exec_lo, s14
	s_wait_alu 0xfffe
	s_cbranch_vccnz .LBB73_2
; %bb.52:                               ;   in Loop: Header=BB73_35 Depth=2
	s_mov_b32 s14, s19
	s_branch .LBB73_35
.LBB73_53:
	s_endpgm
	.section	.rodata,"a",@progbits
	.p2align	6, 0x0
	.amdhsa_kernel _ZL30rocblas_trsm_small_left_deviceILi8ELi8ELb0EddPKPKdPKPdEv13rocblas_fill_18rocblas_operation_17rocblas_diagonal_iiT3_T4_lilT5_lili
		.amdhsa_group_segment_fixed_size 512
		.amdhsa_private_segment_fixed_size 0
		.amdhsa_kernarg_size 360
		.amdhsa_user_sgpr_count 2
		.amdhsa_user_sgpr_dispatch_ptr 0
		.amdhsa_user_sgpr_queue_ptr 0
		.amdhsa_user_sgpr_kernarg_segment_ptr 1
		.amdhsa_user_sgpr_dispatch_id 0
		.amdhsa_user_sgpr_private_segment_size 0
		.amdhsa_wavefront_size32 1
		.amdhsa_uses_dynamic_stack 0
		.amdhsa_enable_private_segment 0
		.amdhsa_system_sgpr_workgroup_id_x 1
		.amdhsa_system_sgpr_workgroup_id_y 0
		.amdhsa_system_sgpr_workgroup_id_z 1
		.amdhsa_system_sgpr_workgroup_info 0
		.amdhsa_system_vgpr_workitem_id 0
		.amdhsa_next_free_vgpr 54
		.amdhsa_next_free_sgpr 45
		.amdhsa_reserve_vcc 1
		.amdhsa_float_round_mode_32 0
		.amdhsa_float_round_mode_16_64 0
		.amdhsa_float_denorm_mode_32 3
		.amdhsa_float_denorm_mode_16_64 3
		.amdhsa_fp16_overflow 0
		.amdhsa_workgroup_processor_mode 1
		.amdhsa_memory_ordered 1
		.amdhsa_forward_progress 1
		.amdhsa_inst_pref_size 21
		.amdhsa_round_robin_scheduling 0
		.amdhsa_exception_fp_ieee_invalid_op 0
		.amdhsa_exception_fp_denorm_src 0
		.amdhsa_exception_fp_ieee_div_zero 0
		.amdhsa_exception_fp_ieee_overflow 0
		.amdhsa_exception_fp_ieee_underflow 0
		.amdhsa_exception_fp_ieee_inexact 0
		.amdhsa_exception_int_div_zero 0
	.end_amdhsa_kernel
	.section	.text._ZL30rocblas_trsm_small_left_deviceILi8ELi8ELb0EddPKPKdPKPdEv13rocblas_fill_18rocblas_operation_17rocblas_diagonal_iiT3_T4_lilT5_lili,"axG",@progbits,_ZL30rocblas_trsm_small_left_deviceILi8ELi8ELb0EddPKPKdPKPdEv13rocblas_fill_18rocblas_operation_17rocblas_diagonal_iiT3_T4_lilT5_lili,comdat
.Lfunc_end73:
	.size	_ZL30rocblas_trsm_small_left_deviceILi8ELi8ELb0EddPKPKdPKPdEv13rocblas_fill_18rocblas_operation_17rocblas_diagonal_iiT3_T4_lilT5_lili, .Lfunc_end73-_ZL30rocblas_trsm_small_left_deviceILi8ELi8ELb0EddPKPKdPKPdEv13rocblas_fill_18rocblas_operation_17rocblas_diagonal_iiT3_T4_lilT5_lili
                                        ; -- End function
	.set _ZL30rocblas_trsm_small_left_deviceILi8ELi8ELb0EddPKPKdPKPdEv13rocblas_fill_18rocblas_operation_17rocblas_diagonal_iiT3_T4_lilT5_lili.num_vgpr, 54
	.set _ZL30rocblas_trsm_small_left_deviceILi8ELi8ELb0EddPKPKdPKPdEv13rocblas_fill_18rocblas_operation_17rocblas_diagonal_iiT3_T4_lilT5_lili.num_agpr, 0
	.set _ZL30rocblas_trsm_small_left_deviceILi8ELi8ELb0EddPKPKdPKPdEv13rocblas_fill_18rocblas_operation_17rocblas_diagonal_iiT3_T4_lilT5_lili.numbered_sgpr, 45
	.set _ZL30rocblas_trsm_small_left_deviceILi8ELi8ELb0EddPKPKdPKPdEv13rocblas_fill_18rocblas_operation_17rocblas_diagonal_iiT3_T4_lilT5_lili.num_named_barrier, 0
	.set _ZL30rocblas_trsm_small_left_deviceILi8ELi8ELb0EddPKPKdPKPdEv13rocblas_fill_18rocblas_operation_17rocblas_diagonal_iiT3_T4_lilT5_lili.private_seg_size, 0
	.set _ZL30rocblas_trsm_small_left_deviceILi8ELi8ELb0EddPKPKdPKPdEv13rocblas_fill_18rocblas_operation_17rocblas_diagonal_iiT3_T4_lilT5_lili.uses_vcc, 1
	.set _ZL30rocblas_trsm_small_left_deviceILi8ELi8ELb0EddPKPKdPKPdEv13rocblas_fill_18rocblas_operation_17rocblas_diagonal_iiT3_T4_lilT5_lili.uses_flat_scratch, 0
	.set _ZL30rocblas_trsm_small_left_deviceILi8ELi8ELb0EddPKPKdPKPdEv13rocblas_fill_18rocblas_operation_17rocblas_diagonal_iiT3_T4_lilT5_lili.has_dyn_sized_stack, 0
	.set _ZL30rocblas_trsm_small_left_deviceILi8ELi8ELb0EddPKPKdPKPdEv13rocblas_fill_18rocblas_operation_17rocblas_diagonal_iiT3_T4_lilT5_lili.has_recursion, 0
	.set _ZL30rocblas_trsm_small_left_deviceILi8ELi8ELb0EddPKPKdPKPdEv13rocblas_fill_18rocblas_operation_17rocblas_diagonal_iiT3_T4_lilT5_lili.has_indirect_call, 0
	.section	.AMDGPU.csdata,"",@progbits
; Kernel info:
; codeLenInByte = 2608
; TotalNumSgprs: 47
; NumVgprs: 54
; ScratchSize: 0
; MemoryBound: 0
; FloatMode: 240
; IeeeMode: 1
; LDSByteSize: 512 bytes/workgroup (compile time only)
; SGPRBlocks: 0
; VGPRBlocks: 6
; NumSGPRsForWavesPerEU: 47
; NumVGPRsForWavesPerEU: 54
; Occupancy: 16
; WaveLimiterHint : 1
; COMPUTE_PGM_RSRC2:SCRATCH_EN: 0
; COMPUTE_PGM_RSRC2:USER_SGPR: 2
; COMPUTE_PGM_RSRC2:TRAP_HANDLER: 0
; COMPUTE_PGM_RSRC2:TGID_X_EN: 1
; COMPUTE_PGM_RSRC2:TGID_Y_EN: 0
; COMPUTE_PGM_RSRC2:TGID_Z_EN: 1
; COMPUTE_PGM_RSRC2:TIDIG_COMP_CNT: 0
	.section	.text._ZL38rocblas_trsm_small_left_device_sharedBILi8ELi8ELb1EddPKPKdPKPdEv13rocblas_fill_18rocblas_operation_17rocblas_diagonal_iiT3_T4_lilT5_lili,"axG",@progbits,_ZL38rocblas_trsm_small_left_device_sharedBILi8ELi8ELb1EddPKPKdPKPdEv13rocblas_fill_18rocblas_operation_17rocblas_diagonal_iiT3_T4_lilT5_lili,comdat
	.globl	_ZL38rocblas_trsm_small_left_device_sharedBILi8ELi8ELb1EddPKPKdPKPdEv13rocblas_fill_18rocblas_operation_17rocblas_diagonal_iiT3_T4_lilT5_lili ; -- Begin function _ZL38rocblas_trsm_small_left_device_sharedBILi8ELi8ELb1EddPKPKdPKPdEv13rocblas_fill_18rocblas_operation_17rocblas_diagonal_iiT3_T4_lilT5_lili
	.p2align	8
	.type	_ZL38rocblas_trsm_small_left_device_sharedBILi8ELi8ELb1EddPKPKdPKPdEv13rocblas_fill_18rocblas_operation_17rocblas_diagonal_iiT3_T4_lilT5_lili,@function
_ZL38rocblas_trsm_small_left_device_sharedBILi8ELi8ELb1EddPKPKdPKPdEv13rocblas_fill_18rocblas_operation_17rocblas_diagonal_iiT3_T4_lilT5_lili: ; @_ZL38rocblas_trsm_small_left_device_sharedBILi8ELi8ELb1EddPKPKdPKPdEv13rocblas_fill_18rocblas_operation_17rocblas_diagonal_iiT3_T4_lilT5_lili
; %bb.0:
	s_load_b32 s26, s[0:1], 0x60
	s_lshr_b32 s2, ttmp7, 16
	s_wait_kmcnt 0x0
	s_cmp_ge_u32 s2, s26
	s_cbranch_scc1 .LBB74_56
; %bb.1:
	s_clause 0x5
	s_load_b96 s[16:18], s[0:1], 0x28
	s_load_b32 s20, s[0:1], 0x50
	s_load_b128 s[12:15], s[0:1], 0x4
	s_load_b32 s3, s[0:1], 0x68
	s_load_b128 s[4:7], s[0:1], 0x18
	s_load_b128 s[8:11], s[0:1], 0x40
	v_dual_mov_b32 v1, 0 :: v_dual_lshlrev_b32 v38, 3, v0
	s_lshl_b32 s22, ttmp9, 3
	v_lshlrev_b32_e32 v19, 6, v0
	s_mov_b32 s19, 0
	s_delay_alu instid0(VALU_DEP_2)
	v_or_b32_e32 v39, 0x200, v38
	v_dual_mov_b32 v15, v1 :: v_dual_mov_b32 v16, v1
	v_dual_mov_b32 v2, v1 :: v_dual_mov_b32 v3, v1
	;; [unrolled: 1-line block ×4, first 2 shown]
	v_mov_b32_e32 v8, v1
	s_wait_kmcnt 0x0
	s_ashr_i32 s25, s18, 31
	s_min_i32 s1, s14, 8
	s_add_co_i32 s3, s3, -1
	s_ashr_i32 s21, s20, 31
	s_sub_co_i32 s0, s15, s22
	s_add_co_i32 s27, s1, -1
	v_mad_co_i64_i32 v[17:18], null, s20, v0, 0
	s_cmp_ge_u32 ttmp9, s3
	v_dual_mov_b32 v9, v1 :: v_dual_mov_b32 v10, v1
	s_cselect_b32 s3, s0, 8
	s_ashr_i32 s23, s22, 31
	s_cmp_lg_u32 s13, 0x84
	v_cmp_gt_i32_e32 vcc_lo, s3, v0
	s_cselect_b32 s28, -1, 0
	s_cmp_gt_i32 s14, 0
	v_dual_mov_b32 v11, v1 :: v_dual_mov_b32 v12, v1
	v_dual_mov_b32 v13, v1 :: v_dual_mov_b32 v14, v1
	v_cmp_gt_i32_e64 s0, s1, v0
	s_cselect_b32 s3, -1, 0
	s_cmp_lg_u32 s12, 0x6f
	v_lshlrev_b32_e32 v0, 3, v0
	v_lshlrev_b64_e32 v[34:35], 3, v[17:18]
	v_mov_b32_e32 v17, v16
	v_mov_b32_e32 v16, v15
	;; [unrolled: 1-line block ×4, first 2 shown]
	v_dual_mov_b32 v13, v12 :: v_dual_add_nc_u32 v40, v38, v19
	v_mov_b32_e32 v12, v11
	v_mov_b32_e32 v11, v10
	;; [unrolled: 1-line block ×11, first 2 shown]
	s_mov_b32 s24, s18
	s_mul_u64 s[20:21], s[20:21], s[22:23]
	s_cselect_b32 s29, -1, 0
	s_lshl_b32 s31, s1, 3
	s_wait_alu 0xfffe
	s_and_b32 s30, vcc_lo, s3
	s_lshl_b64 s[12:13], s[24:25], 3
	s_add_co_i32 s31, s31, -8
	s_lshl_b64 s[14:15], s[16:17], 3
	s_lshl_b64 s[10:11], s[10:11], 3
	;; [unrolled: 1-line block ×3, first 2 shown]
	s_branch .LBB74_3
.LBB74_2:                               ;   in Loop: Header=BB74_3 Depth=1
	s_wait_alu 0xfffe
	s_or_b32 exec_lo, exec_lo, s3
	v_dual_mov_b32 v2, v18 :: v_dual_mov_b32 v3, v19
	v_dual_mov_b32 v4, v20 :: v_dual_mov_b32 v5, v21
	;; [unrolled: 1-line block ×8, first 2 shown]
	s_add_co_i32 s2, s2, 0x10000
	s_wait_alu 0xfffe
	s_cmp_lt_u32 s2, s26
	s_cbranch_scc0 .LBB74_56
.LBB74_3:                               ; =>This Loop Header: Depth=1
                                        ;     Child Loop BB74_5 Depth 2
                                        ;     Child Loop BB74_11 Depth 2
	;; [unrolled: 1-line block ×3, first 2 shown]
                                        ;       Child Loop BB74_17 Depth 3
                                        ;         Child Loop BB74_18 Depth 4
                                        ;         Child Loop BB74_20 Depth 4
                                        ;           Child Loop BB74_21 Depth 5
                                        ;         Child Loop BB74_26 Depth 4
                                        ;           Child Loop BB74_28 Depth 5
                                        ;     Child Loop BB74_34 Depth 2
                                        ;       Child Loop BB74_37 Depth 3
                                        ;         Child Loop BB74_38 Depth 4
                                        ;         Child Loop BB74_41 Depth 4
                                        ;           Child Loop BB74_42 Depth 5
                                        ;         Child Loop BB74_47 Depth 4
                                        ;           Child Loop BB74_49 Depth 5
                                        ;     Child Loop BB74_55 Depth 2
	s_mov_b32 s3, s19
	s_wait_alu 0xfffe
	s_lshl_b64 s[20:21], s[2:3], 3
	s_wait_alu 0xfffe
	s_add_nc_u64 s[22:23], s[8:9], s[20:21]
	global_load_b64 v[18:19], v1, s[22:23]
	s_and_saveexec_b32 s3, s0
	s_cbranch_execz .LBB74_9
; %bb.4:                                ;   in Loop: Header=BB74_3 Depth=1
	s_add_nc_u64 s[20:21], s[6:7], s[20:21]
	v_mov_b32_e32 v22, v38
	global_load_b64 v[20:21], v1, s[20:21]
	s_mov_b32 s18, s1
	s_wait_loadcnt 0x0
	v_add_co_u32 v20, vcc_lo, v20, s14
	s_wait_alu 0xfffd
	v_add_co_ci_u32_e64 v21, null, s15, v21, vcc_lo
	s_delay_alu instid0(VALU_DEP_2) | instskip(SKIP_1) | instid1(VALU_DEP_2)
	v_add_co_u32 v20, vcc_lo, v20, v0
	s_wait_alu 0xfffd
	v_add_co_ci_u32_e64 v21, null, 0, v21, vcc_lo
.LBB74_5:                               ;   Parent Loop BB74_3 Depth=1
                                        ; =>  This Inner Loop Header: Depth=2
	flat_load_b64 v[23:24], v[20:21]
	v_add_co_u32 v20, vcc_lo, v20, s12
	s_wait_alu 0xfffd
	v_add_co_ci_u32_e64 v21, null, s13, v21, vcc_lo
	s_add_co_i32 s18, s18, -1
	s_delay_alu instid0(SALU_CYCLE_1)
	s_cmp_eq_u32 s18, 0
	s_wait_loadcnt_dscnt 0x0
	ds_store_b64 v22, v[23:24]
	v_add_nc_u32_e32 v22, 64, v22
	s_cbranch_scc0 .LBB74_5
; %bb.6:                                ;   in Loop: Header=BB74_3 Depth=1
	v_mov_b32_e32 v20, 0
	v_mov_b32_e32 v21, 0x3ff00000
	s_and_b32 vcc_lo, exec_lo, s28
	s_wait_alu 0xfffe
	s_cbranch_vccz .LBB74_8
; %bb.7:                                ;   in Loop: Header=BB74_3 Depth=1
	ds_load_b64 v[20:21], v40
	s_wait_dscnt 0x0
	v_div_scale_f64 v[22:23], null, v[20:21], v[20:21], 1.0
	s_delay_alu instid0(VALU_DEP_1) | instskip(NEXT) | instid1(TRANS32_DEP_1)
	v_rcp_f64_e32 v[24:25], v[22:23]
	v_fma_f64 v[26:27], -v[22:23], v[24:25], 1.0
	s_delay_alu instid0(VALU_DEP_1) | instskip(NEXT) | instid1(VALU_DEP_1)
	v_fma_f64 v[24:25], v[24:25], v[26:27], v[24:25]
	v_fma_f64 v[26:27], -v[22:23], v[24:25], 1.0
	s_delay_alu instid0(VALU_DEP_1) | instskip(SKIP_1) | instid1(VALU_DEP_1)
	v_fma_f64 v[24:25], v[24:25], v[26:27], v[24:25]
	v_div_scale_f64 v[26:27], vcc_lo, 1.0, v[20:21], 1.0
	v_mul_f64_e32 v[28:29], v[26:27], v[24:25]
	s_delay_alu instid0(VALU_DEP_1) | instskip(SKIP_1) | instid1(VALU_DEP_1)
	v_fma_f64 v[22:23], -v[22:23], v[28:29], v[26:27]
	s_wait_alu 0xfffd
	v_div_fmas_f64 v[22:23], v[22:23], v[24:25], v[28:29]
	s_delay_alu instid0(VALU_DEP_1)
	v_div_fixup_f64 v[20:21], v[22:23], v[20:21], 1.0
.LBB74_8:                               ;   in Loop: Header=BB74_3 Depth=1
	ds_store_b64 v40, v[20:21]
.LBB74_9:                               ;   in Loop: Header=BB74_3 Depth=1
	s_wait_alu 0xfffe
	s_or_b32 exec_lo, exec_lo, s3
	s_wait_loadcnt 0x0
	v_add_co_u32 v18, vcc_lo, v18, s10
	s_wait_alu 0xfffd
	v_add_co_ci_u32_e64 v19, null, s11, v19, vcc_lo
	s_delay_alu instid0(VALU_DEP_2) | instskip(SKIP_1) | instid1(VALU_DEP_2)
	v_add_co_u32 v41, vcc_lo, v18, s16
	s_wait_alu 0xfffd
	v_add_co_ci_u32_e64 v42, null, s17, v19, vcc_lo
	s_and_saveexec_b32 s3, s30
	s_cbranch_execz .LBB74_12
; %bb.10:                               ;   in Loop: Header=BB74_3 Depth=1
	v_add_co_u32 v18, vcc_lo, v41, v34
	s_wait_alu 0xfffd
	v_add_co_ci_u32_e64 v19, null, v42, v35, vcc_lo
	v_mov_b32_e32 v20, v39
	s_mov_b32 s18, s1
.LBB74_11:                              ;   Parent Loop BB74_3 Depth=1
                                        ; =>  This Inner Loop Header: Depth=2
	flat_load_b64 v[21:22], v[18:19]
	v_add_co_u32 v18, vcc_lo, v18, 8
	s_wait_alu 0xfffd
	v_add_co_ci_u32_e64 v19, null, 0, v19, vcc_lo
	s_add_co_i32 s18, s18, -1
	s_delay_alu instid0(SALU_CYCLE_1)
	s_cmp_lg_u32 s18, 0
	s_wait_loadcnt_dscnt 0x0
	v_mul_f64_e32 v[21:22], s[4:5], v[21:22]
	ds_store_b64 v20, v[21:22]
	v_add_nc_u32_e32 v20, 64, v20
	s_cbranch_scc1 .LBB74_11
.LBB74_12:                              ;   in Loop: Header=BB74_3 Depth=1
	s_wait_alu 0xfffe
	s_or_b32 exec_lo, exec_lo, s3
	s_delay_alu instid0(SALU_CYCLE_1)
	s_and_not1_b32 vcc_lo, exec_lo, s29
	s_mov_b32 s3, -1
	s_wait_dscnt 0x0
	; wave barrier
	global_inv scope:SCOPE_SE
                                        ; implicit-def: $vgpr18_vgpr19_vgpr20_vgpr21_vgpr22_vgpr23_vgpr24_vgpr25_vgpr26_vgpr27_vgpr28_vgpr29_vgpr30_vgpr31_vgpr32_vgpr33
	s_wait_alu 0xfffe
	s_cbranch_vccnz .LBB74_32
; %bb.13:                               ;   in Loop: Header=BB74_3 Depth=1
	v_dual_mov_b32 v33, v17 :: v_dual_mov_b32 v32, v16
	v_dual_mov_b32 v31, v15 :: v_dual_mov_b32 v30, v14
	v_dual_mov_b32 v29, v13 :: v_dual_mov_b32 v28, v12
	v_dual_mov_b32 v27, v11 :: v_dual_mov_b32 v26, v10
	v_dual_mov_b32 v25, v9 :: v_dual_mov_b32 v24, v8
	v_dual_mov_b32 v23, v7 :: v_dual_mov_b32 v22, v6
	v_dual_mov_b32 v21, v5 :: v_dual_mov_b32 v20, v4
	v_dual_mov_b32 v19, v3 :: v_dual_mov_b32 v18, v2
	s_mov_b32 s18, 0
	s_mov_b32 s3, s27
.LBB74_14:                              ;   Parent Loop BB74_3 Depth=1
                                        ; =>  This Loop Header: Depth=2
                                        ;       Child Loop BB74_17 Depth 3
                                        ;         Child Loop BB74_18 Depth 4
                                        ;         Child Loop BB74_20 Depth 4
                                        ;           Child Loop BB74_21 Depth 5
                                        ;         Child Loop BB74_26 Depth 4
                                        ;           Child Loop BB74_28 Depth 5
	s_getpc_b64 s[20:21]
	s_wait_alu 0xfffe
	s_sext_i32_i16 s21, s21
	s_add_co_u32 s20, s20, __const._ZL38rocblas_trsm_small_left_device_sharedBILi8ELi8ELb1EddPKPKdPKPdEv13rocblas_fill_18rocblas_operation_17rocblas_diagonal_iiT3_T4_lilT5_lili.step_sizes@rel32@lo+12
	s_wait_alu 0xfffe
	s_add_co_ci_u32 s21, s21, __const._ZL38rocblas_trsm_small_left_device_sharedBILi8ELi8ELb1EddPKPKdPKPdEv13rocblas_fill_18rocblas_operation_17rocblas_diagonal_iiT3_T4_lilT5_lili.step_sizes@rel32@hi+24
	s_lshl_b64 s[22:23], s[18:19], 2
	s_wait_alu 0xfffe
	s_add_nc_u64 s[20:21], s[20:21], s[22:23]
	s_load_b32 s33, s[20:21], 0x0
	s_wait_kmcnt 0x0
	s_add_co_i32 s34, s33, -1
	s_delay_alu instid0(SALU_CYCLE_1)
	s_cmp_lt_i32 s3, s34
	s_cbranch_scc1 .LBB74_29
; %bb.15:                               ;   in Loop: Header=BB74_14 Depth=2
	s_lshl_b32 s20, s3, 6
	s_lshl_b32 s21, s33, 6
	s_wait_alu 0xfffe
	v_add_nc_u32_e32 v43, s20, v39
	s_max_i32 s35, s33, 1
	s_sub_co_i32 s36, 0, s21
	s_add_co_i32 s37, s31, s20
	s_mul_i32 s38, s3, 0x48
	s_mul_i32 s39, s33, 0xffffffb8
	s_branch .LBB74_17
.LBB74_16:                              ;   in Loop: Header=BB74_17 Depth=3
	v_add_nc_u32_e32 v43, s36, v43
	s_sub_co_i32 s3, s3, s33
	s_add_co_i32 s37, s37, s36
	s_add_co_i32 s38, s38, s39
	s_wait_alu 0xfffe
	s_cmp_lt_i32 s3, s34
	s_cbranch_scc1 .LBB74_29
.LBB74_17:                              ;   Parent Loop BB74_3 Depth=1
                                        ;     Parent Loop BB74_14 Depth=2
                                        ; =>    This Loop Header: Depth=3
                                        ;         Child Loop BB74_18 Depth 4
                                        ;         Child Loop BB74_20 Depth 4
                                        ;           Child Loop BB74_21 Depth 5
                                        ;         Child Loop BB74_26 Depth 4
                                        ;           Child Loop BB74_28 Depth 5
	v_mov_b32_e32 v36, v43
	s_mov_b64 s[20:21], 0
.LBB74_18:                              ;   Parent Loop BB74_3 Depth=1
                                        ;     Parent Loop BB74_14 Depth=2
                                        ;       Parent Loop BB74_17 Depth=3
                                        ; =>      This Inner Loop Header: Depth=4
	ds_load_b64 v[44:45], v36
	v_subrev_nc_u32_e32 v36, 64, v36
	s_wait_alu 0xfffe
	s_lshl_b32 m0, s20, 1
	s_add_nc_u64 s[20:21], s[20:21], 1
	s_wait_alu 0xfffe
	s_cmp_eq_u32 s35, s20
	s_wait_dscnt 0x0
	v_movreld_b32_e32 v18, v44
	v_movreld_b32_e32 v19, v45
	s_cbranch_scc0 .LBB74_18
; %bb.19:                               ;   in Loop: Header=BB74_17 Depth=3
	s_cmp_le_i32 s27, s3
	s_mov_b32 s22, s37
	s_mov_b32 s23, s27
	s_cbranch_scc1 .LBB74_23
.LBB74_20:                              ;   Parent Loop BB74_3 Depth=1
                                        ;     Parent Loop BB74_14 Depth=2
                                        ;       Parent Loop BB74_17 Depth=3
                                        ; =>      This Loop Header: Depth=4
                                        ;           Child Loop BB74_21 Depth 5
	s_wait_alu 0xfffe
	v_lshl_add_u32 v36, s23, 6, v39
	s_mov_b64 s[20:21], 0
	s_mov_b32 s24, s22
	ds_load_b64 v[36:37], v36
.LBB74_21:                              ;   Parent Loop BB74_3 Depth=1
                                        ;     Parent Loop BB74_14 Depth=2
                                        ;       Parent Loop BB74_17 Depth=3
                                        ;         Parent Loop BB74_20 Depth=4
                                        ; =>        This Inner Loop Header: Depth=5
	s_wait_alu 0xfffe
	v_mov_b32_e32 v44, s24
	s_lshl_b32 m0, s20, 1
	s_add_nc_u64 s[20:21], s[20:21], 1
	v_movrels_b32_e32 v47, v19
	v_movrels_b32_e32 v46, v18
	ds_load_b64 v[44:45], v44
	s_sub_co_i32 s24, s24, 64
	s_wait_alu 0xfffe
	s_cmp_eq_u32 s35, s20
	s_wait_dscnt 0x0
	v_fma_f64 v[44:45], -v[36:37], v[44:45], v[46:47]
	s_delay_alu instid0(VALU_DEP_1) | instskip(NEXT) | instid1(VALU_DEP_2)
	v_movreld_b32_e32 v18, v44
	v_movreld_b32_e32 v19, v45
	s_cbranch_scc0 .LBB74_21
; %bb.22:                               ;   in Loop: Header=BB74_20 Depth=4
	s_add_co_i32 s23, s23, -1
	s_add_co_i32 s22, s22, -8
	s_wait_alu 0xfffe
	s_cmp_le_i32 s23, s3
	s_cbranch_scc0 .LBB74_20
.LBB74_23:                              ;   in Loop: Header=BB74_17 Depth=3
	s_lshl_b32 s40, s3, 6
	s_mov_b64 s[20:21], 0
	s_mov_b32 s41, s38
	s_branch .LBB74_26
.LBB74_24:                              ;   in Loop: Header=BB74_26 Depth=4
	s_mov_b32 s43, s3
	s_mov_b64 s[22:23], 0
	s_mov_b32 s42, s40
.LBB74_25:                              ;   in Loop: Header=BB74_26 Depth=4
	s_wait_alu 0xfffe
	s_mul_i32 s23, s43, 0x48
	s_lshl_b32 m0, s22, 1
	s_wait_alu 0xfffe
	v_mov_b32_e32 v36, s23
	v_movrels_b32_e32 v45, v19
	v_movrels_b32_e32 v44, v18
	s_add_nc_u64 s[20:21], s[20:21], 1
	s_sub_co_i32 s41, s41, 64
	ds_load_b64 v[36:37], v36
	s_wait_alu 0xfffe
	s_cmp_eq_u32 s20, s35
	s_wait_dscnt 0x0
	v_mul_f64_e32 v[36:37], v[44:45], v[36:37]
	v_add_nc_u32_e32 v44, s42, v39
	s_delay_alu instid0(VALU_DEP_2) | instskip(NEXT) | instid1(VALU_DEP_3)
	v_movreld_b32_e32 v18, v36
	v_movreld_b32_e32 v19, v37
	ds_store_b64 v44, v[36:37]
	s_cbranch_scc1 .LBB74_16
.LBB74_26:                              ;   Parent Loop BB74_3 Depth=1
                                        ;     Parent Loop BB74_14 Depth=2
                                        ;       Parent Loop BB74_17 Depth=3
                                        ; =>      This Loop Header: Depth=4
                                        ;           Child Loop BB74_28 Depth 5
	s_wait_alu 0xfffe
	s_cmp_eq_u32 s20, 0
	s_cbranch_scc1 .LBB74_24
; %bb.27:                               ;   in Loop: Header=BB74_26 Depth=4
	s_sub_co_i32 s43, s3, s20
	s_mov_b64 s[22:23], s[20:21]
	s_mov_b64 s[24:25], 0
	s_wait_alu 0xfffe
	s_lshl_b32 s42, s43, 6
	s_lshl_b32 s23, s20, 1
	s_mov_b32 s44, s41
.LBB74_28:                              ;   Parent Loop BB74_3 Depth=1
                                        ;     Parent Loop BB74_14 Depth=2
                                        ;       Parent Loop BB74_17 Depth=3
                                        ;         Parent Loop BB74_26 Depth=4
                                        ; =>        This Inner Loop Header: Depth=5
	s_wait_alu 0xfffe
	v_mov_b32_e32 v36, s44
	s_lshl_b32 m0, s24, 1
	s_add_nc_u64 s[24:25], s[24:25], 1
	v_movrels_b32_e32 v45, v19
	v_movrels_b32_e32 v44, v18
	ds_load_b64 v[36:37], v36
	s_mov_b32 m0, s23
	s_add_co_i32 s44, s44, -8
	v_movrels_b32_e32 v47, v19
	v_movrels_b32_e32 v46, v18
	s_wait_alu 0xfffe
	s_cmp_eq_u32 s20, s24
	s_wait_dscnt 0x0
	s_delay_alu instid0(VALU_DEP_1) | instskip(NEXT) | instid1(VALU_DEP_1)
	v_fma_f64 v[36:37], -v[44:45], v[36:37], v[46:47]
	v_movreld_b32_e32 v18, v36
	s_delay_alu instid0(VALU_DEP_2)
	v_movreld_b32_e32 v19, v37
	s_cbranch_scc0 .LBB74_28
	s_branch .LBB74_25
.LBB74_29:                              ;   in Loop: Header=BB74_14 Depth=2
	s_cmp_gt_i32 s3, -1
	s_cselect_b32 s21, -1, 0
	s_add_co_i32 s20, s18, 1
	s_cmp_lt_u32 s18, 2
	s_cselect_b32 s18, -1, 0
	s_wait_alu 0xfffe
	s_and_b32 s18, s21, s18
	s_delay_alu instid0(SALU_CYCLE_1)
	s_and_b32 vcc_lo, exec_lo, s18
	s_wait_alu 0xfffe
	s_cbranch_vccz .LBB74_31
; %bb.30:                               ;   in Loop: Header=BB74_14 Depth=2
	s_mov_b32 s18, s20
	s_branch .LBB74_14
.LBB74_31:                              ;   in Loop: Header=BB74_3 Depth=1
	s_mov_b32 s3, 0
.LBB74_32:                              ;   in Loop: Header=BB74_3 Depth=1
	s_wait_alu 0xfffe
	s_and_b32 vcc_lo, exec_lo, s3
	s_wait_alu 0xfffe
	s_cbranch_vccz .LBB74_53
; %bb.33:                               ;   in Loop: Header=BB74_3 Depth=1
	s_mov_b32 s3, 0
	s_wait_alu 0xfffe
	s_mov_b32 s18, s3
.LBB74_34:                              ;   Parent Loop BB74_3 Depth=1
                                        ; =>  This Loop Header: Depth=2
                                        ;       Child Loop BB74_37 Depth 3
                                        ;         Child Loop BB74_38 Depth 4
                                        ;         Child Loop BB74_41 Depth 4
                                        ;           Child Loop BB74_42 Depth 5
                                        ;         Child Loop BB74_47 Depth 4
                                        ;           Child Loop BB74_49 Depth 5
	s_getpc_b64 s[20:21]
	s_wait_alu 0xfffe
	s_sext_i32_i16 s21, s21
	s_add_co_u32 s20, s20, __const._ZL38rocblas_trsm_small_left_device_sharedBILi8ELi8ELb1EddPKPKdPKPdEv13rocblas_fill_18rocblas_operation_17rocblas_diagonal_iiT3_T4_lilT5_lili.step_sizes@rel32@lo+12
	s_wait_alu 0xfffe
	s_add_co_ci_u32 s21, s21, __const._ZL38rocblas_trsm_small_left_device_sharedBILi8ELi8ELb1EddPKPKdPKPdEv13rocblas_fill_18rocblas_operation_17rocblas_diagonal_iiT3_T4_lilT5_lili.step_sizes@rel32@hi+24
	s_lshl_b64 s[22:23], s[18:19], 2
	s_wait_alu 0xfffe
	s_add_nc_u64 s[20:21], s[20:21], s[22:23]
	s_load_b32 s33, s[20:21], 0x0
	s_wait_kmcnt 0x0
	s_add_co_i32 s34, s33, -1
	s_delay_alu instid0(SALU_CYCLE_1)
	s_add_co_i32 s20, s34, s3
	s_wait_alu 0xfffe
	s_cmp_ge_i32 s20, s1
	s_cbranch_scc1 .LBB74_50
; %bb.35:                               ;   in Loop: Header=BB74_34 Depth=2
	v_lshl_add_u32 v20, s3, 6, v39
	s_max_i32 s35, s33, 1
	s_lshl_b32 s36, s33, 6
	s_lshl_b32 s37, s3, 3
	;; [unrolled: 1-line block ×3, first 2 shown]
	s_mul_i32 s39, s3, 0x48
	s_mul_i32 s40, s33, 0x48
	s_branch .LBB74_37
.LBB74_36:                              ;   in Loop: Header=BB74_37 Depth=3
	s_add_co_i32 s3, s3, s33
	v_add_nc_u32_e32 v20, s36, v20
	s_wait_alu 0xfffe
	s_add_co_i32 s20, s34, s3
	s_add_co_i32 s37, s37, s38
	;; [unrolled: 1-line block ×3, first 2 shown]
	s_wait_alu 0xfffe
	s_cmp_ge_i32 s20, s1
	s_cbranch_scc1 .LBB74_50
.LBB74_37:                              ;   Parent Loop BB74_3 Depth=1
                                        ;     Parent Loop BB74_34 Depth=2
                                        ; =>    This Loop Header: Depth=3
                                        ;         Child Loop BB74_38 Depth 4
                                        ;         Child Loop BB74_41 Depth 4
                                        ;           Child Loop BB74_42 Depth 5
                                        ;         Child Loop BB74_47 Depth 4
                                        ;           Child Loop BB74_49 Depth 5
	v_mov_b32_e32 v18, v20
	s_mov_b64 s[20:21], 0
.LBB74_38:                              ;   Parent Loop BB74_3 Depth=1
                                        ;     Parent Loop BB74_34 Depth=2
                                        ;       Parent Loop BB74_37 Depth=3
                                        ; =>      This Inner Loop Header: Depth=4
	ds_load_b64 v[21:22], v18
	v_add_nc_u32_e32 v18, 64, v18
	s_wait_alu 0xfffe
	s_lshl_b32 m0, s20, 1
	s_add_nc_u64 s[20:21], s[20:21], 1
	s_wait_alu 0xfffe
	s_cmp_eq_u32 s35, s20
	s_wait_dscnt 0x0
	v_movreld_b32_e32 v2, v21
	v_movreld_b32_e32 v3, v22
	s_cbranch_scc0 .LBB74_38
; %bb.39:                               ;   in Loop: Header=BB74_37 Depth=3
	s_cmp_lt_i32 s3, 1
	s_cbranch_scc1 .LBB74_44
; %bb.40:                               ;   in Loop: Header=BB74_37 Depth=3
	s_mov_b32 s22, 0
	s_mov_b32 s23, s37
.LBB74_41:                              ;   Parent Loop BB74_3 Depth=1
                                        ;     Parent Loop BB74_34 Depth=2
                                        ;       Parent Loop BB74_37 Depth=3
                                        ; =>      This Loop Header: Depth=4
                                        ;           Child Loop BB74_42 Depth 5
	s_wait_alu 0xfffe
	v_lshl_add_u32 v18, s22, 6, v39
	s_mov_b64 s[20:21], 0
	s_mov_b32 s24, s23
	ds_load_b64 v[18:19], v18
.LBB74_42:                              ;   Parent Loop BB74_3 Depth=1
                                        ;     Parent Loop BB74_34 Depth=2
                                        ;       Parent Loop BB74_37 Depth=3
                                        ;         Parent Loop BB74_41 Depth=4
                                        ; =>        This Inner Loop Header: Depth=5
	s_wait_alu 0xfffe
	v_mov_b32_e32 v21, s24
	s_lshl_b32 m0, s20, 1
	s_add_nc_u64 s[20:21], s[20:21], 1
	v_movrels_b32_e32 v24, v3
	v_movrels_b32_e32 v23, v2
	ds_load_b64 v[21:22], v21
	s_add_co_i32 s24, s24, 8
	s_wait_alu 0xfffe
	s_cmp_eq_u32 s35, s20
	s_wait_dscnt 0x0
	v_fma_f64 v[21:22], -v[18:19], v[21:22], v[23:24]
	s_delay_alu instid0(VALU_DEP_1) | instskip(NEXT) | instid1(VALU_DEP_2)
	v_movreld_b32_e32 v2, v21
	v_movreld_b32_e32 v3, v22
	s_cbranch_scc0 .LBB74_42
; %bb.43:                               ;   in Loop: Header=BB74_41 Depth=4
	s_add_co_i32 s22, s22, 1
	s_add_co_i32 s23, s23, 64
	s_wait_alu 0xfffe
	s_cmp_eq_u32 s22, s3
	s_cbranch_scc0 .LBB74_41
.LBB74_44:                              ;   in Loop: Header=BB74_37 Depth=3
	s_mov_b64 s[20:21], 0
	s_mov_b32 s41, s39
	s_branch .LBB74_47
.LBB74_45:                              ;   in Loop: Header=BB74_47 Depth=4
	s_mov_b64 s[22:23], 0
.LBB74_46:                              ;   in Loop: Header=BB74_47 Depth=4
	s_add_co_i32 s23, s20, s3
	s_wait_alu 0xfffe
	s_lshl_b32 m0, s22, 1
	s_mul_i32 s24, s23, 0x48
	v_movrels_b32_e32 v22, v3
	s_wait_alu 0xfffe
	v_mov_b32_e32 v18, s24
	v_movrels_b32_e32 v21, v2
	s_add_nc_u64 s[20:21], s[20:21], 1
	s_add_co_i32 s41, s41, 8
	s_wait_alu 0xfffe
	s_cmp_eq_u32 s20, s35
	ds_load_b64 v[18:19], v18
	s_wait_dscnt 0x0
	v_mul_f64_e32 v[18:19], v[21:22], v[18:19]
	v_lshl_add_u32 v21, s23, 6, v39
	s_delay_alu instid0(VALU_DEP_2) | instskip(NEXT) | instid1(VALU_DEP_3)
	v_movreld_b32_e32 v2, v18
	v_movreld_b32_e32 v3, v19
	ds_store_b64 v21, v[18:19]
	s_cbranch_scc1 .LBB74_36
.LBB74_47:                              ;   Parent Loop BB74_3 Depth=1
                                        ;     Parent Loop BB74_34 Depth=2
                                        ;       Parent Loop BB74_37 Depth=3
                                        ; =>      This Loop Header: Depth=4
                                        ;           Child Loop BB74_49 Depth 5
	s_wait_alu 0xfffe
	s_cmp_eq_u32 s20, 0
	s_cbranch_scc1 .LBB74_45
; %bb.48:                               ;   in Loop: Header=BB74_47 Depth=4
	s_mov_b64 s[22:23], s[20:21]
	s_mov_b64 s[24:25], 0
	s_lshl_b32 s23, s20, 1
	s_mov_b32 s42, s41
.LBB74_49:                              ;   Parent Loop BB74_3 Depth=1
                                        ;     Parent Loop BB74_34 Depth=2
                                        ;       Parent Loop BB74_37 Depth=3
                                        ;         Parent Loop BB74_47 Depth=4
                                        ; =>        This Inner Loop Header: Depth=5
	s_wait_alu 0xfffe
	v_mov_b32_e32 v18, s42
	s_lshl_b32 m0, s24, 1
	s_add_nc_u64 s[24:25], s[24:25], 1
	v_movrels_b32_e32 v22, v3
	v_movrels_b32_e32 v21, v2
	ds_load_b64 v[18:19], v18
	s_mov_b32 m0, s23
	s_add_co_i32 s42, s42, 64
	v_movrels_b32_e32 v24, v3
	v_movrels_b32_e32 v23, v2
	s_wait_alu 0xfffe
	s_cmp_eq_u32 s20, s24
	s_wait_dscnt 0x0
	s_delay_alu instid0(VALU_DEP_1) | instskip(NEXT) | instid1(VALU_DEP_1)
	v_fma_f64 v[18:19], -v[21:22], v[18:19], v[23:24]
	v_movreld_b32_e32 v2, v18
	s_delay_alu instid0(VALU_DEP_2)
	v_movreld_b32_e32 v3, v19
	s_cbranch_scc0 .LBB74_49
	s_branch .LBB74_46
.LBB74_50:                              ;   in Loop: Header=BB74_34 Depth=2
	s_cmp_lt_i32 s3, s1
	s_cselect_b32 s21, -1, 0
	s_add_co_i32 s20, s18, 1
	s_cmp_lt_u32 s18, 2
	s_cselect_b32 s18, -1, 0
	s_wait_alu 0xfffe
	s_and_b32 s18, s21, s18
	s_delay_alu instid0(SALU_CYCLE_1)
	s_and_not1_b32 vcc_lo, exec_lo, s18
	s_wait_alu 0xfffe
	s_cbranch_vccnz .LBB74_52
; %bb.51:                               ;   in Loop: Header=BB74_34 Depth=2
	s_mov_b32 s18, s20
	s_branch .LBB74_34
.LBB74_52:                              ;   in Loop: Header=BB74_3 Depth=1
	v_dual_mov_b32 v33, v17 :: v_dual_mov_b32 v32, v16
	v_dual_mov_b32 v31, v15 :: v_dual_mov_b32 v30, v14
	;; [unrolled: 1-line block ×8, first 2 shown]
.LBB74_53:                              ;   in Loop: Header=BB74_3 Depth=1
	; wave barrier
	s_wait_loadcnt_dscnt 0x0
	global_inv scope:SCOPE_SE
	s_and_saveexec_b32 s3, s30
	s_cbranch_execz .LBB74_2
; %bb.54:                               ;   in Loop: Header=BB74_3 Depth=1
	v_add_co_u32 v2, vcc_lo, v41, v34
	s_wait_alu 0xfffd
	v_add_co_ci_u32_e64 v3, null, v42, v35, vcc_lo
	v_mov_b32_e32 v4, v39
	s_mov_b32 s18, s1
.LBB74_55:                              ;   Parent Loop BB74_3 Depth=1
                                        ; =>  This Inner Loop Header: Depth=2
	ds_load_b64 v[5:6], v4
	v_add_nc_u32_e32 v4, 64, v4
	s_add_co_i32 s18, s18, -1
	s_delay_alu instid0(SALU_CYCLE_1)
	s_cmp_lg_u32 s18, 0
	s_wait_dscnt 0x0
	flat_store_b64 v[2:3], v[5:6]
	v_add_co_u32 v2, vcc_lo, v2, 8
	s_wait_alu 0xfffd
	v_add_co_ci_u32_e64 v3, null, 0, v3, vcc_lo
	s_cbranch_scc1 .LBB74_55
	s_branch .LBB74_2
.LBB74_56:
	s_endpgm
	.section	.rodata,"a",@progbits
	.p2align	6, 0x0
	.amdhsa_kernel _ZL38rocblas_trsm_small_left_device_sharedBILi8ELi8ELb1EddPKPKdPKPdEv13rocblas_fill_18rocblas_operation_17rocblas_diagonal_iiT3_T4_lilT5_lili
		.amdhsa_group_segment_fixed_size 1024
		.amdhsa_private_segment_fixed_size 0
		.amdhsa_kernarg_size 360
		.amdhsa_user_sgpr_count 2
		.amdhsa_user_sgpr_dispatch_ptr 0
		.amdhsa_user_sgpr_queue_ptr 0
		.amdhsa_user_sgpr_kernarg_segment_ptr 1
		.amdhsa_user_sgpr_dispatch_id 0
		.amdhsa_user_sgpr_private_segment_size 0
		.amdhsa_wavefront_size32 1
		.amdhsa_uses_dynamic_stack 0
		.amdhsa_enable_private_segment 0
		.amdhsa_system_sgpr_workgroup_id_x 1
		.amdhsa_system_sgpr_workgroup_id_y 0
		.amdhsa_system_sgpr_workgroup_id_z 1
		.amdhsa_system_sgpr_workgroup_info 0
		.amdhsa_system_vgpr_workitem_id 0
		.amdhsa_next_free_vgpr 48
		.amdhsa_next_free_sgpr 45
		.amdhsa_reserve_vcc 1
		.amdhsa_float_round_mode_32 0
		.amdhsa_float_round_mode_16_64 0
		.amdhsa_float_denorm_mode_32 3
		.amdhsa_float_denorm_mode_16_64 3
		.amdhsa_fp16_overflow 0
		.amdhsa_workgroup_processor_mode 1
		.amdhsa_memory_ordered 1
		.amdhsa_forward_progress 1
		.amdhsa_inst_pref_size 21
		.amdhsa_round_robin_scheduling 0
		.amdhsa_exception_fp_ieee_invalid_op 0
		.amdhsa_exception_fp_denorm_src 0
		.amdhsa_exception_fp_ieee_div_zero 0
		.amdhsa_exception_fp_ieee_overflow 0
		.amdhsa_exception_fp_ieee_underflow 0
		.amdhsa_exception_fp_ieee_inexact 0
		.amdhsa_exception_int_div_zero 0
	.end_amdhsa_kernel
	.section	.text._ZL38rocblas_trsm_small_left_device_sharedBILi8ELi8ELb1EddPKPKdPKPdEv13rocblas_fill_18rocblas_operation_17rocblas_diagonal_iiT3_T4_lilT5_lili,"axG",@progbits,_ZL38rocblas_trsm_small_left_device_sharedBILi8ELi8ELb1EddPKPKdPKPdEv13rocblas_fill_18rocblas_operation_17rocblas_diagonal_iiT3_T4_lilT5_lili,comdat
.Lfunc_end74:
	.size	_ZL38rocblas_trsm_small_left_device_sharedBILi8ELi8ELb1EddPKPKdPKPdEv13rocblas_fill_18rocblas_operation_17rocblas_diagonal_iiT3_T4_lilT5_lili, .Lfunc_end74-_ZL38rocblas_trsm_small_left_device_sharedBILi8ELi8ELb1EddPKPKdPKPdEv13rocblas_fill_18rocblas_operation_17rocblas_diagonal_iiT3_T4_lilT5_lili
                                        ; -- End function
	.set _ZL38rocblas_trsm_small_left_device_sharedBILi8ELi8ELb1EddPKPKdPKPdEv13rocblas_fill_18rocblas_operation_17rocblas_diagonal_iiT3_T4_lilT5_lili.num_vgpr, 48
	.set _ZL38rocblas_trsm_small_left_device_sharedBILi8ELi8ELb1EddPKPKdPKPdEv13rocblas_fill_18rocblas_operation_17rocblas_diagonal_iiT3_T4_lilT5_lili.num_agpr, 0
	.set _ZL38rocblas_trsm_small_left_device_sharedBILi8ELi8ELb1EddPKPKdPKPdEv13rocblas_fill_18rocblas_operation_17rocblas_diagonal_iiT3_T4_lilT5_lili.numbered_sgpr, 45
	.set _ZL38rocblas_trsm_small_left_device_sharedBILi8ELi8ELb1EddPKPKdPKPdEv13rocblas_fill_18rocblas_operation_17rocblas_diagonal_iiT3_T4_lilT5_lili.num_named_barrier, 0
	.set _ZL38rocblas_trsm_small_left_device_sharedBILi8ELi8ELb1EddPKPKdPKPdEv13rocblas_fill_18rocblas_operation_17rocblas_diagonal_iiT3_T4_lilT5_lili.private_seg_size, 0
	.set _ZL38rocblas_trsm_small_left_device_sharedBILi8ELi8ELb1EddPKPKdPKPdEv13rocblas_fill_18rocblas_operation_17rocblas_diagonal_iiT3_T4_lilT5_lili.uses_vcc, 1
	.set _ZL38rocblas_trsm_small_left_device_sharedBILi8ELi8ELb1EddPKPKdPKPdEv13rocblas_fill_18rocblas_operation_17rocblas_diagonal_iiT3_T4_lilT5_lili.uses_flat_scratch, 0
	.set _ZL38rocblas_trsm_small_left_device_sharedBILi8ELi8ELb1EddPKPKdPKPdEv13rocblas_fill_18rocblas_operation_17rocblas_diagonal_iiT3_T4_lilT5_lili.has_dyn_sized_stack, 0
	.set _ZL38rocblas_trsm_small_left_device_sharedBILi8ELi8ELb1EddPKPKdPKPdEv13rocblas_fill_18rocblas_operation_17rocblas_diagonal_iiT3_T4_lilT5_lili.has_recursion, 0
	.set _ZL38rocblas_trsm_small_left_device_sharedBILi8ELi8ELb1EddPKPKdPKPdEv13rocblas_fill_18rocblas_operation_17rocblas_diagonal_iiT3_T4_lilT5_lili.has_indirect_call, 0
	.section	.AMDGPU.csdata,"",@progbits
; Kernel info:
; codeLenInByte = 2576
; TotalNumSgprs: 47
; NumVgprs: 48
; ScratchSize: 0
; MemoryBound: 0
; FloatMode: 240
; IeeeMode: 1
; LDSByteSize: 1024 bytes/workgroup (compile time only)
; SGPRBlocks: 0
; VGPRBlocks: 5
; NumSGPRsForWavesPerEU: 47
; NumVGPRsForWavesPerEU: 48
; Occupancy: 16
; WaveLimiterHint : 0
; COMPUTE_PGM_RSRC2:SCRATCH_EN: 0
; COMPUTE_PGM_RSRC2:USER_SGPR: 2
; COMPUTE_PGM_RSRC2:TRAP_HANDLER: 0
; COMPUTE_PGM_RSRC2:TGID_X_EN: 1
; COMPUTE_PGM_RSRC2:TGID_Y_EN: 0
; COMPUTE_PGM_RSRC2:TGID_Z_EN: 1
; COMPUTE_PGM_RSRC2:TIDIG_COMP_CNT: 0
	.section	.text._ZL30rocblas_trsm_small_left_deviceILi8ELi8ELb1EddPKPKdPKPdEv13rocblas_fill_18rocblas_operation_17rocblas_diagonal_iiT3_T4_lilT5_lili,"axG",@progbits,_ZL30rocblas_trsm_small_left_deviceILi8ELi8ELb1EddPKPKdPKPdEv13rocblas_fill_18rocblas_operation_17rocblas_diagonal_iiT3_T4_lilT5_lili,comdat
	.globl	_ZL30rocblas_trsm_small_left_deviceILi8ELi8ELb1EddPKPKdPKPdEv13rocblas_fill_18rocblas_operation_17rocblas_diagonal_iiT3_T4_lilT5_lili ; -- Begin function _ZL30rocblas_trsm_small_left_deviceILi8ELi8ELb1EddPKPKdPKPdEv13rocblas_fill_18rocblas_operation_17rocblas_diagonal_iiT3_T4_lilT5_lili
	.p2align	8
	.type	_ZL30rocblas_trsm_small_left_deviceILi8ELi8ELb1EddPKPKdPKPdEv13rocblas_fill_18rocblas_operation_17rocblas_diagonal_iiT3_T4_lilT5_lili,@function
_ZL30rocblas_trsm_small_left_deviceILi8ELi8ELb1EddPKPKdPKPdEv13rocblas_fill_18rocblas_operation_17rocblas_diagonal_iiT3_T4_lilT5_lili: ; @_ZL30rocblas_trsm_small_left_deviceILi8ELi8ELb1EddPKPKdPKPdEv13rocblas_fill_18rocblas_operation_17rocblas_diagonal_iiT3_T4_lilT5_lili
; %bb.0:
	s_load_b32 s33, s[0:1], 0x60
	s_lshr_b32 s2, ttmp7, 16
	s_wait_kmcnt 0x0
	s_cmp_ge_u32 s2, s33
	s_cbranch_scc1 .LBB75_53
; %bb.1:
	s_clause 0x5
	s_load_b96 s[16:18], s[0:1], 0x28
	s_load_b128 s[12:15], s[0:1], 0x4
	s_load_b32 s3, s[0:1], 0x68
	s_load_b32 s20, s[0:1], 0x50
	s_load_b128 s[4:7], s[0:1], 0x18
	s_load_b128 s[8:11], s[0:1], 0x40
	s_lshl_b32 s0, ttmp9, 3
	v_dual_mov_b32 v1, 0 :: v_dual_lshlrev_b32 v40, 3, v0
	v_or_b32_e32 v2, s0, v0
	v_lshlrev_b32_e32 v17, 6, v0
	s_mov_b32 s39, 0
	s_delay_alu instid0(VALU_DEP_3)
	v_dual_mov_b32 v15, v1 :: v_dual_mov_b32 v16, v1
	v_dual_mov_b32 v5, v1 :: v_dual_mov_b32 v6, v1
	;; [unrolled: 1-line block ×4, first 2 shown]
	s_wait_kmcnt 0x0
	s_min_i32 s34, s14, 8
	s_add_co_i32 s3, s3, -1
	v_mad_co_i64_i32 v[2:3], null, s20, v2, 0
	s_ashr_i32 s19, s18, 31
	s_sub_co_i32 s0, s15, s0
	s_add_co_i32 s35, s34, -1
	s_wait_alu 0xfffe
	s_cmp_ge_u32 ttmp9, s3
	v_dual_mov_b32 v11, v1 :: v_dual_mov_b32 v12, v1
	s_cselect_b32 s1, s0, 8
	s_cmp_lg_u32 s13, 0x84
	v_lshlrev_b64_e32 v[34:35], 3, v[2:3]
	s_cselect_b32 s36, -1, 0
	s_cmp_lg_u32 s12, 0x6f
	v_mov_b32_e32 v2, v1
	s_cselect_b32 s37, -1, 0
	s_lshl_b64 s[10:11], s[10:11], 3
	v_dual_mov_b32 v3, v1 :: v_dual_mov_b32 v4, v1
	v_dual_mov_b32 v13, v1 :: v_dual_mov_b32 v14, v1
	v_add_co_u32 v41, vcc_lo, v34, s10
	v_cmp_gt_i32_e64 s0, s34, v0
	s_wait_alu 0xfffe
	v_cmp_gt_i32_e64 s1, s1, v0
	v_lshlrev_b32_e32 v0, 3, v0
	v_add_nc_u32_e32 v43, v40, v17
	v_mov_b32_e32 v17, v16
	v_add_co_ci_u32_e64 v42, null, s11, v35, vcc_lo
	v_mov_b32_e32 v16, v15
	v_mov_b32_e32 v15, v14
	;; [unrolled: 1-line block ×15, first 2 shown]
	s_lshl_b32 s38, s34, 3
	s_lshl_b64 s[12:13], s[18:19], 3
	s_add_co_i32 s38, s38, -8
	s_mov_b32 s15, 0
	s_lshl_b64 s[16:17], s[16:17], 3
	s_branch .LBB75_5
.LBB75_2:                               ;   in Loop: Header=BB75_5 Depth=1
	v_dual_mov_b32 v33, v17 :: v_dual_mov_b32 v32, v16
	v_dual_mov_b32 v31, v15 :: v_dual_mov_b32 v30, v14
	;; [unrolled: 1-line block ×8, first 2 shown]
.LBB75_3:                               ;   in Loop: Header=BB75_5 Depth=1
	s_add_co_i32 s2, s2, 0x10000
	s_delay_alu instid0(SALU_CYCLE_1) | instskip(SKIP_1) | instid1(SALU_CYCLE_1)
	s_cmp_ge_u32 s2, s33
	s_cselect_b32 s14, -1, 0
	s_or_not1_b32 s14, s14, exec_lo
.LBB75_4:                               ;   in Loop: Header=BB75_5 Depth=1
	s_or_b32 exec_lo, exec_lo, s3
	v_dual_mov_b32 v2, v18 :: v_dual_mov_b32 v3, v19
	v_dual_mov_b32 v4, v20 :: v_dual_mov_b32 v5, v21
	;; [unrolled: 1-line block ×8, first 2 shown]
	s_and_b32 s3, exec_lo, s14
	s_delay_alu instid0(SALU_CYCLE_1) | instskip(NEXT) | instid1(SALU_CYCLE_1)
	s_or_b32 s39, s3, s39
	s_and_not1_b32 exec_lo, exec_lo, s39
	s_cbranch_execz .LBB75_53
.LBB75_5:                               ; =>This Loop Header: Depth=1
                                        ;     Child Loop BB75_7 Depth 2
                                        ;     Child Loop BB75_14 Depth 2
                                        ;       Child Loop BB75_17 Depth 3
                                        ;         Child Loop BB75_18 Depth 4
                                        ;         Child Loop BB75_20 Depth 4
                                        ;           Child Loop BB75_21 Depth 5
                                        ;         Child Loop BB75_26 Depth 4
                                        ;           Child Loop BB75_28 Depth 5
                                        ;     Child Loop BB75_35 Depth 2
                                        ;       Child Loop BB75_38 Depth 3
                                        ;         Child Loop BB75_39 Depth 4
                                        ;         Child Loop BB75_42 Depth 4
                                        ;           Child Loop BB75_43 Depth 5
                                        ;         Child Loop BB75_48 Depth 4
                                        ;           Child Loop BB75_50 Depth 5
	s_mov_b32 s3, s15
	s_delay_alu instid0(SALU_CYCLE_1) | instskip(NEXT) | instid1(SALU_CYCLE_1)
	s_lshl_b64 s[18:19], s[2:3], 3
	s_add_nc_u64 s[20:21], s[8:9], s[18:19]
	global_load_b64 v[36:37], v1, s[20:21]
	s_and_saveexec_b32 s3, s0
	s_cbranch_execz .LBB75_11
; %bb.6:                                ;   in Loop: Header=BB75_5 Depth=1
	s_add_nc_u64 s[18:19], s[6:7], s[18:19]
	v_mov_b32_e32 v20, v40
	global_load_b64 v[18:19], v1, s[18:19]
	s_mov_b32 s14, s34
	s_wait_loadcnt 0x0
	v_add_co_u32 v18, vcc_lo, v18, s16
	s_wait_alu 0xfffd
	v_add_co_ci_u32_e64 v19, null, s17, v19, vcc_lo
	s_delay_alu instid0(VALU_DEP_2) | instskip(SKIP_1) | instid1(VALU_DEP_2)
	v_add_co_u32 v18, vcc_lo, v18, v0
	s_wait_alu 0xfffd
	v_add_co_ci_u32_e64 v19, null, 0, v19, vcc_lo
.LBB75_7:                               ;   Parent Loop BB75_5 Depth=1
                                        ; =>  This Inner Loop Header: Depth=2
	flat_load_b64 v[21:22], v[18:19]
	v_add_co_u32 v18, vcc_lo, v18, s12
	s_wait_alu 0xfffd
	v_add_co_ci_u32_e64 v19, null, s13, v19, vcc_lo
	s_add_co_i32 s14, s14, -1
	s_delay_alu instid0(SALU_CYCLE_1)
	s_cmp_eq_u32 s14, 0
	s_wait_loadcnt_dscnt 0x0
	ds_store_b64 v20, v[21:22]
	v_add_nc_u32_e32 v20, 64, v20
	s_cbranch_scc0 .LBB75_7
; %bb.8:                                ;   in Loop: Header=BB75_5 Depth=1
	v_mov_b32_e32 v18, 0
	v_mov_b32_e32 v19, 0x3ff00000
	s_and_b32 vcc_lo, exec_lo, s36
	s_wait_alu 0xfffe
	s_cbranch_vccz .LBB75_10
; %bb.9:                                ;   in Loop: Header=BB75_5 Depth=1
	ds_load_b64 v[18:19], v43
	s_wait_dscnt 0x0
	v_div_scale_f64 v[20:21], null, v[18:19], v[18:19], 1.0
	s_delay_alu instid0(VALU_DEP_1) | instskip(NEXT) | instid1(TRANS32_DEP_1)
	v_rcp_f64_e32 v[22:23], v[20:21]
	v_fma_f64 v[24:25], -v[20:21], v[22:23], 1.0
	s_delay_alu instid0(VALU_DEP_1) | instskip(NEXT) | instid1(VALU_DEP_1)
	v_fma_f64 v[22:23], v[22:23], v[24:25], v[22:23]
	v_fma_f64 v[24:25], -v[20:21], v[22:23], 1.0
	s_delay_alu instid0(VALU_DEP_1) | instskip(SKIP_1) | instid1(VALU_DEP_1)
	v_fma_f64 v[22:23], v[22:23], v[24:25], v[22:23]
	v_div_scale_f64 v[24:25], vcc_lo, 1.0, v[18:19], 1.0
	v_mul_f64_e32 v[26:27], v[24:25], v[22:23]
	s_delay_alu instid0(VALU_DEP_1) | instskip(SKIP_1) | instid1(VALU_DEP_1)
	v_fma_f64 v[20:21], -v[20:21], v[26:27], v[24:25]
	s_wait_alu 0xfffd
	v_div_fmas_f64 v[20:21], v[20:21], v[22:23], v[26:27]
	s_delay_alu instid0(VALU_DEP_1)
	v_div_fixup_f64 v[18:19], v[20:21], v[18:19], 1.0
.LBB75_10:                              ;   in Loop: Header=BB75_5 Depth=1
	ds_store_b64 v43, v[18:19]
.LBB75_11:                              ;   in Loop: Header=BB75_5 Depth=1
	s_or_b32 exec_lo, exec_lo, s3
	s_mov_b32 s14, -1
	; wave barrier
	s_wait_loadcnt_dscnt 0x0
	global_inv scope:SCOPE_SE
                                        ; implicit-def: $vgpr18_vgpr19_vgpr20_vgpr21_vgpr22_vgpr23_vgpr24_vgpr25_vgpr26_vgpr27_vgpr28_vgpr29_vgpr30_vgpr31_vgpr32_vgpr33
	s_and_saveexec_b32 s3, s1
	s_cbranch_execz .LBB75_4
; %bb.12:                               ;   in Loop: Header=BB75_5 Depth=1
	v_add_co_u32 v18, vcc_lo, v36, s10
	s_wait_alu 0xfffd
	v_add_co_ci_u32_e64 v19, null, s11, v37, vcc_lo
	s_delay_alu instid0(VALU_DEP_2) | instskip(SKIP_1) | instid1(VALU_DEP_2)
	v_add_co_u32 v44, vcc_lo, v18, v34
	s_wait_alu 0xfffd
	v_add_co_ci_u32_e64 v45, null, v19, v35, vcc_lo
	s_and_not1_b32 vcc_lo, exec_lo, s37
                                        ; implicit-def: $vgpr18_vgpr19_vgpr20_vgpr21_vgpr22_vgpr23_vgpr24_vgpr25_vgpr26_vgpr27_vgpr28_vgpr29_vgpr30_vgpr31_vgpr32_vgpr33
	s_wait_alu 0xfffe
	s_cbranch_vccnz .LBB75_33
; %bb.13:                               ;   in Loop: Header=BB75_5 Depth=1
	v_add_co_u32 v46, vcc_lo, v36, v41
	v_dual_mov_b32 v33, v17 :: v_dual_mov_b32 v32, v16
	v_dual_mov_b32 v31, v15 :: v_dual_mov_b32 v30, v14
	;; [unrolled: 1-line block ×8, first 2 shown]
	s_wait_alu 0xfffd
	v_add_co_ci_u32_e64 v47, null, v37, v42, vcc_lo
	s_mov_b32 s14, 0
	s_mov_b32 s18, s35
.LBB75_14:                              ;   Parent Loop BB75_5 Depth=1
                                        ; =>  This Loop Header: Depth=2
                                        ;       Child Loop BB75_17 Depth 3
                                        ;         Child Loop BB75_18 Depth 4
                                        ;         Child Loop BB75_20 Depth 4
                                        ;           Child Loop BB75_21 Depth 5
                                        ;         Child Loop BB75_26 Depth 4
                                        ;           Child Loop BB75_28 Depth 5
	s_getpc_b64 s[20:21]
	s_wait_alu 0xfffe
	s_sext_i32_i16 s21, s21
	s_add_co_u32 s20, s20, __const._ZL30rocblas_trsm_small_left_deviceILi8ELi8ELb1EddPKPKdPKPdEv13rocblas_fill_18rocblas_operation_17rocblas_diagonal_iiT3_T4_lilT5_lili.step_sizes@rel32@lo+12
	s_wait_alu 0xfffe
	s_add_co_ci_u32 s21, s21, __const._ZL30rocblas_trsm_small_left_deviceILi8ELi8ELb1EddPKPKdPKPdEv13rocblas_fill_18rocblas_operation_17rocblas_diagonal_iiT3_T4_lilT5_lili.step_sizes@rel32@hi+24
	s_lshl_b64 s[22:23], s[14:15], 2
	s_wait_alu 0xfffe
	s_add_nc_u64 s[20:21], s[20:21], s[22:23]
	s_load_b32 s28, s[20:21], 0x0
	s_wait_kmcnt 0x0
	s_add_co_i32 s29, s28, -1
	s_wait_alu 0xfffe
	s_cmp_lt_i32 s18, s29
	s_cbranch_scc1 .LBB75_30
; %bb.15:                               ;   in Loop: Header=BB75_14 Depth=2
	s_lshl_b32 s19, s18, 6
	s_lshl_b32 s20, s28, 6
	s_max_i32 s30, s28, 1
	s_add_co_i32 s31, s38, s19
	s_wait_alu 0xfffe
	s_sub_co_i32 s40, 0, s20
	s_mul_i32 s41, s18, 0x48
	s_mul_i32 s42, s28, 0xffffffb8
	s_branch .LBB75_17
.LBB75_16:                              ;   in Loop: Header=BB75_17 Depth=3
	s_sub_co_i32 s18, s18, s28
	s_add_co_i32 s31, s31, s40
	s_add_co_i32 s41, s41, s42
	s_cmp_lt_i32 s18, s29
	s_cbranch_scc1 .LBB75_30
.LBB75_17:                              ;   Parent Loop BB75_5 Depth=1
                                        ;     Parent Loop BB75_14 Depth=2
                                        ; =>    This Loop Header: Depth=3
                                        ;         Child Loop BB75_18 Depth 4
                                        ;         Child Loop BB75_20 Depth 4
                                        ;           Child Loop BB75_21 Depth 5
                                        ;         Child Loop BB75_26 Depth 4
                                        ;           Child Loop BB75_28 Depth 5
	s_ashr_i32 s19, s18, 31
	s_delay_alu instid0(SALU_CYCLE_1)
	s_lshl_b64 s[20:21], s[18:19], 3
	s_wait_alu 0xfffe
	v_add_co_u32 v38, vcc_lo, v46, s20
	s_wait_alu 0xfffd
	v_add_co_ci_u32_e64 v39, null, s21, v47, vcc_lo
	s_mov_b64 s[20:21], 0
.LBB75_18:                              ;   Parent Loop BB75_5 Depth=1
                                        ;     Parent Loop BB75_14 Depth=2
                                        ;       Parent Loop BB75_17 Depth=3
                                        ; =>      This Inner Loop Header: Depth=4
	flat_load_b64 v[48:49], v[38:39]
	v_add_co_u32 v38, vcc_lo, v38, -8
	s_wait_alu 0xfffd
	v_add_co_ci_u32_e64 v39, null, -1, v39, vcc_lo
	s_wait_alu 0xfffe
	s_lshl_b32 m0, s20, 1
	s_add_nc_u64 s[20:21], s[20:21], 1
	s_wait_alu 0xfffe
	s_cmp_eq_u32 s30, s20
	s_wait_loadcnt_dscnt 0x0
	v_mul_f64_e32 v[48:49], s[4:5], v[48:49]
	s_delay_alu instid0(VALU_DEP_1) | instskip(NEXT) | instid1(VALU_DEP_2)
	v_movreld_b32_e32 v18, v48
	v_movreld_b32_e32 v19, v49
	s_cbranch_scc0 .LBB75_18
; %bb.19:                               ;   in Loop: Header=BB75_17 Depth=3
	s_cmp_le_i32 s35, s18
	s_mov_b32 s24, s31
	s_mov_b32 s20, s35
	s_cbranch_scc1 .LBB75_23
.LBB75_20:                              ;   Parent Loop BB75_5 Depth=1
                                        ;     Parent Loop BB75_14 Depth=2
                                        ;       Parent Loop BB75_17 Depth=3
                                        ; =>      This Loop Header: Depth=4
                                        ;           Child Loop BB75_21 Depth 5
	s_wait_alu 0xfffe
	s_ashr_i32 s21, s20, 31
	s_wait_alu 0xfffe
	s_lshl_b64 s[22:23], s[20:21], 3
	s_mov_b32 s21, s24
	s_wait_alu 0xfffe
	v_add_co_u32 v38, vcc_lo, v44, s22
	s_wait_alu 0xfffd
	v_add_co_ci_u32_e64 v39, null, s23, v45, vcc_lo
	s_mov_b64 s[22:23], 0
	flat_load_b64 v[38:39], v[38:39]
.LBB75_21:                              ;   Parent Loop BB75_5 Depth=1
                                        ;     Parent Loop BB75_14 Depth=2
                                        ;       Parent Loop BB75_17 Depth=3
                                        ;         Parent Loop BB75_20 Depth=4
                                        ; =>        This Inner Loop Header: Depth=5
	s_wait_alu 0xfffe
	v_mov_b32_e32 v48, s21
	s_lshl_b32 m0, s22, 1
	s_add_nc_u64 s[22:23], s[22:23], 1
	v_movrels_b32_e32 v51, v19
	v_movrels_b32_e32 v50, v18
	ds_load_b64 v[48:49], v48
	s_sub_co_i32 s21, s21, 64
	s_wait_alu 0xfffe
	s_cmp_eq_u32 s30, s22
	s_wait_loadcnt_dscnt 0x0
	v_fma_f64 v[48:49], -v[38:39], v[48:49], v[50:51]
	s_delay_alu instid0(VALU_DEP_1) | instskip(NEXT) | instid1(VALU_DEP_2)
	v_movreld_b32_e32 v18, v48
	v_movreld_b32_e32 v19, v49
	s_cbranch_scc0 .LBB75_21
; %bb.22:                               ;   in Loop: Header=BB75_20 Depth=4
	s_add_co_i32 s20, s20, -1
	s_add_co_i32 s24, s24, -8
	s_wait_alu 0xfffe
	s_cmp_le_i32 s20, s18
	s_cbranch_scc0 .LBB75_20
.LBB75_23:                              ;   in Loop: Header=BB75_17 Depth=3
	s_mov_b64 s[20:21], 0
	s_mov_b32 s43, s41
	s_branch .LBB75_26
.LBB75_24:                              ;   in Loop: Header=BB75_26 Depth=4
	s_mov_b32 s26, s18
	s_mov_b64 s[22:23], 0
	s_mov_b64 s[24:25], s[18:19]
.LBB75_25:                              ;   in Loop: Header=BB75_26 Depth=4
	s_wait_alu 0xfffe
	s_mul_i32 s23, s26, 0x48
	s_lshl_b32 m0, s22, 1
	s_wait_alu 0xfffe
	v_mov_b32_e32 v38, s23
	v_movrels_b32_e32 v49, v19
	v_movrels_b32_e32 v48, v18
	s_lshl_b64 s[22:23], s[24:25], 3
	s_add_nc_u64 s[20:21], s[20:21], 1
	ds_load_b64 v[38:39], v38
	s_sub_co_i32 s43, s43, 64
	s_wait_alu 0xfffe
	s_cmp_eq_u32 s20, s30
	s_wait_dscnt 0x0
	v_mul_f64_e32 v[38:39], v[48:49], v[38:39]
	v_add_co_u32 v48, vcc_lo, v44, s22
	s_wait_alu 0xfffd
	v_add_co_ci_u32_e64 v49, null, s23, v45, vcc_lo
	s_delay_alu instid0(VALU_DEP_3) | instskip(NEXT) | instid1(VALU_DEP_4)
	v_movreld_b32_e32 v18, v38
	v_movreld_b32_e32 v19, v39
	flat_store_b64 v[48:49], v[38:39]
	s_cbranch_scc1 .LBB75_16
.LBB75_26:                              ;   Parent Loop BB75_5 Depth=1
                                        ;     Parent Loop BB75_14 Depth=2
                                        ;       Parent Loop BB75_17 Depth=3
                                        ; =>      This Loop Header: Depth=4
                                        ;           Child Loop BB75_28 Depth 5
	s_wait_alu 0xfffe
	s_cmp_eq_u32 s20, 0
	s_cbranch_scc1 .LBB75_24
; %bb.27:                               ;   in Loop: Header=BB75_26 Depth=4
	s_mov_b64 s[22:23], s[20:21]
	s_mov_b64 s[24:25], 0
	s_lshl_b32 s23, s20, 1
	s_mov_b32 s26, s43
.LBB75_28:                              ;   Parent Loop BB75_5 Depth=1
                                        ;     Parent Loop BB75_14 Depth=2
                                        ;       Parent Loop BB75_17 Depth=3
                                        ;         Parent Loop BB75_26 Depth=4
                                        ; =>        This Inner Loop Header: Depth=5
	s_wait_alu 0xfffe
	v_mov_b32_e32 v38, s26
	s_lshl_b32 m0, s24, 1
	s_add_nc_u64 s[24:25], s[24:25], 1
	v_movrels_b32_e32 v49, v19
	v_movrels_b32_e32 v48, v18
	ds_load_b64 v[38:39], v38
	s_mov_b32 m0, s23
	s_add_co_i32 s26, s26, -8
	v_movrels_b32_e32 v51, v19
	v_movrels_b32_e32 v50, v18
	s_wait_alu 0xfffe
	s_cmp_eq_u32 s20, s24
	s_wait_dscnt 0x0
	s_delay_alu instid0(VALU_DEP_1) | instskip(NEXT) | instid1(VALU_DEP_1)
	v_fma_f64 v[38:39], -v[48:49], v[38:39], v[50:51]
	v_movreld_b32_e32 v18, v38
	s_delay_alu instid0(VALU_DEP_2)
	v_movreld_b32_e32 v19, v39
	s_cbranch_scc0 .LBB75_28
; %bb.29:                               ;   in Loop: Header=BB75_26 Depth=4
	s_sub_co_i32 s26, s18, s20
	s_wait_alu 0xfffe
	s_ashr_i32 s27, s26, 31
	s_wait_alu 0xfffe
	s_mov_b64 s[24:25], s[26:27]
	s_branch .LBB75_25
.LBB75_30:                              ;   in Loop: Header=BB75_14 Depth=2
	s_cmp_gt_i32 s18, -1
	s_cselect_b32 s20, -1, 0
	s_add_co_i32 s19, s14, 1
	s_cmp_lt_u32 s14, 2
	s_cselect_b32 s14, -1, 0
	s_wait_alu 0xfffe
	s_and_b32 s14, s20, s14
	s_delay_alu instid0(SALU_CYCLE_1)
	s_and_b32 vcc_lo, exec_lo, s14
	s_wait_alu 0xfffe
	s_cbranch_vccz .LBB75_32
; %bb.31:                               ;   in Loop: Header=BB75_14 Depth=2
	s_mov_b32 s14, s19
	s_branch .LBB75_14
.LBB75_32:                              ;   in Loop: Header=BB75_5 Depth=1
	s_mov_b32 s14, 0
.LBB75_33:                              ;   in Loop: Header=BB75_5 Depth=1
	s_delay_alu instid0(SALU_CYCLE_1)
	s_and_b32 vcc_lo, exec_lo, s14
	s_wait_alu 0xfffe
	s_cbranch_vccz .LBB75_3
; %bb.34:                               ;   in Loop: Header=BB75_5 Depth=1
	v_add_co_u32 v22, vcc_lo, v36, v41
	s_wait_alu 0xfffd
	v_add_co_ci_u32_e64 v23, null, v37, v42, vcc_lo
	s_mov_b32 s18, 0
	s_mov_b32 s20, 0
.LBB75_35:                              ;   Parent Loop BB75_5 Depth=1
                                        ; =>  This Loop Header: Depth=2
                                        ;       Child Loop BB75_38 Depth 3
                                        ;         Child Loop BB75_39 Depth 4
                                        ;         Child Loop BB75_42 Depth 4
                                        ;           Child Loop BB75_43 Depth 5
                                        ;         Child Loop BB75_48 Depth 4
                                        ;           Child Loop BB75_50 Depth 5
	s_mov_b32 s21, s15
	s_getpc_b64 s[22:23]
	s_wait_alu 0xfffe
	s_sext_i32_i16 s23, s23
	s_add_co_u32 s22, s22, __const._ZL30rocblas_trsm_small_left_deviceILi8ELi8ELb1EddPKPKdPKPdEv13rocblas_fill_18rocblas_operation_17rocblas_diagonal_iiT3_T4_lilT5_lili.step_sizes@rel32@lo+12
	s_wait_alu 0xfffe
	s_add_co_ci_u32 s23, s23, __const._ZL30rocblas_trsm_small_left_deviceILi8ELi8ELb1EddPKPKdPKPdEv13rocblas_fill_18rocblas_operation_17rocblas_diagonal_iiT3_T4_lilT5_lili.step_sizes@rel32@hi+24
	s_lshl_b64 s[24:25], s[20:21], 2
	s_wait_alu 0xfffe
	s_add_nc_u64 s[22:23], s[22:23], s[24:25]
	s_load_b32 s22, s[22:23], 0x0
	s_wait_kmcnt 0x0
	s_add_co_i32 s21, s22, -1
	s_wait_alu 0xfffe
	s_add_co_i32 s14, s21, s18
	s_delay_alu instid0(SALU_CYCLE_1)
	s_cmp_ge_i32 s14, s34
	s_cbranch_scc1 .LBB75_51
; %bb.36:                               ;   in Loop: Header=BB75_35 Depth=2
	s_ashr_i32 s19, s18, 31
	s_ashr_i32 s23, s22, 31
	s_lshl_b64 s[24:25], s[18:19], 3
	s_max_i32 s40, s22, 1
	s_wait_alu 0xfffe
	v_add_co_u32 v18, vcc_lo, v22, s24
	s_wait_alu 0xfffd
	v_add_co_ci_u32_e64 v19, null, s25, v23, vcc_lo
	s_lshl_b64 s[24:25], s[22:23], 3
	s_lshl_b32 s19, s18, 3
	s_lshl_b32 s23, s22, 3
	s_mul_i32 s41, s18, 0x48
	s_mul_i32 s42, s22, 0x48
	s_branch .LBB75_38
.LBB75_37:                              ;   in Loop: Header=BB75_38 Depth=3
	v_add_co_u32 v18, vcc_lo, v18, s24
	s_add_co_i32 s18, s18, s22
	s_wait_alu 0xfffd
	v_add_co_ci_u32_e64 v19, null, s25, v19, vcc_lo
	s_add_co_i32 s14, s21, s18
	s_add_co_i32 s19, s19, s23
	;; [unrolled: 1-line block ×3, first 2 shown]
	s_cmp_ge_i32 s14, s34
	s_cbranch_scc1 .LBB75_51
.LBB75_38:                              ;   Parent Loop BB75_5 Depth=1
                                        ;     Parent Loop BB75_35 Depth=2
                                        ; =>    This Loop Header: Depth=3
                                        ;         Child Loop BB75_39 Depth 4
                                        ;         Child Loop BB75_42 Depth 4
                                        ;           Child Loop BB75_43 Depth 5
                                        ;         Child Loop BB75_48 Depth 4
                                        ;           Child Loop BB75_50 Depth 5
	v_dual_mov_b32 v21, v19 :: v_dual_mov_b32 v20, v18
	s_mov_b64 s[26:27], 0
.LBB75_39:                              ;   Parent Loop BB75_5 Depth=1
                                        ;     Parent Loop BB75_35 Depth=2
                                        ;       Parent Loop BB75_38 Depth=3
                                        ; =>      This Inner Loop Header: Depth=4
	flat_load_b64 v[24:25], v[20:21]
	v_add_co_u32 v20, vcc_lo, v20, 8
	s_wait_alu 0xfffd
	v_add_co_ci_u32_e64 v21, null, 0, v21, vcc_lo
	s_wait_alu 0xfffe
	s_lshl_b32 m0, s26, 1
	s_add_nc_u64 s[26:27], s[26:27], 1
	s_wait_alu 0xfffe
	s_cmp_eq_u32 s40, s26
	s_wait_loadcnt_dscnt 0x0
	v_mul_f64_e32 v[24:25], s[4:5], v[24:25]
	s_delay_alu instid0(VALU_DEP_1) | instskip(NEXT) | instid1(VALU_DEP_2)
	v_movreld_b32_e32 v2, v24
	v_movreld_b32_e32 v3, v25
	s_cbranch_scc0 .LBB75_39
; %bb.40:                               ;   in Loop: Header=BB75_38 Depth=3
	s_cmp_lt_i32 s18, 1
	s_cbranch_scc1 .LBB75_45
; %bb.41:                               ;   in Loop: Header=BB75_38 Depth=3
	s_mov_b32 s14, 0
	s_mov_b32 s28, s19
.LBB75_42:                              ;   Parent Loop BB75_5 Depth=1
                                        ;     Parent Loop BB75_35 Depth=2
                                        ;       Parent Loop BB75_38 Depth=3
                                        ; =>      This Loop Header: Depth=4
                                        ;           Child Loop BB75_43 Depth 5
	s_lshl_b64 s[26:27], s[14:15], 3
	s_wait_alu 0xfffe
	s_mov_b32 s29, s28
	v_add_co_u32 v20, vcc_lo, v44, s26
	s_wait_alu 0xfffd
	v_add_co_ci_u32_e64 v21, null, s27, v45, vcc_lo
	s_mov_b64 s[26:27], 0
	flat_load_b64 v[20:21], v[20:21]
.LBB75_43:                              ;   Parent Loop BB75_5 Depth=1
                                        ;     Parent Loop BB75_35 Depth=2
                                        ;       Parent Loop BB75_38 Depth=3
                                        ;         Parent Loop BB75_42 Depth=4
                                        ; =>        This Inner Loop Header: Depth=5
	s_wait_alu 0xfffe
	v_mov_b32_e32 v24, s29
	s_lshl_b32 m0, s26, 1
	s_add_nc_u64 s[26:27], s[26:27], 1
	v_movrels_b32_e32 v27, v3
	v_movrels_b32_e32 v26, v2
	ds_load_b64 v[24:25], v24
	s_add_co_i32 s29, s29, 8
	s_wait_alu 0xfffe
	s_cmp_eq_u32 s40, s26
	s_wait_loadcnt_dscnt 0x0
	v_fma_f64 v[24:25], -v[20:21], v[24:25], v[26:27]
	s_delay_alu instid0(VALU_DEP_1) | instskip(NEXT) | instid1(VALU_DEP_2)
	v_movreld_b32_e32 v2, v24
	v_movreld_b32_e32 v3, v25
	s_cbranch_scc0 .LBB75_43
; %bb.44:                               ;   in Loop: Header=BB75_42 Depth=4
	s_add_co_i32 s14, s14, 1
	s_add_co_i32 s28, s28, 64
	s_cmp_eq_u32 s14, s18
	s_cbranch_scc0 .LBB75_42
.LBB75_45:                              ;   in Loop: Header=BB75_38 Depth=3
	s_mov_b64 s[26:27], 0
	s_mov_b32 s14, s41
	s_branch .LBB75_48
.LBB75_46:                              ;   in Loop: Header=BB75_48 Depth=4
	s_mov_b64 s[28:29], 0
.LBB75_47:                              ;   in Loop: Header=BB75_48 Depth=4
	s_add_co_i32 s30, s26, s18
	s_wait_alu 0xfffe
	s_lshl_b32 m0, s28, 1
	s_mul_i32 s29, s30, 0x48
	v_movrels_b32_e32 v25, v3
	s_wait_alu 0xfffe
	v_mov_b32_e32 v20, s29
	v_movrels_b32_e32 v24, v2
	s_ashr_i32 s31, s30, 31
	s_add_nc_u64 s[26:27], s[26:27], 1
	s_lshl_b64 s[28:29], s[30:31], 3
	ds_load_b64 v[20:21], v20
	s_add_co_i32 s14, s14, 8
	s_wait_alu 0xfffe
	s_cmp_eq_u32 s26, s40
	s_wait_dscnt 0x0
	v_mul_f64_e32 v[20:21], v[24:25], v[20:21]
	v_add_co_u32 v24, vcc_lo, v44, s28
	s_wait_alu 0xfffd
	v_add_co_ci_u32_e64 v25, null, s29, v45, vcc_lo
	s_delay_alu instid0(VALU_DEP_3) | instskip(NEXT) | instid1(VALU_DEP_4)
	v_movreld_b32_e32 v2, v20
	v_movreld_b32_e32 v3, v21
	flat_store_b64 v[24:25], v[20:21]
	s_cbranch_scc1 .LBB75_37
.LBB75_48:                              ;   Parent Loop BB75_5 Depth=1
                                        ;     Parent Loop BB75_35 Depth=2
                                        ;       Parent Loop BB75_38 Depth=3
                                        ; =>      This Loop Header: Depth=4
                                        ;           Child Loop BB75_50 Depth 5
	s_wait_alu 0xfffe
	s_cmp_eq_u32 s26, 0
	s_cbranch_scc1 .LBB75_46
; %bb.49:                               ;   in Loop: Header=BB75_48 Depth=4
	s_mov_b64 s[28:29], s[26:27]
	s_mov_b64 s[30:31], 0
	s_lshl_b32 s29, s26, 1
	s_mov_b32 s43, s14
.LBB75_50:                              ;   Parent Loop BB75_5 Depth=1
                                        ;     Parent Loop BB75_35 Depth=2
                                        ;       Parent Loop BB75_38 Depth=3
                                        ;         Parent Loop BB75_48 Depth=4
                                        ; =>        This Inner Loop Header: Depth=5
	s_wait_alu 0xfffe
	v_mov_b32_e32 v20, s43
	s_lshl_b32 m0, s30, 1
	s_add_nc_u64 s[30:31], s[30:31], 1
	v_movrels_b32_e32 v25, v3
	v_movrels_b32_e32 v24, v2
	ds_load_b64 v[20:21], v20
	s_mov_b32 m0, s29
	s_add_co_i32 s43, s43, 64
	v_movrels_b32_e32 v27, v3
	v_movrels_b32_e32 v26, v2
	s_cmp_eq_u32 s26, s30
	s_wait_dscnt 0x0
	s_delay_alu instid0(VALU_DEP_1) | instskip(NEXT) | instid1(VALU_DEP_1)
	v_fma_f64 v[20:21], -v[24:25], v[20:21], v[26:27]
	v_movreld_b32_e32 v2, v20
	s_delay_alu instid0(VALU_DEP_2)
	v_movreld_b32_e32 v3, v21
	s_cbranch_scc0 .LBB75_50
	s_branch .LBB75_47
.LBB75_51:                              ;   in Loop: Header=BB75_35 Depth=2
	s_cmp_lt_i32 s18, s34
	s_cselect_b32 s19, -1, 0
	s_add_co_i32 s14, s20, 1
	s_cmp_lt_u32 s20, 2
	s_cselect_b32 s20, -1, 0
	s_wait_alu 0xfffe
	s_and_b32 s19, s19, s20
	s_delay_alu instid0(SALU_CYCLE_1)
	s_and_not1_b32 vcc_lo, exec_lo, s19
	s_wait_alu 0xfffe
	s_cbranch_vccnz .LBB75_2
; %bb.52:                               ;   in Loop: Header=BB75_35 Depth=2
	s_mov_b32 s20, s14
	s_branch .LBB75_35
.LBB75_53:
	s_endpgm
	.section	.rodata,"a",@progbits
	.p2align	6, 0x0
	.amdhsa_kernel _ZL30rocblas_trsm_small_left_deviceILi8ELi8ELb1EddPKPKdPKPdEv13rocblas_fill_18rocblas_operation_17rocblas_diagonal_iiT3_T4_lilT5_lili
		.amdhsa_group_segment_fixed_size 512
		.amdhsa_private_segment_fixed_size 0
		.amdhsa_kernarg_size 360
		.amdhsa_user_sgpr_count 2
		.amdhsa_user_sgpr_dispatch_ptr 0
		.amdhsa_user_sgpr_queue_ptr 0
		.amdhsa_user_sgpr_kernarg_segment_ptr 1
		.amdhsa_user_sgpr_dispatch_id 0
		.amdhsa_user_sgpr_private_segment_size 0
		.amdhsa_wavefront_size32 1
		.amdhsa_uses_dynamic_stack 0
		.amdhsa_enable_private_segment 0
		.amdhsa_system_sgpr_workgroup_id_x 1
		.amdhsa_system_sgpr_workgroup_id_y 0
		.amdhsa_system_sgpr_workgroup_id_z 1
		.amdhsa_system_sgpr_workgroup_info 0
		.amdhsa_system_vgpr_workitem_id 0
		.amdhsa_next_free_vgpr 52
		.amdhsa_next_free_sgpr 44
		.amdhsa_reserve_vcc 1
		.amdhsa_float_round_mode_32 0
		.amdhsa_float_round_mode_16_64 0
		.amdhsa_float_denorm_mode_32 3
		.amdhsa_float_denorm_mode_16_64 3
		.amdhsa_fp16_overflow 0
		.amdhsa_workgroup_processor_mode 1
		.amdhsa_memory_ordered 1
		.amdhsa_forward_progress 1
		.amdhsa_inst_pref_size 21
		.amdhsa_round_robin_scheduling 0
		.amdhsa_exception_fp_ieee_invalid_op 0
		.amdhsa_exception_fp_denorm_src 0
		.amdhsa_exception_fp_ieee_div_zero 0
		.amdhsa_exception_fp_ieee_overflow 0
		.amdhsa_exception_fp_ieee_underflow 0
		.amdhsa_exception_fp_ieee_inexact 0
		.amdhsa_exception_int_div_zero 0
	.end_amdhsa_kernel
	.section	.text._ZL30rocblas_trsm_small_left_deviceILi8ELi8ELb1EddPKPKdPKPdEv13rocblas_fill_18rocblas_operation_17rocblas_diagonal_iiT3_T4_lilT5_lili,"axG",@progbits,_ZL30rocblas_trsm_small_left_deviceILi8ELi8ELb1EddPKPKdPKPdEv13rocblas_fill_18rocblas_operation_17rocblas_diagonal_iiT3_T4_lilT5_lili,comdat
.Lfunc_end75:
	.size	_ZL30rocblas_trsm_small_left_deviceILi8ELi8ELb1EddPKPKdPKPdEv13rocblas_fill_18rocblas_operation_17rocblas_diagonal_iiT3_T4_lilT5_lili, .Lfunc_end75-_ZL30rocblas_trsm_small_left_deviceILi8ELi8ELb1EddPKPKdPKPdEv13rocblas_fill_18rocblas_operation_17rocblas_diagonal_iiT3_T4_lilT5_lili
                                        ; -- End function
	.set _ZL30rocblas_trsm_small_left_deviceILi8ELi8ELb1EddPKPKdPKPdEv13rocblas_fill_18rocblas_operation_17rocblas_diagonal_iiT3_T4_lilT5_lili.num_vgpr, 52
	.set _ZL30rocblas_trsm_small_left_deviceILi8ELi8ELb1EddPKPKdPKPdEv13rocblas_fill_18rocblas_operation_17rocblas_diagonal_iiT3_T4_lilT5_lili.num_agpr, 0
	.set _ZL30rocblas_trsm_small_left_deviceILi8ELi8ELb1EddPKPKdPKPdEv13rocblas_fill_18rocblas_operation_17rocblas_diagonal_iiT3_T4_lilT5_lili.numbered_sgpr, 44
	.set _ZL30rocblas_trsm_small_left_deviceILi8ELi8ELb1EddPKPKdPKPdEv13rocblas_fill_18rocblas_operation_17rocblas_diagonal_iiT3_T4_lilT5_lili.num_named_barrier, 0
	.set _ZL30rocblas_trsm_small_left_deviceILi8ELi8ELb1EddPKPKdPKPdEv13rocblas_fill_18rocblas_operation_17rocblas_diagonal_iiT3_T4_lilT5_lili.private_seg_size, 0
	.set _ZL30rocblas_trsm_small_left_deviceILi8ELi8ELb1EddPKPKdPKPdEv13rocblas_fill_18rocblas_operation_17rocblas_diagonal_iiT3_T4_lilT5_lili.uses_vcc, 1
	.set _ZL30rocblas_trsm_small_left_deviceILi8ELi8ELb1EddPKPKdPKPdEv13rocblas_fill_18rocblas_operation_17rocblas_diagonal_iiT3_T4_lilT5_lili.uses_flat_scratch, 0
	.set _ZL30rocblas_trsm_small_left_deviceILi8ELi8ELb1EddPKPKdPKPdEv13rocblas_fill_18rocblas_operation_17rocblas_diagonal_iiT3_T4_lilT5_lili.has_dyn_sized_stack, 0
	.set _ZL30rocblas_trsm_small_left_deviceILi8ELi8ELb1EddPKPKdPKPdEv13rocblas_fill_18rocblas_operation_17rocblas_diagonal_iiT3_T4_lilT5_lili.has_recursion, 0
	.set _ZL30rocblas_trsm_small_left_deviceILi8ELi8ELb1EddPKPKdPKPdEv13rocblas_fill_18rocblas_operation_17rocblas_diagonal_iiT3_T4_lilT5_lili.has_indirect_call, 0
	.section	.AMDGPU.csdata,"",@progbits
; Kernel info:
; codeLenInByte = 2600
; TotalNumSgprs: 46
; NumVgprs: 52
; ScratchSize: 0
; MemoryBound: 0
; FloatMode: 240
; IeeeMode: 1
; LDSByteSize: 512 bytes/workgroup (compile time only)
; SGPRBlocks: 0
; VGPRBlocks: 6
; NumSGPRsForWavesPerEU: 46
; NumVGPRsForWavesPerEU: 52
; Occupancy: 16
; WaveLimiterHint : 1
; COMPUTE_PGM_RSRC2:SCRATCH_EN: 0
; COMPUTE_PGM_RSRC2:USER_SGPR: 2
; COMPUTE_PGM_RSRC2:TRAP_HANDLER: 0
; COMPUTE_PGM_RSRC2:TGID_X_EN: 1
; COMPUTE_PGM_RSRC2:TGID_Y_EN: 0
; COMPUTE_PGM_RSRC2:TGID_Z_EN: 1
; COMPUTE_PGM_RSRC2:TIDIG_COMP_CNT: 0
	.section	.text._ZL31rocblas_trsm_small_right_deviceIddPKPKdPKPdLi8EEv13rocblas_fill_18rocblas_operation_17rocblas_diagonal_iiT0_T1_lilT2_lili,"axG",@progbits,_ZL31rocblas_trsm_small_right_deviceIddPKPKdPKPdLi8EEv13rocblas_fill_18rocblas_operation_17rocblas_diagonal_iiT0_T1_lilT2_lili,comdat
	.globl	_ZL31rocblas_trsm_small_right_deviceIddPKPKdPKPdLi8EEv13rocblas_fill_18rocblas_operation_17rocblas_diagonal_iiT0_T1_lilT2_lili ; -- Begin function _ZL31rocblas_trsm_small_right_deviceIddPKPKdPKPdLi8EEv13rocblas_fill_18rocblas_operation_17rocblas_diagonal_iiT0_T1_lilT2_lili
	.p2align	8
	.type	_ZL31rocblas_trsm_small_right_deviceIddPKPKdPKPdLi8EEv13rocblas_fill_18rocblas_operation_17rocblas_diagonal_iiT0_T1_lilT2_lili,@function
_ZL31rocblas_trsm_small_right_deviceIddPKPKdPKPdLi8EEv13rocblas_fill_18rocblas_operation_17rocblas_diagonal_iiT0_T1_lilT2_lili: ; @_ZL31rocblas_trsm_small_right_deviceIddPKPKdPKPdLi8EEv13rocblas_fill_18rocblas_operation_17rocblas_diagonal_iiT0_T1_lilT2_lili
; %bb.0:
	s_load_b32 s22, s[0:1], 0x60
	s_lshr_b32 s2, ttmp7, 16
	s_wait_kmcnt 0x0
	s_cmp_ge_u32 s2, s22
	s_cbranch_scc1 .LBB76_83
; %bb.1:
	s_clause 0x6
	s_load_b96 s[16:18], s[0:1], 0x28
	s_load_b32 s30, s[0:1], 0x50
	s_load_b128 s[12:15], s[0:1], 0x0
	s_load_b32 s23, s[0:1], 0x10
	s_load_b32 s3, s[0:1], 0x68
	s_load_b128 s[4:7], s[0:1], 0x18
	s_load_b128 s[8:11], s[0:1], 0x40
	s_mov_b32 s20, ttmp9
	v_dual_mov_b32 v5, 0x3ff00000 :: v_dual_lshlrev_b32 v10, 3, v0
	v_dual_mov_b32 v4, 0 :: v_dual_lshlrev_b32 v1, 6, v0
	v_lshlrev_b32_e32 v15, 3, v0
	s_delay_alu instid0(VALU_DEP_3) | instskip(NEXT) | instid1(VALU_DEP_3)
	v_or_b32_e32 v11, 0x200, v10
	v_add_nc_u32_e32 v14, v10, v1
	s_wait_kmcnt 0x0
	s_ashr_i32 s19, s18, 31
	s_ashr_i32 s31, s30, 31
	s_cmp_lg_u32 s12, 0x7a
	s_cselect_b32 s26, -1, 0
	s_min_i32 s1, s23, 8
	s_lshl_b32 s0, ttmp9, 3
	s_add_co_i32 s3, s3, -1
	s_add_co_i32 s24, s1, -1
	s_sub_co_i32 s0, s15, s0
	s_cmp_ge_u32 ttmp9, s3
	s_mul_i32 s34, s1, 0x48
	s_cselect_b32 s15, s0, 8
	s_ashr_i32 s21, ttmp9, 31
	v_cmp_gt_i32_e32 vcc_lo, s15, v0
	s_lshl_b64 s[20:21], s[20:21], 6
	s_cmp_eq_u32 s14, 0x84
	v_cmp_gt_i32_e64 s0, s1, v0
	s_cselect_b32 s25, -1, 0
	s_cmp_gt_i32 s23, 0
	s_mov_b32 s3, 0
	s_cselect_b32 s14, -1, 0
	s_cmp_lg_u32 s13, 0x6f
	s_cselect_b32 s13, -1, 0
	s_cmp_lg_u32 s12, 0x79
	s_cselect_b32 s12, -1, 0
	s_or_b32 s26, s26, s13
	s_or_b32 s27, s12, s13
	s_cmp_gt_i32 s23, 3
	v_cndmask_b32_e64 v12, 0, 1, s12
	s_cselect_b32 s28, -1, 0
	s_lshl_b32 s33, s1, 6
	s_lshl_b32 s36, s1, 3
	v_or_b32_e32 v2, s33, v10
	s_wait_alu 0xfffe
	s_and_b32 s29, vcc_lo, s14
	s_lshl_b64 s[12:13], s[18:19], 3
	s_lshl_b64 s[14:15], s[30:31], 3
	s_add_co_i32 s30, s34, 0xffffffa0
	v_add_nc_u32_e32 v13, 0x1c0, v2
	s_sub_co_i32 s31, s33, 64
	s_addk_co_i32 s33, 0xffb8
	s_addk_co_i32 s34, 0xfef8
	s_add_co_i32 s35, s36, -8
	s_addk_co_i32 s36, 0xffb8
	s_lshl_b64 s[16:17], s[16:17], 3
	s_lshl_b64 s[10:11], s[10:11], 3
	s_branch .LBB76_3
.LBB76_2:                               ;   in Loop: Header=BB76_3 Depth=1
	s_wait_alu 0xfffe
	s_or_b32 exec_lo, exec_lo, s18
	s_add_co_i32 s2, s2, 0x10000
	s_delay_alu instid0(SALU_CYCLE_1)
	s_cmp_lt_u32 s2, s22
	s_cbranch_scc0 .LBB76_83
.LBB76_3:                               ; =>This Loop Header: Depth=1
                                        ;     Child Loop BB76_5 Depth 2
                                        ;     Child Loop BB76_10 Depth 2
                                        ;     Child Loop BB76_16 Depth 2
                                        ;       Child Loop BB76_17 Depth 3
                                        ;     Child Loop BB76_23 Depth 2
                                        ;       Child Loop BB76_24 Depth 3
                                        ;     Child Loop BB76_28 Depth 2
	;; [unrolled: 2-line block ×3, first 2 shown]
                                        ;     Child Loop BB76_42 Depth 2
                                        ;       Child Loop BB76_43 Depth 3
                                        ;       Child Loop BB76_45 Depth 3
                                        ;     Child Loop BB76_49 Depth 2
                                        ;       Child Loop BB76_50 Depth 3
                                        ;     Child Loop BB76_58 Depth 2
                                        ;     Child Loop BB76_63 Depth 2
                                        ;       Child Loop BB76_64 Depth 3
                                        ;       Child Loop BB76_66 Depth 3
                                        ;     Child Loop BB76_71 Depth 2
                                        ;       Child Loop BB76_72 Depth 3
                                        ;     Child Loop BB76_78 Depth 2
                                        ;       Child Loop BB76_79 Depth 3
                                        ;     Child Loop BB76_82 Depth 2
	s_lshl_b64 s[18:19], s[2:3], 3
	s_wait_alu 0xfffe
	s_add_nc_u64 s[38:39], s[8:9], s[18:19]
	global_load_b64 v[0:1], v4, s[38:39]
	s_and_saveexec_b32 s37, s0
	s_cbranch_execz .LBB76_8
; %bb.4:                                ;   in Loop: Header=BB76_3 Depth=1
	s_add_nc_u64 s[18:19], s[6:7], s[18:19]
	v_mov_b32_e32 v6, v10
	global_load_b64 v[2:3], v4, s[18:19]
	s_mov_b32 s18, s1
	s_wait_loadcnt 0x0
	v_add_co_u32 v2, vcc_lo, v2, s16
	s_wait_alu 0xfffd
	v_add_co_ci_u32_e64 v3, null, s17, v3, vcc_lo
	s_delay_alu instid0(VALU_DEP_2) | instskip(SKIP_1) | instid1(VALU_DEP_2)
	v_add_co_u32 v2, vcc_lo, v2, v15
	s_wait_alu 0xfffd
	v_add_co_ci_u32_e64 v3, null, 0, v3, vcc_lo
.LBB76_5:                               ;   Parent Loop BB76_3 Depth=1
                                        ; =>  This Inner Loop Header: Depth=2
	flat_load_b64 v[7:8], v[2:3]
	s_wait_alu 0xfffe
	v_add_co_u32 v2, vcc_lo, v2, s12
	s_wait_alu 0xfffd
	v_add_co_ci_u32_e64 v3, null, s13, v3, vcc_lo
	s_add_co_i32 s18, s18, -1
	s_wait_alu 0xfffe
	s_cmp_eq_u32 s18, 0
	s_wait_loadcnt_dscnt 0x0
	ds_store_b64 v6, v[7:8]
	v_add_nc_u32_e32 v6, 64, v6
	s_cbranch_scc0 .LBB76_5
; %bb.6:                                ;   in Loop: Header=BB76_3 Depth=1
	s_and_b32 vcc_lo, exec_lo, s25
	s_wait_alu 0xfffe
	s_cbranch_vccz .LBB76_8
; %bb.7:                                ;   in Loop: Header=BB76_3 Depth=1
	ds_store_b64 v14, v[4:5]
.LBB76_8:                               ;   in Loop: Header=BB76_3 Depth=1
	s_wait_alu 0xfffe
	s_or_b32 exec_lo, exec_lo, s37
	s_wait_loadcnt 0x0
	v_add_co_u32 v0, vcc_lo, v0, s10
	s_wait_alu 0xfffd
	v_add_co_ci_u32_e64 v1, null, s11, v1, vcc_lo
	s_delay_alu instid0(VALU_DEP_2) | instskip(SKIP_1) | instid1(VALU_DEP_2)
	v_add_co_u32 v16, vcc_lo, v0, s20
	s_wait_alu 0xfffd
	v_add_co_ci_u32_e64 v17, null, s21, v1, vcc_lo
	s_and_saveexec_b32 s18, s29
	s_cbranch_execz .LBB76_11
; %bb.9:                                ;   in Loop: Header=BB76_3 Depth=1
	v_add_co_u32 v0, vcc_lo, v16, v15
	s_wait_alu 0xfffd
	v_add_co_ci_u32_e64 v1, null, 0, v17, vcc_lo
	v_mov_b32_e32 v2, v11
	s_mov_b32 s19, s23
.LBB76_10:                              ;   Parent Loop BB76_3 Depth=1
                                        ; =>  This Inner Loop Header: Depth=2
	flat_load_b64 v[6:7], v[0:1]
	s_wait_alu 0xfffe
	v_add_co_u32 v0, vcc_lo, v0, s14
	s_wait_alu 0xfffd
	v_add_co_ci_u32_e64 v1, null, s15, v1, vcc_lo
	s_add_co_i32 s19, s19, -1
	s_wait_alu 0xfffe
	s_cmp_lg_u32 s19, 0
	s_wait_loadcnt_dscnt 0x0
	v_mul_f64_e32 v[6:7], s[4:5], v[6:7]
	ds_store_b64 v2, v[6:7]
	v_add_nc_u32_e32 v2, 64, v2
	s_cbranch_scc1 .LBB76_10
.LBB76_11:                              ;   in Loop: Header=BB76_3 Depth=1
	s_wait_alu 0xfffe
	s_or_b32 exec_lo, exec_lo, s18
	s_delay_alu instid0(SALU_CYCLE_1)
	s_and_b32 vcc_lo, exec_lo, s27
	s_mov_b32 s18, -1
	s_wait_dscnt 0x0
	; wave barrier
	global_inv scope:SCOPE_SE
	s_wait_alu 0xfffe
	s_cbranch_vccz .LBB76_68
; %bb.12:                               ;   in Loop: Header=BB76_3 Depth=1
	s_and_b32 vcc_lo, exec_lo, s26
	s_wait_alu 0xfffe
	s_cbranch_vccz .LBB76_47
; %bb.13:                               ;   in Loop: Header=BB76_3 Depth=1
	v_cmp_ne_u32_e32 vcc_lo, 1, v12
	s_cbranch_vccnz .LBB76_26
; %bb.14:                               ;   in Loop: Header=BB76_3 Depth=1
	s_and_not1_b32 vcc_lo, exec_lo, s28
	s_mov_b32 s37, 0
	s_wait_alu 0xfffe
	s_cbranch_vccnz .LBB76_20
; %bb.15:                               ;   in Loop: Header=BB76_3 Depth=1
	s_mov_b32 s18, 0
	s_mov_b32 s19, 0
.LBB76_16:                              ;   Parent Loop BB76_3 Depth=1
                                        ; =>  This Loop Header: Depth=2
                                        ;       Child Loop BB76_17 Depth 3
	s_wait_alu 0xfffe
	s_lshl_b32 s39, s19, 6
	s_or_b32 s38, s19, 1
	s_wait_alu 0xfffe
	v_dual_mov_b32 v21, v11 :: v_dual_add_nc_u32 v18, s39, v11
	s_or_b32 s37, s39, 0xc0
	v_lshl_add_u32 v20, s38, 6, v11
	s_wait_alu 0xfffe
	v_add_nc_u32_e32 v19, s37, v11
	ds_load_2addr_b64 v[0:3], v18 offset1:16
	ds_load_b64 v[8:9], v20
	ds_load_b64 v[6:7], v19
	s_cmp_eq_u32 s19, 0
	s_mov_b32 s37, s18
	s_mov_b32 s40, s19
	s_cbranch_scc1 .LBB76_18
.LBB76_17:                              ;   Parent Loop BB76_3 Depth=1
                                        ;     Parent Loop BB76_16 Depth=2
                                        ; =>    This Inner Loop Header: Depth=3
	s_wait_alu 0xfffe
	v_mov_b32_e32 v26, s37
	s_add_co_i32 s40, s40, -1
	s_add_co_i32 s37, s37, 64
	s_wait_alu 0xfffe
	s_cmp_eq_u32 s40, 0
	ds_load_b64 v[30:31], v21
	ds_load_b128 v[22:25], v26
	ds_load_b128 v[26:29], v26 offset:16
	v_add_nc_u32_e32 v21, 64, v21
	s_wait_dscnt 0x1
	v_fma_f64 v[0:1], -v[30:31], v[22:23], v[0:1]
	v_fma_f64 v[8:9], -v[30:31], v[24:25], v[8:9]
	s_wait_dscnt 0x0
	v_fma_f64 v[2:3], -v[30:31], v[26:27], v[2:3]
	v_fma_f64 v[6:7], -v[30:31], v[28:29], v[6:7]
	s_cbranch_scc0 .LBB76_17
.LBB76_18:                              ;   in Loop: Header=BB76_16 Depth=2
	s_lshl_b32 s37, s19, 3
	s_lshl_b32 s38, s38, 3
	s_wait_alu 0xfffe
	s_add_co_i32 s39, s37, s39
	s_wait_alu 0xfffe
	v_dual_mov_b32 v22, s39 :: v_dual_add_nc_u32 v21, 0x80, v18
	s_sub_co_i32 s39, s39, s37
	s_add_co_i32 s18, s18, 32
	s_wait_alu 0xfffe
	s_add_co_i32 s39, s39, s37
	s_wait_alu 0xfffe
	v_mov_b32_e32 v42, s39
	ds_load_b128 v[22:25], v22
	s_addk_co_i32 s39, 0x48
	s_wait_alu 0xfffe
	s_sub_co_i32 s38, s39, s38
	ds_load_b128 v[26:29], v42 offset:16
	s_wait_alu 0xfffe
	s_add_co_i32 s37, s38, s37
	s_wait_dscnt 0x1
	v_div_scale_f64 v[30:31], null, v[22:23], v[22:23], v[0:1]
	v_div_scale_f64 v[36:37], vcc_lo, v[0:1], v[22:23], v[0:1]
	s_delay_alu instid0(VALU_DEP_2) | instskip(NEXT) | instid1(TRANS32_DEP_1)
	v_rcp_f64_e32 v[32:33], v[30:31]
	v_fma_f64 v[34:35], -v[30:31], v[32:33], 1.0
	s_delay_alu instid0(VALU_DEP_1) | instskip(NEXT) | instid1(VALU_DEP_1)
	v_fma_f64 v[32:33], v[32:33], v[34:35], v[32:33]
	v_fma_f64 v[34:35], -v[30:31], v[32:33], 1.0
	s_delay_alu instid0(VALU_DEP_1) | instskip(NEXT) | instid1(VALU_DEP_1)
	v_fma_f64 v[32:33], v[32:33], v[34:35], v[32:33]
	v_mul_f64_e32 v[34:35], v[36:37], v[32:33]
	s_delay_alu instid0(VALU_DEP_1) | instskip(SKIP_1) | instid1(VALU_DEP_1)
	v_fma_f64 v[30:31], -v[30:31], v[34:35], v[36:37]
	s_wait_alu 0xfffd
	v_div_fmas_f64 v[30:31], v[30:31], v[32:33], v[34:35]
	s_delay_alu instid0(VALU_DEP_1) | instskip(NEXT) | instid1(VALU_DEP_1)
	v_div_fixup_f64 v[0:1], v[30:31], v[22:23], v[0:1]
	v_fma_f64 v[8:9], -v[0:1], v[24:25], v[8:9]
	ds_load_2addr_b64 v[22:25], v42 offset0:9 offset1:10
	ds_load_b128 v[30:33], v42 offset:144
	s_wait_dscnt 0x2
	v_fma_f64 v[2:3], -v[0:1], v[26:27], v[2:3]
	v_fma_f64 v[6:7], -v[0:1], v[28:29], v[6:7]
	s_wait_dscnt 0x1
	v_div_scale_f64 v[34:35], null, v[22:23], v[22:23], v[8:9]
	v_div_scale_f64 v[40:41], vcc_lo, v[8:9], v[22:23], v[8:9]
	s_delay_alu instid0(VALU_DEP_2) | instskip(NEXT) | instid1(TRANS32_DEP_1)
	v_rcp_f64_e32 v[36:37], v[34:35]
	v_fma_f64 v[38:39], -v[34:35], v[36:37], 1.0
	s_delay_alu instid0(VALU_DEP_1) | instskip(NEXT) | instid1(VALU_DEP_1)
	v_fma_f64 v[36:37], v[36:37], v[38:39], v[36:37]
	v_fma_f64 v[38:39], -v[34:35], v[36:37], 1.0
	s_delay_alu instid0(VALU_DEP_1) | instskip(NEXT) | instid1(VALU_DEP_1)
	v_fma_f64 v[36:37], v[36:37], v[38:39], v[36:37]
	v_mul_f64_e32 v[38:39], v[40:41], v[36:37]
	s_delay_alu instid0(VALU_DEP_1) | instskip(SKIP_1) | instid1(VALU_DEP_1)
	v_fma_f64 v[34:35], -v[34:35], v[38:39], v[40:41]
	s_wait_alu 0xfffd
	v_div_fmas_f64 v[34:35], v[34:35], v[36:37], v[38:39]
	s_delay_alu instid0(VALU_DEP_1) | instskip(NEXT) | instid1(VALU_DEP_1)
	v_div_fixup_f64 v[8:9], v[34:35], v[22:23], v[8:9]
	v_fma_f64 v[2:3], -v[8:9], v[24:25], v[2:3]
	s_wait_dscnt 0x0
	s_delay_alu instid0(VALU_DEP_1) | instskip(SKIP_1) | instid1(VALU_DEP_2)
	v_div_scale_f64 v[22:23], null, v[30:31], v[30:31], v[2:3]
	v_div_scale_f64 v[34:35], vcc_lo, v[2:3], v[30:31], v[2:3]
	v_rcp_f64_e32 v[24:25], v[22:23]
	s_delay_alu instid0(TRANS32_DEP_1) | instskip(NEXT) | instid1(VALU_DEP_1)
	v_fma_f64 v[26:27], -v[22:23], v[24:25], 1.0
	v_fma_f64 v[24:25], v[24:25], v[26:27], v[24:25]
	s_delay_alu instid0(VALU_DEP_1) | instskip(NEXT) | instid1(VALU_DEP_1)
	v_fma_f64 v[26:27], -v[22:23], v[24:25], 1.0
	v_fma_f64 v[24:25], v[24:25], v[26:27], v[24:25]
	s_delay_alu instid0(VALU_DEP_1) | instskip(NEXT) | instid1(VALU_DEP_1)
	v_mul_f64_e32 v[26:27], v[34:35], v[24:25]
	v_fma_f64 v[22:23], -v[22:23], v[26:27], v[34:35]
	s_wait_alu 0xfffd
	s_delay_alu instid0(VALU_DEP_1)
	v_div_fmas_f64 v[22:23], v[22:23], v[24:25], v[26:27]
	s_wait_alu 0xfffe
	v_mov_b32_e32 v24, s37
	s_add_co_i32 s37, s19, 4
	s_add_co_i32 s19, s19, 7
	ds_load_b64 v[24:25], v24 offset:24
	ds_load_b64 v[26:27], v42 offset:216
	s_wait_alu 0xfffe
	s_cmp_ge_i32 s19, s1
	s_wait_dscnt 0x1
	v_fma_f64 v[6:7], -v[8:9], v[24:25], v[6:7]
	v_div_fixup_f64 v[2:3], v[22:23], v[30:31], v[2:3]
	s_delay_alu instid0(VALU_DEP_1) | instskip(SKIP_1) | instid1(VALU_DEP_1)
	v_fma_f64 v[6:7], -v[2:3], v[32:33], v[6:7]
	s_wait_dscnt 0x0
	v_div_scale_f64 v[22:23], null, v[26:27], v[26:27], v[6:7]
	s_delay_alu instid0(VALU_DEP_1) | instskip(NEXT) | instid1(TRANS32_DEP_1)
	v_rcp_f64_e32 v[24:25], v[22:23]
	v_fma_f64 v[28:29], -v[22:23], v[24:25], 1.0
	s_delay_alu instid0(VALU_DEP_1) | instskip(NEXT) | instid1(VALU_DEP_1)
	v_fma_f64 v[24:25], v[24:25], v[28:29], v[24:25]
	v_fma_f64 v[28:29], -v[22:23], v[24:25], 1.0
	s_delay_alu instid0(VALU_DEP_1) | instskip(SKIP_1) | instid1(VALU_DEP_1)
	v_fma_f64 v[24:25], v[24:25], v[28:29], v[24:25]
	v_div_scale_f64 v[28:29], vcc_lo, v[6:7], v[26:27], v[6:7]
	v_mul_f64_e32 v[30:31], v[28:29], v[24:25]
	s_delay_alu instid0(VALU_DEP_1) | instskip(SKIP_1) | instid1(VALU_DEP_1)
	v_fma_f64 v[22:23], -v[22:23], v[30:31], v[28:29]
	s_wait_alu 0xfffd
	v_div_fmas_f64 v[22:23], v[22:23], v[24:25], v[30:31]
	s_delay_alu instid0(VALU_DEP_1)
	v_div_fixup_f64 v[6:7], v[22:23], v[26:27], v[6:7]
	ds_store_b64 v18, v[0:1]
	ds_store_b64 v20, v[8:9]
	;; [unrolled: 1-line block ×4, first 2 shown]
	s_cbranch_scc1 .LBB76_20
; %bb.19:                               ;   in Loop: Header=BB76_16 Depth=2
	s_mov_b32 s19, s37
	s_branch .LBB76_16
.LBB76_20:                              ;   in Loop: Header=BB76_3 Depth=1
	s_wait_alu 0xfffe
	s_cmp_ge_i32 s37, s1
	s_cbranch_scc1 .LBB76_25
; %bb.21:                               ;   in Loop: Header=BB76_3 Depth=1
	s_lshl_b32 s18, s37, 3
	s_branch .LBB76_23
.LBB76_22:                              ;   in Loop: Header=BB76_23 Depth=2
	s_lshl_b32 s38, s37, 3
	s_add_co_i32 s37, s37, 1
	s_wait_alu 0xfffe
	s_add_co_i32 s19, s38, s19
	s_add_co_i32 s18, s18, 8
	s_wait_alu 0xfffe
	v_mov_b32_e32 v3, s19
	s_cmp_ge_i32 s37, s1
	ds_load_b64 v[6:7], v3
	s_wait_dscnt 0x0
	v_div_scale_f64 v[8:9], null, v[6:7], v[6:7], v[0:1]
	s_delay_alu instid0(VALU_DEP_1) | instskip(NEXT) | instid1(TRANS32_DEP_1)
	v_rcp_f64_e32 v[18:19], v[8:9]
	v_fma_f64 v[20:21], -v[8:9], v[18:19], 1.0
	s_delay_alu instid0(VALU_DEP_1) | instskip(NEXT) | instid1(VALU_DEP_1)
	v_fma_f64 v[18:19], v[18:19], v[20:21], v[18:19]
	v_fma_f64 v[20:21], -v[8:9], v[18:19], 1.0
	s_delay_alu instid0(VALU_DEP_1) | instskip(SKIP_1) | instid1(VALU_DEP_1)
	v_fma_f64 v[18:19], v[18:19], v[20:21], v[18:19]
	v_div_scale_f64 v[20:21], vcc_lo, v[0:1], v[6:7], v[0:1]
	v_mul_f64_e32 v[22:23], v[20:21], v[18:19]
	s_delay_alu instid0(VALU_DEP_1) | instskip(SKIP_1) | instid1(VALU_DEP_1)
	v_fma_f64 v[8:9], -v[8:9], v[22:23], v[20:21]
	s_wait_alu 0xfffd
	v_div_fmas_f64 v[8:9], v[8:9], v[18:19], v[22:23]
	s_delay_alu instid0(VALU_DEP_1)
	v_div_fixup_f64 v[0:1], v[8:9], v[6:7], v[0:1]
	ds_store_b64 v2, v[0:1]
	s_cbranch_scc1 .LBB76_25
.LBB76_23:                              ;   Parent Loop BB76_3 Depth=1
                                        ; =>  This Loop Header: Depth=2
                                        ;       Child Loop BB76_24 Depth 3
	s_lshl_b32 s19, s37, 6
	s_cmp_eq_u32 s37, 0
	s_wait_alu 0xfffe
	v_dual_mov_b32 v3, v11 :: v_dual_add_nc_u32 v2, s19, v11
	s_mov_b32 s38, s18
	s_mov_b32 s39, s37
	ds_load_b64 v[0:1], v2
	s_cbranch_scc1 .LBB76_22
.LBB76_24:                              ;   Parent Loop BB76_3 Depth=1
                                        ;     Parent Loop BB76_23 Depth=2
                                        ; =>    This Inner Loop Header: Depth=3
	s_wait_alu 0xfffe
	v_mov_b32_e32 v8, s38
	s_add_co_i32 s39, s39, -1
	s_add_co_i32 s38, s38, 64
	s_wait_alu 0xfffe
	s_cmp_eq_u32 s39, 0
	ds_load_b64 v[6:7], v3
	ds_load_b64 v[8:9], v8
	v_add_nc_u32_e32 v3, 64, v3
	s_wait_dscnt 0x0
	v_fma_f64 v[0:1], -v[6:7], v[8:9], v[0:1]
	s_cbranch_scc0 .LBB76_24
	s_branch .LBB76_22
.LBB76_25:                              ;   in Loop: Header=BB76_3 Depth=1
	s_mov_b32 s18, 0
.LBB76_26:                              ;   in Loop: Header=BB76_3 Depth=1
	s_wait_alu 0xfffe
	s_and_b32 vcc_lo, exec_lo, s18
	s_wait_alu 0xfffe
	s_cbranch_vccz .LBB76_46
; %bb.27:                               ;   in Loop: Header=BB76_3 Depth=1
	s_mov_b32 s37, s24
	s_and_not1_b32 vcc_lo, exec_lo, s28
	s_mov_b32 s18, s30
	s_mov_b32 s19, s24
	s_wait_alu 0xfffe
	s_cbranch_vccnz .LBB76_33
.LBB76_28:                              ;   Parent Loop BB76_3 Depth=1
                                        ; =>  This Loop Header: Depth=2
                                        ;       Child Loop BB76_29 Depth 3
	s_wait_alu 0xfffe
	s_add_co_i32 s40, s19, -1
	s_add_co_i32 s39, s19, -3
	v_lshl_add_u32 v18, s19, 6, v11
	s_add_co_i32 s38, s19, -2
	s_wait_alu 0xfffe
	v_lshl_add_u32 v19, s40, 6, v11
	s_lshl_b32 s37, s39, 6
	v_lshl_add_u32 v20, s38, 6, v11
	s_wait_alu 0xfffe
	v_dual_mov_b32 v22, v13 :: v_dual_add_nc_u32 v21, s37, v11
	ds_load_b64 v[8:9], v18
	ds_load_b64 v[6:7], v19
	;; [unrolled: 1-line block ×4, first 2 shown]
	s_cmp_le_i32 s24, s19
	s_mov_b32 s41, s18
	s_mov_b32 s42, s24
	s_cbranch_scc1 .LBB76_30
.LBB76_29:                              ;   Parent Loop BB76_3 Depth=1
                                        ;     Parent Loop BB76_28 Depth=2
                                        ; =>    This Inner Loop Header: Depth=3
	s_wait_alu 0xfffe
	v_mov_b32_e32 v27, s41
	s_add_co_i32 s42, s42, -1
	s_sub_co_i32 s41, s41, 64
	s_cmp_le_i32 s42, s19
	ds_load_b64 v[31:32], v22
	ds_load_2addr_b64 v[23:26], v27 offset0:2 offset1:3
	ds_load_2addr_b64 v[27:30], v27 offset1:1
	v_subrev_nc_u32_e32 v22, 64, v22
	s_wait_dscnt 0x1
	v_fma_f64 v[8:9], -v[31:32], v[25:26], v[8:9]
	v_fma_f64 v[6:7], -v[31:32], v[23:24], v[6:7]
	s_wait_dscnt 0x0
	v_fma_f64 v[2:3], -v[31:32], v[29:30], v[2:3]
	v_fma_f64 v[0:1], -v[31:32], v[27:28], v[0:1]
	s_cbranch_scc0 .LBB76_29
.LBB76_30:                              ;   in Loop: Header=BB76_28 Depth=2
	s_lshl_b32 s42, s40, 3
	s_lshl_b32 s41, s38, 3
; %bb.31:                               ;   in Loop: Header=BB76_28 Depth=2
	s_lshl_b32 s43, s19, 3
	s_lshl_b32 s44, s19, 6
	;; [unrolled: 1-line block ×3, first 2 shown]
	s_wait_alu 0xfffe
	s_add_co_i32 s44, s43, s44
	s_add_co_i32 s40, s43, s40
	s_wait_alu 0xfffe
	s_add_co_i32 s45, s44, -8
	s_add_co_i32 s40, s40, -8
	s_wait_alu 0xfffe
	v_mov_b32_e32 v22, s45
	v_mov_b32_e32 v26, s40
	s_sub_co_i32 s44, s44, 24
	s_lshl_b32 s39, s39, 3
	s_sub_co_i32 s40, s40, s42
	ds_load_2addr_b64 v[22:25], v22 offset1:1
	ds_load_b64 v[26:27], v26
	s_wait_alu 0xfffe
	s_add_co_i32 s40, s40, s39
	s_lshl_b32 s38, s38, 6
	s_sub_co_i32 s18, s18, 32
	s_wait_alu 0xfffe
	s_add_co_i32 s38, s43, s38
	s_add_co_i32 s43, s43, s37
	s_wait_alu 0xfffe
	s_sub_co_i32 s38, s38, s41
	s_sub_co_i32 s37, s43, 24
	s_wait_alu 0xfffe
	s_add_co_i32 s38, s38, s39
	s_wait_alu 0xfffe
	s_add_co_i32 s38, s38, -16
	s_wait_dscnt 0x1
	v_div_scale_f64 v[28:29], null, v[24:25], v[24:25], v[8:9]
	v_div_scale_f64 v[34:35], vcc_lo, v[8:9], v[24:25], v[8:9]
	s_delay_alu instid0(VALU_DEP_2) | instskip(NEXT) | instid1(TRANS32_DEP_1)
	v_rcp_f64_e32 v[30:31], v[28:29]
	v_fma_f64 v[32:33], -v[28:29], v[30:31], 1.0
	s_delay_alu instid0(VALU_DEP_1) | instskip(NEXT) | instid1(VALU_DEP_1)
	v_fma_f64 v[30:31], v[30:31], v[32:33], v[30:31]
	v_fma_f64 v[32:33], -v[28:29], v[30:31], 1.0
	s_delay_alu instid0(VALU_DEP_1) | instskip(NEXT) | instid1(VALU_DEP_1)
	v_fma_f64 v[30:31], v[30:31], v[32:33], v[30:31]
	v_mul_f64_e32 v[32:33], v[34:35], v[30:31]
	s_delay_alu instid0(VALU_DEP_1) | instskip(SKIP_1) | instid1(VALU_DEP_1)
	v_fma_f64 v[28:29], -v[28:29], v[32:33], v[34:35]
	s_wait_alu 0xfffd
	v_div_fmas_f64 v[28:29], v[28:29], v[30:31], v[32:33]
	s_delay_alu instid0(VALU_DEP_1) | instskip(NEXT) | instid1(VALU_DEP_1)
	v_div_fixup_f64 v[28:29], v[28:29], v[24:25], v[8:9]
	v_fma_f64 v[30:31], -v[28:29], v[22:23], v[6:7]
	s_wait_dscnt 0x0
	s_delay_alu instid0(VALU_DEP_1) | instskip(SKIP_1) | instid1(VALU_DEP_2)
	v_div_scale_f64 v[6:7], null, v[26:27], v[26:27], v[30:31]
	v_div_scale_f64 v[24:25], vcc_lo, v[30:31], v[26:27], v[30:31]
	v_rcp_f64_e32 v[8:9], v[6:7]
	s_delay_alu instid0(TRANS32_DEP_1) | instskip(NEXT) | instid1(VALU_DEP_1)
	v_fma_f64 v[22:23], -v[6:7], v[8:9], 1.0
	v_fma_f64 v[8:9], v[8:9], v[22:23], v[8:9]
	s_delay_alu instid0(VALU_DEP_1) | instskip(NEXT) | instid1(VALU_DEP_1)
	v_fma_f64 v[22:23], -v[6:7], v[8:9], 1.0
	v_fma_f64 v[8:9], v[8:9], v[22:23], v[8:9]
	s_delay_alu instid0(VALU_DEP_1) | instskip(NEXT) | instid1(VALU_DEP_1)
	v_mul_f64_e32 v[22:23], v[24:25], v[8:9]
	v_fma_f64 v[6:7], -v[6:7], v[22:23], v[24:25]
	s_wait_alu 0xfffd
	s_delay_alu instid0(VALU_DEP_1)
	v_div_fmas_f64 v[32:33], v[6:7], v[8:9], v[22:23]
	v_mov_b32_e32 v6, s44
	v_mov_b32_e32 v22, s40
	ds_load_2addr_b64 v[6:9], v6 offset1:1
	ds_load_2addr_b64 v[22:25], v22 offset1:1
	s_wait_dscnt 0x1
	v_fma_f64 v[2:3], -v[28:29], v[8:9], v[2:3]
	v_fma_f64 v[0:1], -v[28:29], v[6:7], v[0:1]
	v_div_fixup_f64 v[8:9], v[32:33], v[26:27], v[30:31]
	v_mov_b32_e32 v30, s37
	s_add_co_i32 s37, s19, -4
	s_cmp_lt_i32 s19, 7
	ds_load_b64 v[30:31], v30
	s_wait_dscnt 0x1
	v_fma_f64 v[2:3], -v[8:9], v[24:25], v[2:3]
	s_wait_alu 0xfffe
	v_mov_b32_e32 v24, s38
	v_fma_f64 v[0:1], -v[8:9], v[22:23], v[0:1]
	ds_load_2addr_b64 v[24:27], v24 offset1:1
	s_wait_dscnt 0x0
	v_div_scale_f64 v[32:33], null, v[26:27], v[26:27], v[2:3]
	v_div_scale_f64 v[38:39], vcc_lo, v[2:3], v[26:27], v[2:3]
	s_delay_alu instid0(VALU_DEP_2) | instskip(NEXT) | instid1(TRANS32_DEP_1)
	v_rcp_f64_e32 v[34:35], v[32:33]
	v_fma_f64 v[36:37], -v[32:33], v[34:35], 1.0
	s_delay_alu instid0(VALU_DEP_1) | instskip(NEXT) | instid1(VALU_DEP_1)
	v_fma_f64 v[34:35], v[34:35], v[36:37], v[34:35]
	v_fma_f64 v[36:37], -v[32:33], v[34:35], 1.0
	s_delay_alu instid0(VALU_DEP_1) | instskip(NEXT) | instid1(VALU_DEP_1)
	v_fma_f64 v[34:35], v[34:35], v[36:37], v[34:35]
	v_mul_f64_e32 v[36:37], v[38:39], v[34:35]
	s_delay_alu instid0(VALU_DEP_1) | instskip(SKIP_1) | instid1(VALU_DEP_1)
	v_fma_f64 v[32:33], -v[32:33], v[36:37], v[38:39]
	s_wait_alu 0xfffd
	v_div_fmas_f64 v[6:7], v[32:33], v[34:35], v[36:37]
	s_delay_alu instid0(VALU_DEP_1) | instskip(NEXT) | instid1(VALU_DEP_1)
	v_div_fixup_f64 v[2:3], v[6:7], v[26:27], v[2:3]
	v_fma_f64 v[0:1], -v[2:3], v[24:25], v[0:1]
	s_delay_alu instid0(VALU_DEP_1) | instskip(NEXT) | instid1(VALU_DEP_1)
	v_div_scale_f64 v[6:7], null, v[30:31], v[30:31], v[0:1]
	v_rcp_f64_e32 v[22:23], v[6:7]
	s_delay_alu instid0(TRANS32_DEP_1) | instskip(NEXT) | instid1(VALU_DEP_1)
	v_fma_f64 v[24:25], -v[6:7], v[22:23], 1.0
	v_fma_f64 v[22:23], v[22:23], v[24:25], v[22:23]
	s_delay_alu instid0(VALU_DEP_1) | instskip(NEXT) | instid1(VALU_DEP_1)
	v_fma_f64 v[24:25], -v[6:7], v[22:23], 1.0
	v_fma_f64 v[22:23], v[22:23], v[24:25], v[22:23]
	v_div_scale_f64 v[24:25], vcc_lo, v[0:1], v[30:31], v[0:1]
	s_delay_alu instid0(VALU_DEP_1) | instskip(NEXT) | instid1(VALU_DEP_1)
	v_mul_f64_e32 v[26:27], v[24:25], v[22:23]
	v_fma_f64 v[6:7], -v[6:7], v[26:27], v[24:25]
	s_wait_alu 0xfffd
	s_delay_alu instid0(VALU_DEP_1) | instskip(NEXT) | instid1(VALU_DEP_1)
	v_div_fmas_f64 v[6:7], v[6:7], v[22:23], v[26:27]
	v_div_fixup_f64 v[0:1], v[6:7], v[30:31], v[0:1]
	ds_store_b64 v18, v[28:29]
	ds_store_b64 v19, v[8:9]
	;; [unrolled: 1-line block ×4, first 2 shown]
	s_cbranch_scc1 .LBB76_33
; %bb.32:                               ;   in Loop: Header=BB76_28 Depth=2
	s_mov_b32 s19, s37
	s_branch .LBB76_28
.LBB76_33:                              ;   in Loop: Header=BB76_3 Depth=1
	s_cmp_lt_i32 s37, 0
	s_cbranch_scc1 .LBB76_46
; %bb.34:                               ;   in Loop: Header=BB76_3 Depth=1
	s_bitcmp1_b32 s37, 0
	s_cselect_b32 s18, -1, 0
	s_wait_alu 0xfffe
	s_and_b32 vcc_lo, exec_lo, s18
	s_mov_b32 s18, s37
	s_wait_alu 0xfffe
	s_cbranch_vccnz .LBB76_39
; %bb.35:                               ;   in Loop: Header=BB76_3 Depth=1
	s_lshl_b32 s18, s37, 6
	s_cmp_le_i32 s24, s37
	s_wait_alu 0xfffe
	v_add_nc_u32_e32 v2, s18, v11
	ds_load_b64 v[0:1], v2
	s_cbranch_scc1 .LBB76_38
; %bb.36:                               ;   in Loop: Header=BB76_3 Depth=1
	v_mov_b32_e32 v3, v13
	s_lshl_b32 s19, s37, 3
	s_mov_b32 s38, s24
	s_wait_alu 0xfffe
	s_add_co_i32 s19, s31, s19
.LBB76_37:                              ;   Parent Loop BB76_3 Depth=1
                                        ; =>  This Inner Loop Header: Depth=2
	s_wait_alu 0xfffe
	v_mov_b32_e32 v8, s19
	s_add_co_i32 s38, s38, -1
	s_sub_co_i32 s19, s19, 64
	s_wait_alu 0xfffe
	s_cmp_gt_i32 s38, s37
	ds_load_b64 v[6:7], v3
	ds_load_b64 v[8:9], v8
	v_subrev_nc_u32_e32 v3, 64, v3
	s_wait_dscnt 0x0
	v_fma_f64 v[0:1], -v[6:7], v[8:9], v[0:1]
	s_cbranch_scc1 .LBB76_37
.LBB76_38:                              ;   in Loop: Header=BB76_3 Depth=1
	s_lshl_b32 s19, s37, 3
	s_wait_alu 0xfffe
	s_add_co_i32 s18, s19, s18
	s_wait_alu 0xfffe
	v_mov_b32_e32 v3, s18
	s_add_co_i32 s18, s37, -1
	ds_load_b64 v[6:7], v3
	s_wait_dscnt 0x0
	v_div_scale_f64 v[8:9], null, v[6:7], v[6:7], v[0:1]
	s_delay_alu instid0(VALU_DEP_1) | instskip(NEXT) | instid1(TRANS32_DEP_1)
	v_rcp_f64_e32 v[18:19], v[8:9]
	v_fma_f64 v[20:21], -v[8:9], v[18:19], 1.0
	s_delay_alu instid0(VALU_DEP_1) | instskip(NEXT) | instid1(VALU_DEP_1)
	v_fma_f64 v[18:19], v[18:19], v[20:21], v[18:19]
	v_fma_f64 v[20:21], -v[8:9], v[18:19], 1.0
	s_delay_alu instid0(VALU_DEP_1) | instskip(SKIP_1) | instid1(VALU_DEP_1)
	v_fma_f64 v[18:19], v[18:19], v[20:21], v[18:19]
	v_div_scale_f64 v[20:21], vcc_lo, v[0:1], v[6:7], v[0:1]
	v_mul_f64_e32 v[22:23], v[20:21], v[18:19]
	s_delay_alu instid0(VALU_DEP_1) | instskip(SKIP_1) | instid1(VALU_DEP_1)
	v_fma_f64 v[8:9], -v[8:9], v[22:23], v[20:21]
	s_wait_alu 0xfffd
	v_div_fmas_f64 v[8:9], v[8:9], v[18:19], v[22:23]
	s_delay_alu instid0(VALU_DEP_1)
	v_div_fixup_f64 v[0:1], v[8:9], v[6:7], v[0:1]
	ds_store_b64 v2, v[0:1]
.LBB76_39:                              ;   in Loop: Header=BB76_3 Depth=1
	s_cmp_eq_u32 s37, 0
	s_cbranch_scc1 .LBB76_46
; %bb.40:                               ;   in Loop: Header=BB76_3 Depth=1
	s_wait_alu 0xfffe
	s_lshl_b32 s37, s18, 3
	s_wait_alu 0xfffe
	s_add_co_i32 s19, s31, s37
	s_add_co_i32 s37, s33, s37
	s_branch .LBB76_42
.LBB76_41:                              ;   in Loop: Header=BB76_42 Depth=2
	s_add_co_i32 s38, s38, s39
	s_add_co_i32 s19, s19, -16
	s_wait_alu 0xfffe
	s_add_co_i32 s38, s38, -8
	s_add_co_i32 s37, s37, -16
	s_wait_alu 0xfffe
	v_mov_b32_e32 v0, s38
	s_add_co_i32 s38, s18, -2
	s_cmp_lt_i32 s18, 2
	s_wait_alu 0xfffe
	s_mov_b32 s18, s38
	ds_load_b64 v[0:1], v0
	s_wait_dscnt 0x0
	v_div_scale_f64 v[8:9], null, v[0:1], v[0:1], v[2:3]
	s_delay_alu instid0(VALU_DEP_1) | instskip(NEXT) | instid1(TRANS32_DEP_1)
	v_rcp_f64_e32 v[18:19], v[8:9]
	v_fma_f64 v[20:21], -v[8:9], v[18:19], 1.0
	s_delay_alu instid0(VALU_DEP_1) | instskip(NEXT) | instid1(VALU_DEP_1)
	v_fma_f64 v[18:19], v[18:19], v[20:21], v[18:19]
	v_fma_f64 v[20:21], -v[8:9], v[18:19], 1.0
	s_delay_alu instid0(VALU_DEP_1) | instskip(SKIP_1) | instid1(VALU_DEP_1)
	v_fma_f64 v[18:19], v[18:19], v[20:21], v[18:19]
	v_div_scale_f64 v[20:21], vcc_lo, v[2:3], v[0:1], v[2:3]
	v_mul_f64_e32 v[22:23], v[20:21], v[18:19]
	s_delay_alu instid0(VALU_DEP_1) | instskip(SKIP_1) | instid1(VALU_DEP_1)
	v_fma_f64 v[8:9], -v[8:9], v[22:23], v[20:21]
	s_wait_alu 0xfffd
	v_div_fmas_f64 v[8:9], v[8:9], v[18:19], v[22:23]
	s_delay_alu instid0(VALU_DEP_1)
	v_div_fixup_f64 v[0:1], v[8:9], v[0:1], v[2:3]
	ds_store_b64 v7, v[0:1]
	s_cbranch_scc1 .LBB76_46
.LBB76_42:                              ;   Parent Loop BB76_3 Depth=1
                                        ; =>  This Loop Header: Depth=2
                                        ;       Child Loop BB76_43 Depth 3
                                        ;       Child Loop BB76_45 Depth 3
	s_wait_alu 0xfffe
	s_lshl_b32 s39, s18, 6
	v_mov_b32_e32 v2, v13
	s_wait_alu 0xfffe
	v_add_nc_u32_e32 v6, s39, v11
	s_cmp_le_i32 s24, s18
	s_mov_b32 s38, s19
	s_mov_b32 s40, s24
	ds_load_b64 v[0:1], v6
	s_cbranch_scc1 .LBB76_44
.LBB76_43:                              ;   Parent Loop BB76_3 Depth=1
                                        ;     Parent Loop BB76_42 Depth=2
                                        ; =>    This Inner Loop Header: Depth=3
	s_wait_alu 0xfffe
	v_mov_b32_e32 v3, s38
	s_add_co_i32 s40, s40, -1
	s_sub_co_i32 s38, s38, 64
	s_wait_alu 0xfffe
	s_cmp_le_i32 s40, s18
	ds_load_b64 v[7:8], v2
	ds_load_b64 v[18:19], v3
	v_subrev_nc_u32_e32 v2, 64, v2
	s_wait_dscnt 0x0
	v_fma_f64 v[0:1], -v[7:8], v[18:19], v[0:1]
	s_cbranch_scc0 .LBB76_43
.LBB76_44:                              ;   in Loop: Header=BB76_42 Depth=2
	s_lshl_b32 s38, s18, 3
	s_mov_b32 s41, s1
	s_wait_alu 0xfffe
	s_add_co_i32 s40, s38, s39
	s_sub_co_i32 s39, s39, 64
	s_wait_alu 0xfffe
	v_dual_mov_b32 v2, s40 :: v_dual_add_nc_u32 v7, s39, v11
	s_cmp_le_i32 s1, s18
	s_mov_b32 s40, s37
	ds_load_b64 v[8:9], v2
	ds_load_b64 v[2:3], v7
	s_wait_dscnt 0x1
	v_div_scale_f64 v[18:19], null, v[8:9], v[8:9], v[0:1]
	s_delay_alu instid0(VALU_DEP_1) | instskip(NEXT) | instid1(TRANS32_DEP_1)
	v_rcp_f64_e32 v[20:21], v[18:19]
	v_fma_f64 v[22:23], -v[18:19], v[20:21], 1.0
	s_delay_alu instid0(VALU_DEP_1) | instskip(NEXT) | instid1(VALU_DEP_1)
	v_fma_f64 v[20:21], v[20:21], v[22:23], v[20:21]
	v_fma_f64 v[22:23], -v[18:19], v[20:21], 1.0
	s_delay_alu instid0(VALU_DEP_1) | instskip(SKIP_1) | instid1(VALU_DEP_1)
	v_fma_f64 v[20:21], v[20:21], v[22:23], v[20:21]
	v_div_scale_f64 v[22:23], vcc_lo, v[0:1], v[8:9], v[0:1]
	v_mul_f64_e32 v[24:25], v[22:23], v[20:21]
	s_delay_alu instid0(VALU_DEP_1) | instskip(SKIP_1) | instid1(VALU_DEP_1)
	v_fma_f64 v[18:19], -v[18:19], v[24:25], v[22:23]
	s_wait_alu 0xfffd
	v_div_fmas_f64 v[18:19], v[18:19], v[20:21], v[24:25]
	s_delay_alu instid0(VALU_DEP_1)
	v_div_fixup_f64 v[8:9], v[18:19], v[8:9], v[0:1]
	v_mov_b32_e32 v0, v13
	ds_store_b64 v6, v[8:9]
	s_cbranch_scc1 .LBB76_41
.LBB76_45:                              ;   Parent Loop BB76_3 Depth=1
                                        ;     Parent Loop BB76_42 Depth=2
                                        ; =>    This Inner Loop Header: Depth=3
	s_wait_alu 0xfffe
	v_mov_b32_e32 v1, s40
	s_add_co_i32 s41, s41, -1
	s_sub_co_i32 s40, s40, 64
	s_wait_alu 0xfffe
	s_cmp_gt_i32 s41, s18
	ds_load_b64 v[8:9], v0
	ds_load_b64 v[18:19], v1
	v_subrev_nc_u32_e32 v0, 64, v0
	s_wait_dscnt 0x0
	v_fma_f64 v[2:3], -v[8:9], v[18:19], v[2:3]
	s_cbranch_scc1 .LBB76_45
	s_branch .LBB76_41
.LBB76_46:                              ;   in Loop: Header=BB76_3 Depth=1
	s_mov_b32 s18, 0
.LBB76_47:                              ;   in Loop: Header=BB76_3 Depth=1
	s_wait_alu 0xfffe
	s_and_not1_b32 vcc_lo, exec_lo, s18
	s_wait_alu 0xfffe
	s_cbranch_vccnz .LBB76_67
; %bb.48:                               ;   in Loop: Header=BB76_3 Depth=1
	s_mov_b32 s37, s24
	s_and_not1_b32 vcc_lo, exec_lo, s28
	s_mov_b32 s18, s34
	s_mov_b32 s19, s24
	s_wait_alu 0xfffe
	s_cbranch_vccnz .LBB76_54
.LBB76_49:                              ;   Parent Loop BB76_3 Depth=1
                                        ; =>  This Loop Header: Depth=2
                                        ;       Child Loop BB76_50 Depth 3
	s_wait_alu 0xfffe
	s_add_co_i32 s37, s19, -1
	v_lshl_add_u32 v18, s19, 6, v11
	s_add_co_i32 s38, s19, -2
	s_wait_alu 0xfffe
	v_lshl_add_u32 v19, s37, 6, v11
	s_add_co_i32 s39, s19, -3
	v_lshl_add_u32 v20, s38, 6, v11
	s_wait_alu 0xfffe
	v_lshl_add_u32 v21, s39, 6, v11
	ds_load_b64 v[8:9], v18
	ds_load_b64 v[6:7], v19
	;; [unrolled: 1-line block ×4, first 2 shown]
	v_mov_b32_e32 v22, v13
	s_cmp_le_i32 s24, s19
	s_mov_b32 s40, s18
	s_mov_b32 s41, s24
	s_cbranch_scc1 .LBB76_51
.LBB76_50:                              ;   Parent Loop BB76_3 Depth=1
                                        ;     Parent Loop BB76_49 Depth=2
                                        ; =>    This Inner Loop Header: Depth=3
	s_wait_alu 0xfffe
	v_mov_b32_e32 v27, s40
	s_add_co_i32 s41, s41, -1
	s_add_co_i32 s40, s40, -8
	s_wait_alu 0xfffe
	s_cmp_le_i32 s41, s19
	ds_load_b64 v[31:32], v22
	ds_load_2addr_b64 v[23:26], v27 offset0:16 offset1:24
	ds_load_2addr_b64 v[27:30], v27 offset1:8
	v_subrev_nc_u32_e32 v22, 64, v22
	s_wait_dscnt 0x1
	v_fma_f64 v[8:9], -v[31:32], v[25:26], v[8:9]
	v_fma_f64 v[6:7], -v[31:32], v[23:24], v[6:7]
	s_wait_dscnt 0x0
	v_fma_f64 v[2:3], -v[31:32], v[29:30], v[2:3]
	v_fma_f64 v[0:1], -v[31:32], v[27:28], v[0:1]
	s_cbranch_scc0 .LBB76_50
.LBB76_51:                              ;   in Loop: Header=BB76_49 Depth=2
	s_lshl_b32 s40, s37, 3
	s_lshl_b32 s38, s38, 3
	;; [unrolled: 1-line block ×3, first 2 shown]
; %bb.52:                               ;   in Loop: Header=BB76_49 Depth=2
	s_mul_i32 s39, s19, 0x48
	s_addk_co_i32 s18, 0xff00
	s_wait_alu 0xfffe
	v_mov_b32_e32 v22, s39
	s_lshl_b32 s39, s40, 3
	s_wait_alu 0xfffe
	s_add_co_i32 s39, s39, s40
	s_lshl_b32 s40, s19, 3
	ds_load_b64 v[26:27], v22
	s_wait_alu 0xfffe
	v_mov_b32_e32 v22, s39
	s_lshl_b32 s39, s38, 3
	s_wait_alu 0xfffe
	s_add_co_i32 s41, s39, s40
	s_add_co_i32 s38, s39, s38
	ds_load_2addr_b64 v[22:25], v22 offset1:1
	s_wait_dscnt 0x1
	v_div_scale_f64 v[28:29], null, v[26:27], v[26:27], v[8:9]
	v_div_scale_f64 v[34:35], vcc_lo, v[8:9], v[26:27], v[8:9]
	s_delay_alu instid0(VALU_DEP_2) | instskip(NEXT) | instid1(TRANS32_DEP_1)
	v_rcp_f64_e32 v[30:31], v[28:29]
	v_fma_f64 v[32:33], -v[28:29], v[30:31], 1.0
	s_delay_alu instid0(VALU_DEP_1) | instskip(NEXT) | instid1(VALU_DEP_1)
	v_fma_f64 v[30:31], v[30:31], v[32:33], v[30:31]
	v_fma_f64 v[32:33], -v[28:29], v[30:31], 1.0
	s_delay_alu instid0(VALU_DEP_1) | instskip(NEXT) | instid1(VALU_DEP_1)
	v_fma_f64 v[30:31], v[30:31], v[32:33], v[30:31]
	v_mul_f64_e32 v[32:33], v[34:35], v[30:31]
	s_delay_alu instid0(VALU_DEP_1) | instskip(SKIP_1) | instid1(VALU_DEP_1)
	v_fma_f64 v[28:29], -v[28:29], v[32:33], v[34:35]
	s_wait_alu 0xfffd
	v_div_fmas_f64 v[28:29], v[28:29], v[30:31], v[32:33]
	s_delay_alu instid0(VALU_DEP_1) | instskip(SKIP_1) | instid1(VALU_DEP_1)
	v_div_fixup_f64 v[30:31], v[28:29], v[26:27], v[8:9]
	s_wait_dscnt 0x0
	v_fma_f64 v[24:25], -v[30:31], v[24:25], v[6:7]
	s_delay_alu instid0(VALU_DEP_1) | instskip(SKIP_1) | instid1(VALU_DEP_2)
	v_div_scale_f64 v[6:7], null, v[22:23], v[22:23], v[24:25]
	v_div_scale_f64 v[28:29], vcc_lo, v[24:25], v[22:23], v[24:25]
	v_rcp_f64_e32 v[8:9], v[6:7]
	s_delay_alu instid0(TRANS32_DEP_1) | instskip(NEXT) | instid1(VALU_DEP_1)
	v_fma_f64 v[26:27], -v[6:7], v[8:9], 1.0
	v_fma_f64 v[8:9], v[8:9], v[26:27], v[8:9]
	s_delay_alu instid0(VALU_DEP_1) | instskip(NEXT) | instid1(VALU_DEP_1)
	v_fma_f64 v[26:27], -v[6:7], v[8:9], 1.0
	v_fma_f64 v[8:9], v[8:9], v[26:27], v[8:9]
	s_delay_alu instid0(VALU_DEP_1) | instskip(NEXT) | instid1(VALU_DEP_1)
	v_mul_f64_e32 v[26:27], v[28:29], v[8:9]
	v_fma_f64 v[6:7], -v[6:7], v[26:27], v[28:29]
	s_wait_alu 0xfffd
	s_delay_alu instid0(VALU_DEP_1)
	v_div_fmas_f64 v[26:27], v[6:7], v[8:9], v[26:27]
	s_wait_alu 0xfffe
	v_mov_b32_e32 v6, s41
	ds_load_b64 v[28:29], v6
	v_mov_b32_e32 v6, s38
	s_lshl_b32 s38, s37, 3
	s_wait_alu 0xfffe
	s_add_co_i32 s39, s38, s40
	s_add_co_i32 s37, s38, s37
	ds_load_2addr_b64 v[6:9], v6 offset1:1
	s_wait_alu 0xfffe
	s_add_co_i32 s39, s39, -8
	s_wait_dscnt 0x1
	v_fma_f64 v[2:3], -v[30:31], v[28:29], v[2:3]
	v_div_fixup_f64 v[32:33], v[26:27], v[22:23], v[24:25]
	s_wait_dscnt 0x0
	s_delay_alu instid0(VALU_DEP_1) | instskip(NEXT) | instid1(VALU_DEP_1)
	v_fma_f64 v[2:3], -v[32:33], v[8:9], v[2:3]
	v_div_scale_f64 v[8:9], null, v[6:7], v[6:7], v[2:3]
	v_div_scale_f64 v[26:27], vcc_lo, v[2:3], v[6:7], v[2:3]
	s_delay_alu instid0(VALU_DEP_2) | instskip(NEXT) | instid1(TRANS32_DEP_1)
	v_rcp_f64_e32 v[22:23], v[8:9]
	v_fma_f64 v[24:25], -v[8:9], v[22:23], 1.0
	s_delay_alu instid0(VALU_DEP_1) | instskip(NEXT) | instid1(VALU_DEP_1)
	v_fma_f64 v[22:23], v[22:23], v[24:25], v[22:23]
	v_fma_f64 v[24:25], -v[8:9], v[22:23], 1.0
	s_delay_alu instid0(VALU_DEP_1) | instskip(SKIP_4) | instid1(VALU_DEP_1)
	v_fma_f64 v[34:35], v[22:23], v[24:25], v[22:23]
	s_wait_alu 0xfffe
	v_mov_b32_e32 v22, s39
	ds_load_2addr_b64 v[22:25], v22 offset1:1
	v_mul_f64_e32 v[36:37], v[26:27], v[34:35]
	v_fma_f64 v[8:9], -v[8:9], v[36:37], v[26:27]
	v_mov_b32_e32 v26, s37
	s_add_co_i32 s37, s19, -4
	s_cmp_lt_i32 s19, 7
	ds_load_2addr_b64 v[26:29], v26 offset1:1
	s_wait_dscnt 0x1
	v_fma_f64 v[0:1], -v[30:31], v[24:25], v[0:1]
	s_wait_alu 0xfffd
	v_div_fmas_f64 v[8:9], v[8:9], v[34:35], v[36:37]
	s_delay_alu instid0(VALU_DEP_2) | instskip(NEXT) | instid1(VALU_DEP_2)
	v_fma_f64 v[0:1], -v[32:33], v[22:23], v[0:1]
	v_div_fixup_f64 v[2:3], v[8:9], v[6:7], v[2:3]
	s_wait_dscnt 0x0
	s_delay_alu instid0(VALU_DEP_1) | instskip(NEXT) | instid1(VALU_DEP_1)
	v_fma_f64 v[0:1], -v[2:3], v[28:29], v[0:1]
	v_div_scale_f64 v[6:7], null, v[26:27], v[26:27], v[0:1]
	s_delay_alu instid0(VALU_DEP_1) | instskip(NEXT) | instid1(TRANS32_DEP_1)
	v_rcp_f64_e32 v[8:9], v[6:7]
	v_fma_f64 v[22:23], -v[6:7], v[8:9], 1.0
	s_delay_alu instid0(VALU_DEP_1) | instskip(NEXT) | instid1(VALU_DEP_1)
	v_fma_f64 v[8:9], v[8:9], v[22:23], v[8:9]
	v_fma_f64 v[22:23], -v[6:7], v[8:9], 1.0
	s_delay_alu instid0(VALU_DEP_1) | instskip(SKIP_1) | instid1(VALU_DEP_1)
	v_fma_f64 v[8:9], v[8:9], v[22:23], v[8:9]
	v_div_scale_f64 v[22:23], vcc_lo, v[0:1], v[26:27], v[0:1]
	v_mul_f64_e32 v[24:25], v[22:23], v[8:9]
	s_delay_alu instid0(VALU_DEP_1) | instskip(SKIP_1) | instid1(VALU_DEP_1)
	v_fma_f64 v[6:7], -v[6:7], v[24:25], v[22:23]
	s_wait_alu 0xfffd
	v_div_fmas_f64 v[6:7], v[6:7], v[8:9], v[24:25]
	s_delay_alu instid0(VALU_DEP_1)
	v_div_fixup_f64 v[0:1], v[6:7], v[26:27], v[0:1]
	ds_store_b64 v18, v[30:31]
	ds_store_b64 v19, v[32:33]
	;; [unrolled: 1-line block ×4, first 2 shown]
	s_cbranch_scc1 .LBB76_54
; %bb.53:                               ;   in Loop: Header=BB76_49 Depth=2
	s_wait_alu 0xfffe
	s_mov_b32 s19, s37
	s_branch .LBB76_49
.LBB76_54:                              ;   in Loop: Header=BB76_3 Depth=1
	s_wait_alu 0xfffe
	s_cmp_lt_i32 s37, 0
	s_cbranch_scc1 .LBB76_67
; %bb.55:                               ;   in Loop: Header=BB76_3 Depth=1
	s_bitcmp1_b32 s37, 0
	s_cselect_b32 s18, -1, 0
	s_wait_alu 0xfffe
	s_and_b32 vcc_lo, exec_lo, s18
	s_mov_b32 s18, s37
	s_wait_alu 0xfffe
	s_cbranch_vccnz .LBB76_60
; %bb.56:                               ;   in Loop: Header=BB76_3 Depth=1
	v_lshl_add_u32 v2, s37, 6, v11
	s_cmp_le_i32 s24, s37
	ds_load_b64 v[0:1], v2
	s_cbranch_scc1 .LBB76_59
; %bb.57:                               ;   in Loop: Header=BB76_3 Depth=1
	v_mov_b32_e32 v3, v13
	s_lshl_b32 s18, s37, 6
	s_mov_b32 s19, s24
	s_wait_alu 0xfffe
	s_add_co_i32 s18, s35, s18
.LBB76_58:                              ;   Parent Loop BB76_3 Depth=1
                                        ; =>  This Inner Loop Header: Depth=2
	s_wait_alu 0xfffe
	v_mov_b32_e32 v8, s18
	s_add_co_i32 s19, s19, -1
	s_add_co_i32 s18, s18, -8
	s_wait_alu 0xfffe
	s_cmp_gt_u32 s19, s37
	ds_load_b64 v[6:7], v3
	ds_load_b64 v[8:9], v8
	v_subrev_nc_u32_e32 v3, 64, v3
	s_wait_dscnt 0x0
	v_fma_f64 v[0:1], -v[6:7], v[8:9], v[0:1]
	s_cbranch_scc1 .LBB76_58
.LBB76_59:                              ;   in Loop: Header=BB76_3 Depth=1
	s_mul_i32 s18, s37, 0x48
	s_wait_alu 0xfffe
	v_mov_b32_e32 v3, s18
	s_add_co_i32 s18, s37, -1
	ds_load_b64 v[6:7], v3
	s_wait_dscnt 0x0
	v_div_scale_f64 v[8:9], null, v[6:7], v[6:7], v[0:1]
	s_delay_alu instid0(VALU_DEP_1) | instskip(NEXT) | instid1(TRANS32_DEP_1)
	v_rcp_f64_e32 v[18:19], v[8:9]
	v_fma_f64 v[20:21], -v[8:9], v[18:19], 1.0
	s_delay_alu instid0(VALU_DEP_1) | instskip(NEXT) | instid1(VALU_DEP_1)
	v_fma_f64 v[18:19], v[18:19], v[20:21], v[18:19]
	v_fma_f64 v[20:21], -v[8:9], v[18:19], 1.0
	s_delay_alu instid0(VALU_DEP_1) | instskip(SKIP_1) | instid1(VALU_DEP_1)
	v_fma_f64 v[18:19], v[18:19], v[20:21], v[18:19]
	v_div_scale_f64 v[20:21], vcc_lo, v[0:1], v[6:7], v[0:1]
	v_mul_f64_e32 v[22:23], v[20:21], v[18:19]
	s_delay_alu instid0(VALU_DEP_1) | instskip(SKIP_1) | instid1(VALU_DEP_1)
	v_fma_f64 v[8:9], -v[8:9], v[22:23], v[20:21]
	s_wait_alu 0xfffd
	v_div_fmas_f64 v[8:9], v[8:9], v[18:19], v[22:23]
	s_delay_alu instid0(VALU_DEP_1)
	v_div_fixup_f64 v[0:1], v[8:9], v[6:7], v[0:1]
	ds_store_b64 v2, v[0:1]
.LBB76_60:                              ;   in Loop: Header=BB76_3 Depth=1
	s_cmp_eq_u32 s37, 0
	s_cbranch_scc1 .LBB76_67
; %bb.61:                               ;   in Loop: Header=BB76_3 Depth=1
	s_wait_alu 0xfffe
	s_lshl_b32 s37, s18, 6
	s_wait_alu 0xfffe
	s_add_co_i32 s19, s35, s37
	s_add_co_i32 s37, s36, s37
	s_branch .LBB76_63
.LBB76_62:                              ;   in Loop: Header=BB76_63 Depth=2
	s_addk_co_i32 s39, 0xffb8
	s_add_co_i32 s18, s18, -2
	s_wait_alu 0xfffe
	v_mov_b32_e32 v0, s39
	s_addk_co_i32 s19, 0xff80
	s_addk_co_i32 s37, 0xff80
	s_cmp_eq_u32 s38, 0
	ds_load_b64 v[0:1], v0
	s_wait_dscnt 0x0
	v_div_scale_f64 v[8:9], null, v[0:1], v[0:1], v[2:3]
	s_delay_alu instid0(VALU_DEP_1) | instskip(NEXT) | instid1(TRANS32_DEP_1)
	v_rcp_f64_e32 v[18:19], v[8:9]
	v_fma_f64 v[20:21], -v[8:9], v[18:19], 1.0
	s_delay_alu instid0(VALU_DEP_1) | instskip(NEXT) | instid1(VALU_DEP_1)
	v_fma_f64 v[18:19], v[18:19], v[20:21], v[18:19]
	v_fma_f64 v[20:21], -v[8:9], v[18:19], 1.0
	s_delay_alu instid0(VALU_DEP_1) | instskip(SKIP_1) | instid1(VALU_DEP_1)
	v_fma_f64 v[18:19], v[18:19], v[20:21], v[18:19]
	v_div_scale_f64 v[20:21], vcc_lo, v[2:3], v[0:1], v[2:3]
	v_mul_f64_e32 v[22:23], v[20:21], v[18:19]
	s_delay_alu instid0(VALU_DEP_1) | instskip(SKIP_1) | instid1(VALU_DEP_1)
	v_fma_f64 v[8:9], -v[8:9], v[22:23], v[20:21]
	s_wait_alu 0xfffd
	v_div_fmas_f64 v[8:9], v[8:9], v[18:19], v[22:23]
	s_delay_alu instid0(VALU_DEP_1)
	v_div_fixup_f64 v[0:1], v[8:9], v[0:1], v[2:3]
	ds_store_b64 v7, v[0:1]
	s_cbranch_scc1 .LBB76_67
.LBB76_63:                              ;   Parent Loop BB76_3 Depth=1
                                        ; =>  This Loop Header: Depth=2
                                        ;       Child Loop BB76_64 Depth 3
                                        ;       Child Loop BB76_66 Depth 3
	v_lshl_add_u32 v6, s18, 6, v11
	v_mov_b32_e32 v2, v13
	s_cmp_le_i32 s24, s18
	s_wait_alu 0xfffe
	s_mov_b32 s38, s19
	s_mov_b32 s39, s24
	ds_load_b64 v[0:1], v6
	s_cbranch_scc1 .LBB76_65
.LBB76_64:                              ;   Parent Loop BB76_3 Depth=1
                                        ;     Parent Loop BB76_63 Depth=2
                                        ; =>    This Inner Loop Header: Depth=3
	s_wait_alu 0xfffe
	v_mov_b32_e32 v3, s38
	s_add_co_i32 s39, s39, -1
	s_add_co_i32 s38, s38, -8
	s_wait_alu 0xfffe
	s_cmp_le_u32 s39, s18
	ds_load_b64 v[7:8], v2
	ds_load_b64 v[18:19], v3
	v_subrev_nc_u32_e32 v2, 64, v2
	s_wait_dscnt 0x0
	v_fma_f64 v[0:1], -v[7:8], v[18:19], v[0:1]
	s_cbranch_scc0 .LBB76_64
.LBB76_65:                              ;   in Loop: Header=BB76_63 Depth=2
	s_mul_i32 s39, s18, 0x48
	s_add_co_i32 s38, s18, -1
	s_wait_alu 0xfffe
	v_mov_b32_e32 v2, s39
	v_lshl_add_u32 v7, s38, 6, v11
	s_cmp_le_i32 s1, s18
	s_mov_b32 s40, s37
	s_mov_b32 s41, s24
	ds_load_b64 v[8:9], v2
	ds_load_b64 v[2:3], v7
	s_wait_dscnt 0x1
	v_div_scale_f64 v[18:19], null, v[8:9], v[8:9], v[0:1]
	s_delay_alu instid0(VALU_DEP_1) | instskip(NEXT) | instid1(TRANS32_DEP_1)
	v_rcp_f64_e32 v[20:21], v[18:19]
	v_fma_f64 v[22:23], -v[18:19], v[20:21], 1.0
	s_delay_alu instid0(VALU_DEP_1) | instskip(NEXT) | instid1(VALU_DEP_1)
	v_fma_f64 v[20:21], v[20:21], v[22:23], v[20:21]
	v_fma_f64 v[22:23], -v[18:19], v[20:21], 1.0
	s_delay_alu instid0(VALU_DEP_1) | instskip(SKIP_1) | instid1(VALU_DEP_1)
	v_fma_f64 v[20:21], v[20:21], v[22:23], v[20:21]
	v_div_scale_f64 v[22:23], vcc_lo, v[0:1], v[8:9], v[0:1]
	v_mul_f64_e32 v[24:25], v[22:23], v[20:21]
	s_delay_alu instid0(VALU_DEP_1) | instskip(SKIP_1) | instid1(VALU_DEP_1)
	v_fma_f64 v[18:19], -v[18:19], v[24:25], v[22:23]
	s_wait_alu 0xfffd
	v_div_fmas_f64 v[18:19], v[18:19], v[20:21], v[24:25]
	s_delay_alu instid0(VALU_DEP_1)
	v_div_fixup_f64 v[8:9], v[18:19], v[8:9], v[0:1]
	v_mov_b32_e32 v0, v13
	ds_store_b64 v6, v[8:9]
	s_cbranch_scc1 .LBB76_62
.LBB76_66:                              ;   Parent Loop BB76_3 Depth=1
                                        ;     Parent Loop BB76_63 Depth=2
                                        ; =>    This Inner Loop Header: Depth=3
	s_wait_alu 0xfffe
	v_mov_b32_e32 v1, s40
	s_add_co_i32 s41, s41, -1
	s_add_co_i32 s40, s40, -8
	s_wait_alu 0xfffe
	s_cmp_gt_u32 s41, s38
	ds_load_b64 v[8:9], v0
	ds_load_b64 v[18:19], v1
	v_subrev_nc_u32_e32 v0, 64, v0
	s_wait_dscnt 0x0
	v_fma_f64 v[2:3], -v[8:9], v[18:19], v[2:3]
	s_cbranch_scc1 .LBB76_66
	s_branch .LBB76_62
.LBB76_67:                              ;   in Loop: Header=BB76_3 Depth=1
	s_mov_b32 s18, 0
.LBB76_68:                              ;   in Loop: Header=BB76_3 Depth=1
	s_wait_alu 0xfffe
	s_and_not1_b32 vcc_lo, exec_lo, s18
	s_wait_alu 0xfffe
	s_cbranch_vccnz .LBB76_80
; %bb.69:                               ;   in Loop: Header=BB76_3 Depth=1
	s_and_not1_b32 vcc_lo, exec_lo, s28
	s_mov_b32 s37, 0
	s_wait_alu 0xfffe
	s_cbranch_vccnz .LBB76_75
; %bb.70:                               ;   in Loop: Header=BB76_3 Depth=1
	s_mov_b32 s18, 0
	s_mov_b32 s19, 0
.LBB76_71:                              ;   Parent Loop BB76_3 Depth=1
                                        ; =>  This Loop Header: Depth=2
                                        ;       Child Loop BB76_72 Depth 3
	s_wait_alu 0xfffe
	s_or_b32 s38, s19, 1
	v_lshl_add_u32 v18, s19, 6, v11
	s_or_b32 s39, s19, 2
	s_or_b32 s37, s19, 3
	s_wait_alu 0xfffe
	v_lshl_add_u32 v19, s38, 6, v11
	v_lshl_add_u32 v20, s39, 6, v11
	v_lshl_add_u32 v21, s37, 6, v11
	ds_load_b64 v[8:9], v18
	ds_load_b64 v[6:7], v19
	ds_load_b64 v[2:3], v20
	ds_load_b64 v[0:1], v21
	v_mov_b32_e32 v22, v11
	s_cmp_eq_u32 s19, 0
	s_mov_b32 s40, s18
	s_mov_b32 s41, s19
	s_cbranch_scc1 .LBB76_73
.LBB76_72:                              ;   Parent Loop BB76_3 Depth=1
                                        ;     Parent Loop BB76_71 Depth=2
                                        ; =>    This Inner Loop Header: Depth=3
	s_wait_alu 0xfffe
	v_mov_b32_e32 v27, s40
	s_add_co_i32 s41, s41, -1
	s_add_co_i32 s40, s40, 8
	s_wait_alu 0xfffe
	s_cmp_eq_u32 s41, 0
	ds_load_b64 v[31:32], v22
	ds_load_2addr_b64 v[23:26], v27 offset1:8
	ds_load_2addr_b64 v[27:30], v27 offset0:16 offset1:24
	v_add_nc_u32_e32 v22, 64, v22
	s_wait_dscnt 0x1
	v_fma_f64 v[8:9], -v[31:32], v[23:24], v[8:9]
	v_fma_f64 v[6:7], -v[31:32], v[25:26], v[6:7]
	s_wait_dscnt 0x0
	v_fma_f64 v[2:3], -v[31:32], v[27:28], v[2:3]
	v_fma_f64 v[0:1], -v[31:32], v[29:30], v[0:1]
	s_cbranch_scc0 .LBB76_72
.LBB76_73:                              ;   in Loop: Header=BB76_71 Depth=2
	s_lshl_b32 s40, s38, 3
	s_lshl_b32 s38, s39, 3
	s_mul_i32 s39, s19, 0x48
	s_lshl_b32 s37, s37, 3
	s_wait_alu 0xfffe
	v_mov_b32_e32 v22, s39
	s_lshl_b32 s39, s40, 3
	s_lshl_b32 s40, s19, 3
	;; [unrolled: 1-line block ×3, first 2 shown]
	s_wait_alu 0xfffe
	s_add_co_i32 s39, s39, s40
	ds_load_b64 v[26:27], v22
	s_wait_alu 0xfffe
	v_mov_b32_e32 v22, s39
	s_lshl_b32 s39, s38, 3
	s_add_co_i32 s37, s37, s40
	s_wait_alu 0xfffe
	s_add_co_i32 s41, s39, s40
	s_add_co_i32 s38, s39, s38
	ds_load_b128 v[22:25], v22
	s_addk_co_i32 s18, 0x100
	s_wait_dscnt 0x1
	v_div_scale_f64 v[28:29], null, v[26:27], v[26:27], v[8:9]
	v_div_scale_f64 v[34:35], vcc_lo, v[8:9], v[26:27], v[8:9]
	s_delay_alu instid0(VALU_DEP_2) | instskip(NEXT) | instid1(TRANS32_DEP_1)
	v_rcp_f64_e32 v[30:31], v[28:29]
	v_fma_f64 v[32:33], -v[28:29], v[30:31], 1.0
	s_delay_alu instid0(VALU_DEP_1) | instskip(NEXT) | instid1(VALU_DEP_1)
	v_fma_f64 v[30:31], v[30:31], v[32:33], v[30:31]
	v_fma_f64 v[32:33], -v[28:29], v[30:31], 1.0
	s_delay_alu instid0(VALU_DEP_1) | instskip(NEXT) | instid1(VALU_DEP_1)
	v_fma_f64 v[30:31], v[30:31], v[32:33], v[30:31]
	v_mul_f64_e32 v[32:33], v[34:35], v[30:31]
	s_delay_alu instid0(VALU_DEP_1) | instskip(SKIP_1) | instid1(VALU_DEP_1)
	v_fma_f64 v[28:29], -v[28:29], v[32:33], v[34:35]
	s_wait_alu 0xfffd
	v_div_fmas_f64 v[28:29], v[28:29], v[30:31], v[32:33]
	s_delay_alu instid0(VALU_DEP_1) | instskip(SKIP_1) | instid1(VALU_DEP_1)
	v_div_fixup_f64 v[26:27], v[28:29], v[26:27], v[8:9]
	s_wait_dscnt 0x0
	v_fma_f64 v[22:23], -v[26:27], v[22:23], v[6:7]
	s_delay_alu instid0(VALU_DEP_1) | instskip(SKIP_1) | instid1(VALU_DEP_2)
	v_div_scale_f64 v[6:7], null, v[24:25], v[24:25], v[22:23]
	v_div_scale_f64 v[30:31], vcc_lo, v[22:23], v[24:25], v[22:23]
	v_rcp_f64_e32 v[8:9], v[6:7]
	s_delay_alu instid0(TRANS32_DEP_1) | instskip(NEXT) | instid1(VALU_DEP_1)
	v_fma_f64 v[28:29], -v[6:7], v[8:9], 1.0
	v_fma_f64 v[8:9], v[8:9], v[28:29], v[8:9]
	s_delay_alu instid0(VALU_DEP_1) | instskip(NEXT) | instid1(VALU_DEP_1)
	v_fma_f64 v[28:29], -v[6:7], v[8:9], 1.0
	v_fma_f64 v[8:9], v[8:9], v[28:29], v[8:9]
	s_delay_alu instid0(VALU_DEP_1) | instskip(NEXT) | instid1(VALU_DEP_1)
	v_mul_f64_e32 v[28:29], v[30:31], v[8:9]
	v_fma_f64 v[6:7], -v[6:7], v[28:29], v[30:31]
	s_wait_alu 0xfffe
	v_mov_b32_e32 v30, s38
	ds_load_b64 v[30:31], v30
	s_wait_alu 0xfffd
	v_div_fmas_f64 v[28:29], v[6:7], v[8:9], v[28:29]
	v_mov_b32_e32 v6, s41
	ds_load_b128 v[6:9], v6
	s_wait_dscnt 0x0
	v_fma_f64 v[2:3], -v[26:27], v[6:7], v[2:3]
	v_div_fixup_f64 v[28:29], v[28:29], v[24:25], v[22:23]
	s_delay_alu instid0(VALU_DEP_1) | instskip(NEXT) | instid1(VALU_DEP_1)
	v_fma_f64 v[2:3], -v[28:29], v[8:9], v[2:3]
	v_div_scale_f64 v[6:7], null, v[30:31], v[30:31], v[2:3]
	v_div_scale_f64 v[24:25], vcc_lo, v[2:3], v[30:31], v[2:3]
	s_delay_alu instid0(VALU_DEP_2) | instskip(NEXT) | instid1(TRANS32_DEP_1)
	v_rcp_f64_e32 v[8:9], v[6:7]
	v_fma_f64 v[22:23], -v[6:7], v[8:9], 1.0
	s_delay_alu instid0(VALU_DEP_1) | instskip(NEXT) | instid1(VALU_DEP_1)
	v_fma_f64 v[8:9], v[8:9], v[22:23], v[8:9]
	v_fma_f64 v[22:23], -v[6:7], v[8:9], 1.0
	s_delay_alu instid0(VALU_DEP_1)
	v_fma_f64 v[32:33], v[8:9], v[22:23], v[8:9]
	v_mov_b32_e32 v22, s37
	s_add_co_i32 s37, s19, 4
	s_add_co_i32 s19, s19, 7
	s_wait_alu 0xfffe
	s_cmp_ge_i32 s19, s1
	s_delay_alu instid0(VALU_DEP_2) | instskip(NEXT) | instid1(VALU_DEP_1)
	v_mul_f64_e32 v[34:35], v[24:25], v[32:33]
	v_fma_f64 v[36:37], -v[6:7], v[34:35], v[24:25]
	ds_load_b128 v[6:9], v22
	ds_load_b128 v[22:25], v22 offset:16
	s_wait_dscnt 0x1
	v_fma_f64 v[0:1], -v[26:27], v[6:7], v[0:1]
	s_wait_alu 0xfffd
	v_div_fmas_f64 v[6:7], v[36:37], v[32:33], v[34:35]
	s_delay_alu instid0(VALU_DEP_2) | instskip(NEXT) | instid1(VALU_DEP_2)
	v_fma_f64 v[0:1], -v[28:29], v[8:9], v[0:1]
	v_div_fixup_f64 v[2:3], v[6:7], v[30:31], v[2:3]
	s_wait_dscnt 0x0
	s_delay_alu instid0(VALU_DEP_1) | instskip(NEXT) | instid1(VALU_DEP_1)
	v_fma_f64 v[0:1], -v[2:3], v[22:23], v[0:1]
	v_div_scale_f64 v[6:7], null, v[24:25], v[24:25], v[0:1]
	s_delay_alu instid0(VALU_DEP_1) | instskip(NEXT) | instid1(TRANS32_DEP_1)
	v_rcp_f64_e32 v[8:9], v[6:7]
	v_fma_f64 v[22:23], -v[6:7], v[8:9], 1.0
	s_delay_alu instid0(VALU_DEP_1) | instskip(NEXT) | instid1(VALU_DEP_1)
	v_fma_f64 v[8:9], v[8:9], v[22:23], v[8:9]
	v_fma_f64 v[22:23], -v[6:7], v[8:9], 1.0
	s_delay_alu instid0(VALU_DEP_1) | instskip(SKIP_1) | instid1(VALU_DEP_1)
	v_fma_f64 v[8:9], v[8:9], v[22:23], v[8:9]
	v_div_scale_f64 v[22:23], vcc_lo, v[0:1], v[24:25], v[0:1]
	v_mul_f64_e32 v[30:31], v[22:23], v[8:9]
	s_delay_alu instid0(VALU_DEP_1) | instskip(SKIP_1) | instid1(VALU_DEP_1)
	v_fma_f64 v[6:7], -v[6:7], v[30:31], v[22:23]
	s_wait_alu 0xfffd
	v_div_fmas_f64 v[6:7], v[6:7], v[8:9], v[30:31]
	s_delay_alu instid0(VALU_DEP_1)
	v_div_fixup_f64 v[0:1], v[6:7], v[24:25], v[0:1]
	ds_store_b64 v18, v[26:27]
	ds_store_b64 v19, v[28:29]
	;; [unrolled: 1-line block ×4, first 2 shown]
	s_cbranch_scc1 .LBB76_75
; %bb.74:                               ;   in Loop: Header=BB76_71 Depth=2
	s_mov_b32 s19, s37
	s_branch .LBB76_71
.LBB76_75:                              ;   in Loop: Header=BB76_3 Depth=1
	s_cmp_ge_i32 s37, s1
	s_cbranch_scc1 .LBB76_80
; %bb.76:                               ;   in Loop: Header=BB76_3 Depth=1
	s_lshl_b32 s18, s37, 6
	s_branch .LBB76_78
.LBB76_77:                              ;   in Loop: Header=BB76_78 Depth=2
	s_mul_i32 s19, s37, 0x48
	s_add_co_i32 s37, s37, 1
	s_wait_alu 0xfffe
	v_mov_b32_e32 v3, s19
	s_add_co_i32 s18, s18, 64
	s_cmp_ge_i32 s37, s1
	ds_load_b64 v[6:7], v3
	s_wait_dscnt 0x0
	v_div_scale_f64 v[8:9], null, v[6:7], v[6:7], v[0:1]
	s_delay_alu instid0(VALU_DEP_1) | instskip(NEXT) | instid1(TRANS32_DEP_1)
	v_rcp_f64_e32 v[18:19], v[8:9]
	v_fma_f64 v[20:21], -v[8:9], v[18:19], 1.0
	s_delay_alu instid0(VALU_DEP_1) | instskip(NEXT) | instid1(VALU_DEP_1)
	v_fma_f64 v[18:19], v[18:19], v[20:21], v[18:19]
	v_fma_f64 v[20:21], -v[8:9], v[18:19], 1.0
	s_delay_alu instid0(VALU_DEP_1) | instskip(SKIP_1) | instid1(VALU_DEP_1)
	v_fma_f64 v[18:19], v[18:19], v[20:21], v[18:19]
	v_div_scale_f64 v[20:21], vcc_lo, v[0:1], v[6:7], v[0:1]
	v_mul_f64_e32 v[22:23], v[20:21], v[18:19]
	s_delay_alu instid0(VALU_DEP_1) | instskip(SKIP_1) | instid1(VALU_DEP_1)
	v_fma_f64 v[8:9], -v[8:9], v[22:23], v[20:21]
	s_wait_alu 0xfffd
	v_div_fmas_f64 v[8:9], v[8:9], v[18:19], v[22:23]
	s_delay_alu instid0(VALU_DEP_1)
	v_div_fixup_f64 v[0:1], v[8:9], v[6:7], v[0:1]
	ds_store_b64 v2, v[0:1]
	s_cbranch_scc1 .LBB76_80
.LBB76_78:                              ;   Parent Loop BB76_3 Depth=1
                                        ; =>  This Loop Header: Depth=2
                                        ;       Child Loop BB76_79 Depth 3
	v_lshl_add_u32 v2, s37, 6, v11
	v_mov_b32_e32 v3, v11
	s_cmp_eq_u32 s37, 0
	s_wait_alu 0xfffe
	s_mov_b32 s19, s18
	s_mov_b32 s38, s37
	ds_load_b64 v[0:1], v2
	s_cbranch_scc1 .LBB76_77
.LBB76_79:                              ;   Parent Loop BB76_3 Depth=1
                                        ;     Parent Loop BB76_78 Depth=2
                                        ; =>    This Inner Loop Header: Depth=3
	s_wait_alu 0xfffe
	v_mov_b32_e32 v8, s19
	s_add_co_i32 s38, s38, -1
	s_add_co_i32 s19, s19, 8
	s_wait_alu 0xfffe
	s_cmp_eq_u32 s38, 0
	ds_load_b64 v[6:7], v3
	ds_load_b64 v[8:9], v8
	v_add_nc_u32_e32 v3, 64, v3
	s_wait_dscnt 0x0
	v_fma_f64 v[0:1], -v[6:7], v[8:9], v[0:1]
	s_cbranch_scc0 .LBB76_79
	s_branch .LBB76_77
.LBB76_80:                              ;   in Loop: Header=BB76_3 Depth=1
	s_and_saveexec_b32 s18, s29
	s_cbranch_execz .LBB76_2
; %bb.81:                               ;   in Loop: Header=BB76_3 Depth=1
	v_add_co_u32 v0, vcc_lo, v16, v15
	s_wait_alu 0xfffd
	v_add_co_ci_u32_e64 v1, null, 0, v17, vcc_lo
	v_mov_b32_e32 v2, v11
	s_mov_b32 s19, s23
.LBB76_82:                              ;   Parent Loop BB76_3 Depth=1
                                        ; =>  This Inner Loop Header: Depth=2
	ds_load_b64 v[6:7], v2
	v_add_nc_u32_e32 v2, 64, v2
	s_wait_alu 0xfffe
	s_add_co_i32 s19, s19, -1
	s_wait_alu 0xfffe
	s_cmp_lg_u32 s19, 0
	s_wait_dscnt 0x0
	flat_store_b64 v[0:1], v[6:7]
	v_add_co_u32 v0, vcc_lo, v0, s14
	s_wait_alu 0xfffd
	v_add_co_ci_u32_e64 v1, null, s15, v1, vcc_lo
	s_cbranch_scc1 .LBB76_82
	s_branch .LBB76_2
.LBB76_83:
	s_endpgm
	.section	.rodata,"a",@progbits
	.p2align	6, 0x0
	.amdhsa_kernel _ZL31rocblas_trsm_small_right_deviceIddPKPKdPKPdLi8EEv13rocblas_fill_18rocblas_operation_17rocblas_diagonal_iiT0_T1_lilT2_lili
		.amdhsa_group_segment_fixed_size 1024
		.amdhsa_private_segment_fixed_size 0
		.amdhsa_kernarg_size 360
		.amdhsa_user_sgpr_count 2
		.amdhsa_user_sgpr_dispatch_ptr 0
		.amdhsa_user_sgpr_queue_ptr 0
		.amdhsa_user_sgpr_kernarg_segment_ptr 1
		.amdhsa_user_sgpr_dispatch_id 0
		.amdhsa_user_sgpr_private_segment_size 0
		.amdhsa_wavefront_size32 1
		.amdhsa_uses_dynamic_stack 0
		.amdhsa_enable_private_segment 0
		.amdhsa_system_sgpr_workgroup_id_x 1
		.amdhsa_system_sgpr_workgroup_id_y 0
		.amdhsa_system_sgpr_workgroup_id_z 1
		.amdhsa_system_sgpr_workgroup_info 0
		.amdhsa_system_vgpr_workitem_id 0
		.amdhsa_next_free_vgpr 43
		.amdhsa_next_free_sgpr 46
		.amdhsa_reserve_vcc 1
		.amdhsa_float_round_mode_32 0
		.amdhsa_float_round_mode_16_64 0
		.amdhsa_float_denorm_mode_32 3
		.amdhsa_float_denorm_mode_16_64 3
		.amdhsa_fp16_overflow 0
		.amdhsa_workgroup_processor_mode 1
		.amdhsa_memory_ordered 1
		.amdhsa_forward_progress 1
		.amdhsa_inst_pref_size 54
		.amdhsa_round_robin_scheduling 0
		.amdhsa_exception_fp_ieee_invalid_op 0
		.amdhsa_exception_fp_denorm_src 0
		.amdhsa_exception_fp_ieee_div_zero 0
		.amdhsa_exception_fp_ieee_overflow 0
		.amdhsa_exception_fp_ieee_underflow 0
		.amdhsa_exception_fp_ieee_inexact 0
		.amdhsa_exception_int_div_zero 0
	.end_amdhsa_kernel
	.section	.text._ZL31rocblas_trsm_small_right_deviceIddPKPKdPKPdLi8EEv13rocblas_fill_18rocblas_operation_17rocblas_diagonal_iiT0_T1_lilT2_lili,"axG",@progbits,_ZL31rocblas_trsm_small_right_deviceIddPKPKdPKPdLi8EEv13rocblas_fill_18rocblas_operation_17rocblas_diagonal_iiT0_T1_lilT2_lili,comdat
.Lfunc_end76:
	.size	_ZL31rocblas_trsm_small_right_deviceIddPKPKdPKPdLi8EEv13rocblas_fill_18rocblas_operation_17rocblas_diagonal_iiT0_T1_lilT2_lili, .Lfunc_end76-_ZL31rocblas_trsm_small_right_deviceIddPKPKdPKPdLi8EEv13rocblas_fill_18rocblas_operation_17rocblas_diagonal_iiT0_T1_lilT2_lili
                                        ; -- End function
	.set _ZL31rocblas_trsm_small_right_deviceIddPKPKdPKPdLi8EEv13rocblas_fill_18rocblas_operation_17rocblas_diagonal_iiT0_T1_lilT2_lili.num_vgpr, 43
	.set _ZL31rocblas_trsm_small_right_deviceIddPKPKdPKPdLi8EEv13rocblas_fill_18rocblas_operation_17rocblas_diagonal_iiT0_T1_lilT2_lili.num_agpr, 0
	.set _ZL31rocblas_trsm_small_right_deviceIddPKPKdPKPdLi8EEv13rocblas_fill_18rocblas_operation_17rocblas_diagonal_iiT0_T1_lilT2_lili.numbered_sgpr, 46
	.set _ZL31rocblas_trsm_small_right_deviceIddPKPKdPKPdLi8EEv13rocblas_fill_18rocblas_operation_17rocblas_diagonal_iiT0_T1_lilT2_lili.num_named_barrier, 0
	.set _ZL31rocblas_trsm_small_right_deviceIddPKPKdPKPdLi8EEv13rocblas_fill_18rocblas_operation_17rocblas_diagonal_iiT0_T1_lilT2_lili.private_seg_size, 0
	.set _ZL31rocblas_trsm_small_right_deviceIddPKPKdPKPdLi8EEv13rocblas_fill_18rocblas_operation_17rocblas_diagonal_iiT0_T1_lilT2_lili.uses_vcc, 1
	.set _ZL31rocblas_trsm_small_right_deviceIddPKPKdPKPdLi8EEv13rocblas_fill_18rocblas_operation_17rocblas_diagonal_iiT0_T1_lilT2_lili.uses_flat_scratch, 0
	.set _ZL31rocblas_trsm_small_right_deviceIddPKPKdPKPdLi8EEv13rocblas_fill_18rocblas_operation_17rocblas_diagonal_iiT0_T1_lilT2_lili.has_dyn_sized_stack, 0
	.set _ZL31rocblas_trsm_small_right_deviceIddPKPKdPKPdLi8EEv13rocblas_fill_18rocblas_operation_17rocblas_diagonal_iiT0_T1_lilT2_lili.has_recursion, 0
	.set _ZL31rocblas_trsm_small_right_deviceIddPKPKdPKPdLi8EEv13rocblas_fill_18rocblas_operation_17rocblas_diagonal_iiT0_T1_lilT2_lili.has_indirect_call, 0
	.section	.AMDGPU.csdata,"",@progbits
; Kernel info:
; codeLenInByte = 6904
; TotalNumSgprs: 48
; NumVgprs: 43
; ScratchSize: 0
; MemoryBound: 0
; FloatMode: 240
; IeeeMode: 1
; LDSByteSize: 1024 bytes/workgroup (compile time only)
; SGPRBlocks: 0
; VGPRBlocks: 5
; NumSGPRsForWavesPerEU: 48
; NumVGPRsForWavesPerEU: 43
; Occupancy: 16
; WaveLimiterHint : 0
; COMPUTE_PGM_RSRC2:SCRATCH_EN: 0
; COMPUTE_PGM_RSRC2:USER_SGPR: 2
; COMPUTE_PGM_RSRC2:TRAP_HANDLER: 0
; COMPUTE_PGM_RSRC2:TGID_X_EN: 1
; COMPUTE_PGM_RSRC2:TGID_Y_EN: 0
; COMPUTE_PGM_RSRC2:TGID_Z_EN: 1
; COMPUTE_PGM_RSRC2:TIDIG_COMP_CNT: 0
	.section	.text._ZL38rocblas_trsm_small_left_device_sharedBILi12ELi12ELb0EddPKPKdPKPdEv13rocblas_fill_18rocblas_operation_17rocblas_diagonal_iiT3_T4_lilT5_lili,"axG",@progbits,_ZL38rocblas_trsm_small_left_device_sharedBILi12ELi12ELb0EddPKPKdPKPdEv13rocblas_fill_18rocblas_operation_17rocblas_diagonal_iiT3_T4_lilT5_lili,comdat
	.globl	_ZL38rocblas_trsm_small_left_device_sharedBILi12ELi12ELb0EddPKPKdPKPdEv13rocblas_fill_18rocblas_operation_17rocblas_diagonal_iiT3_T4_lilT5_lili ; -- Begin function _ZL38rocblas_trsm_small_left_device_sharedBILi12ELi12ELb0EddPKPKdPKPdEv13rocblas_fill_18rocblas_operation_17rocblas_diagonal_iiT3_T4_lilT5_lili
	.p2align	8
	.type	_ZL38rocblas_trsm_small_left_device_sharedBILi12ELi12ELb0EddPKPKdPKPdEv13rocblas_fill_18rocblas_operation_17rocblas_diagonal_iiT3_T4_lilT5_lili,@function
_ZL38rocblas_trsm_small_left_device_sharedBILi12ELi12ELb0EddPKPKdPKPdEv13rocblas_fill_18rocblas_operation_17rocblas_diagonal_iiT3_T4_lilT5_lili: ; @_ZL38rocblas_trsm_small_left_device_sharedBILi12ELi12ELb0EddPKPKdPKPdEv13rocblas_fill_18rocblas_operation_17rocblas_diagonal_iiT3_T4_lilT5_lili
; %bb.0:
	s_load_b32 s26, s[0:1], 0x60
	s_lshr_b32 s2, ttmp7, 16
	s_wait_kmcnt 0x0
	s_cmp_ge_u32 s2, s26
	s_cbranch_scc1 .LBB77_56
; %bb.1:
	s_clause 0x5
	s_load_b96 s[16:18], s[0:1], 0x28
	s_load_b32 s20, s[0:1], 0x50
	s_load_b128 s[12:15], s[0:1], 0x4
	s_load_b32 s3, s[0:1], 0x68
	s_load_b128 s[4:7], s[0:1], 0x18
	s_load_b128 s[8:11], s[0:1], 0x40
	s_mul_i32 s0, ttmp9, -12
	v_mov_b32_e32 v1, 0
	s_mul_i32 s22, ttmp9, 12
	v_lshlrev_b32_e32 v71, 3, v0
	v_mul_u32_u24_e32 v34, 0x60, v0
	s_mov_b32 s19, 0
	s_wait_kmcnt 0x0
	s_ashr_i32 s25, s18, 31
	s_ashr_i32 s21, s20, 31
	s_min_i32 s1, s14, 12
	s_add_co_i32 s3, s3, -1
	s_add_co_i32 s15, s15, s0
	s_add_co_i32 s27, s1, -1
	s_cmp_ge_u32 ttmp9, s3
	v_mad_co_i64_i32 v[66:67], null, s20, v0, 0
	s_cselect_b32 s3, s15, 12
	s_ashr_i32 s23, s22, 31
	s_cmp_lg_u32 s13, 0x84
	v_cmp_gt_i32_e64 s0, s1, v0
	v_cmp_gt_i32_e32 vcc_lo, s3, v0
	v_lshlrev_b32_e32 v0, 3, v0
	v_dual_mov_b32 v2, v1 :: v_dual_mov_b32 v3, v1
	v_dual_mov_b32 v4, v1 :: v_dual_mov_b32 v5, v1
	;; [unrolled: 1-line block ×11, first 2 shown]
	v_mov_b32_e32 v24, v1
	s_cselect_b32 s28, -1, 0
	s_cmp_gt_i32 s14, 0
	v_dual_mov_b32 v33, v32 :: v_dual_add_nc_u32 v72, v71, v34
	v_or_b32_e32 v68, 0x480, v71
	v_mov_b32_e32 v32, v31
	v_mov_b32_e32 v31, v30
	;; [unrolled: 1-line block ×31, first 2 shown]
	s_mov_b32 s24, s18
	s_mul_u64 s[20:21], s[20:21], s[22:23]
	s_cselect_b32 s3, -1, 0
	s_cmp_lg_u32 s12, 0x6f
	s_mul_i32 s31, s1, 0x60
	s_cselect_b32 s29, -1, 0
	s_wait_alu 0xfffe
	s_and_b32 s30, vcc_lo, s3
	s_lshl_b64 s[12:13], s[24:25], 3
	s_addk_co_i32 s31, 0xffa0
	s_lshl_b64 s[14:15], s[16:17], 3
	s_lshl_b64 s[10:11], s[10:11], 3
	;; [unrolled: 1-line block ×3, first 2 shown]
	s_branch .LBB77_3
.LBB77_2:                               ;   in Loop: Header=BB77_3 Depth=1
	s_wait_alu 0xfffe
	s_or_b32 exec_lo, exec_lo, s3
	v_dual_mov_b32 v2, v34 :: v_dual_mov_b32 v3, v35
	v_dual_mov_b32 v4, v36 :: v_dual_mov_b32 v5, v37
	;; [unrolled: 1-line block ×16, first 2 shown]
	s_add_co_i32 s2, s2, 0x10000
	s_wait_alu 0xfffe
	s_cmp_lt_u32 s2, s26
	s_cbranch_scc0 .LBB77_56
.LBB77_3:                               ; =>This Loop Header: Depth=1
                                        ;     Child Loop BB77_5 Depth 2
                                        ;     Child Loop BB77_11 Depth 2
	;; [unrolled: 1-line block ×3, first 2 shown]
                                        ;       Child Loop BB77_17 Depth 3
                                        ;         Child Loop BB77_18 Depth 4
                                        ;         Child Loop BB77_21 Depth 4
                                        ;           Child Loop BB77_22 Depth 5
                                        ;         Child Loop BB77_27 Depth 4
                                        ;           Child Loop BB77_29 Depth 5
                                        ;     Child Loop BB77_35 Depth 2
                                        ;       Child Loop BB77_38 Depth 3
                                        ;         Child Loop BB77_39 Depth 4
                                        ;         Child Loop BB77_41 Depth 4
                                        ;           Child Loop BB77_42 Depth 5
                                        ;         Child Loop BB77_47 Depth 4
                                        ;           Child Loop BB77_49 Depth 5
                                        ;     Child Loop BB77_55 Depth 2
	s_mov_b32 s3, s19
	s_wait_alu 0xfffe
	s_lshl_b64 s[20:21], s[2:3], 3
	s_wait_alu 0xfffe
	s_add_nc_u64 s[22:23], s[8:9], s[20:21]
	global_load_b64 v[34:35], v1, s[22:23]
	s_and_saveexec_b32 s3, s0
	s_cbranch_execz .LBB77_9
; %bb.4:                                ;   in Loop: Header=BB77_3 Depth=1
	s_add_nc_u64 s[20:21], s[6:7], s[20:21]
	v_mov_b32_e32 v38, v71
	global_load_b64 v[36:37], v1, s[20:21]
	s_mov_b32 s18, s1
	s_wait_loadcnt 0x0
	v_add_co_u32 v36, vcc_lo, v36, s14
	s_wait_alu 0xfffd
	v_add_co_ci_u32_e64 v37, null, s15, v37, vcc_lo
	s_delay_alu instid0(VALU_DEP_2) | instskip(SKIP_1) | instid1(VALU_DEP_2)
	v_add_co_u32 v36, vcc_lo, v36, v0
	s_wait_alu 0xfffd
	v_add_co_ci_u32_e64 v37, null, 0, v37, vcc_lo
.LBB77_5:                               ;   Parent Loop BB77_3 Depth=1
                                        ; =>  This Inner Loop Header: Depth=2
	flat_load_b64 v[39:40], v[36:37]
	v_add_co_u32 v36, vcc_lo, v36, s12
	s_wait_alu 0xfffd
	v_add_co_ci_u32_e64 v37, null, s13, v37, vcc_lo
	s_add_co_i32 s18, s18, -1
	s_delay_alu instid0(SALU_CYCLE_1)
	s_cmp_eq_u32 s18, 0
	s_wait_loadcnt_dscnt 0x0
	ds_store_b64 v38, v[39:40]
	v_add_nc_u32_e32 v38, 0x60, v38
	s_cbranch_scc0 .LBB77_5
; %bb.6:                                ;   in Loop: Header=BB77_3 Depth=1
	v_mov_b32_e32 v36, 0
	v_mov_b32_e32 v37, 0x3ff00000
	s_and_b32 vcc_lo, exec_lo, s28
	s_wait_alu 0xfffe
	s_cbranch_vccz .LBB77_8
; %bb.7:                                ;   in Loop: Header=BB77_3 Depth=1
	ds_load_b64 v[36:37], v72
	s_wait_dscnt 0x0
	v_div_scale_f64 v[38:39], null, v[36:37], v[36:37], 1.0
	s_delay_alu instid0(VALU_DEP_1) | instskip(NEXT) | instid1(TRANS32_DEP_1)
	v_rcp_f64_e32 v[40:41], v[38:39]
	v_fma_f64 v[42:43], -v[38:39], v[40:41], 1.0
	s_delay_alu instid0(VALU_DEP_1) | instskip(NEXT) | instid1(VALU_DEP_1)
	v_fma_f64 v[40:41], v[40:41], v[42:43], v[40:41]
	v_fma_f64 v[42:43], -v[38:39], v[40:41], 1.0
	s_delay_alu instid0(VALU_DEP_1) | instskip(SKIP_1) | instid1(VALU_DEP_1)
	v_fma_f64 v[40:41], v[40:41], v[42:43], v[40:41]
	v_div_scale_f64 v[42:43], vcc_lo, 1.0, v[36:37], 1.0
	v_mul_f64_e32 v[44:45], v[42:43], v[40:41]
	s_delay_alu instid0(VALU_DEP_1) | instskip(SKIP_1) | instid1(VALU_DEP_1)
	v_fma_f64 v[38:39], -v[38:39], v[44:45], v[42:43]
	s_wait_alu 0xfffd
	v_div_fmas_f64 v[38:39], v[38:39], v[40:41], v[44:45]
	s_delay_alu instid0(VALU_DEP_1)
	v_div_fixup_f64 v[36:37], v[38:39], v[36:37], 1.0
.LBB77_8:                               ;   in Loop: Header=BB77_3 Depth=1
	ds_store_b64 v72, v[36:37]
.LBB77_9:                               ;   in Loop: Header=BB77_3 Depth=1
	s_wait_alu 0xfffe
	s_or_b32 exec_lo, exec_lo, s3
	s_wait_loadcnt 0x0
	v_add_co_u32 v34, vcc_lo, v34, s10
	s_wait_alu 0xfffd
	v_add_co_ci_u32_e64 v35, null, s11, v35, vcc_lo
	s_delay_alu instid0(VALU_DEP_2) | instskip(SKIP_1) | instid1(VALU_DEP_2)
	v_add_co_u32 v73, vcc_lo, v34, s16
	s_wait_alu 0xfffd
	v_add_co_ci_u32_e64 v74, null, s17, v35, vcc_lo
	s_and_saveexec_b32 s3, s30
	s_cbranch_execz .LBB77_12
; %bb.10:                               ;   in Loop: Header=BB77_3 Depth=1
	v_lshlrev_b64_e32 v[34:35], 3, v[66:67]
	v_mov_b32_e32 v36, v68
	s_mov_b32 s18, s1
	s_delay_alu instid0(VALU_DEP_2) | instskip(SKIP_1) | instid1(VALU_DEP_3)
	v_add_co_u32 v34, vcc_lo, v73, v34
	s_wait_alu 0xfffd
	v_add_co_ci_u32_e64 v35, null, v74, v35, vcc_lo
.LBB77_11:                              ;   Parent Loop BB77_3 Depth=1
                                        ; =>  This Inner Loop Header: Depth=2
	flat_load_b64 v[37:38], v[34:35]
	v_add_co_u32 v34, vcc_lo, v34, 8
	s_wait_alu 0xfffd
	v_add_co_ci_u32_e64 v35, null, 0, v35, vcc_lo
	s_add_co_i32 s18, s18, -1
	s_delay_alu instid0(SALU_CYCLE_1)
	s_cmp_lg_u32 s18, 0
	s_wait_loadcnt_dscnt 0x0
	v_mul_f64_e32 v[37:38], s[4:5], v[37:38]
	ds_store_b64 v36, v[37:38]
	v_add_nc_u32_e32 v36, 0x60, v36
	s_cbranch_scc1 .LBB77_11
.LBB77_12:                              ;   in Loop: Header=BB77_3 Depth=1
	s_wait_alu 0xfffe
	s_or_b32 exec_lo, exec_lo, s3
	s_delay_alu instid0(SALU_CYCLE_1)
	s_and_not1_b32 vcc_lo, exec_lo, s29
	s_mov_b32 s3, -1
	s_wait_dscnt 0x0
	; wave barrier
	global_inv scope:SCOPE_SE
                                        ; implicit-def: $vgpr34_vgpr35_vgpr36_vgpr37_vgpr38_vgpr39_vgpr40_vgpr41_vgpr42_vgpr43_vgpr44_vgpr45_vgpr46_vgpr47_vgpr48_vgpr49_vgpr50_vgpr51_vgpr52_vgpr53_vgpr54_vgpr55_vgpr56_vgpr57_vgpr58_vgpr59_vgpr60_vgpr61_vgpr62_vgpr63_vgpr64_vgpr65
	s_wait_alu 0xfffe
	s_cbranch_vccnz .LBB77_33
; %bb.13:                               ;   in Loop: Header=BB77_3 Depth=1
	v_dual_mov_b32 v65, v33 :: v_dual_mov_b32 v64, v32
	v_dual_mov_b32 v63, v31 :: v_dual_mov_b32 v62, v30
	;; [unrolled: 1-line block ×16, first 2 shown]
	s_mov_b32 s18, 0
	s_delay_alu instid0(SALU_CYCLE_1)
	s_mov_b32 s3, s18
.LBB77_14:                              ;   Parent Loop BB77_3 Depth=1
                                        ; =>  This Loop Header: Depth=2
                                        ;       Child Loop BB77_17 Depth 3
                                        ;         Child Loop BB77_18 Depth 4
                                        ;         Child Loop BB77_21 Depth 4
                                        ;           Child Loop BB77_22 Depth 5
                                        ;         Child Loop BB77_27 Depth 4
                                        ;           Child Loop BB77_29 Depth 5
	s_getpc_b64 s[20:21]
	s_wait_alu 0xfffe
	s_sext_i32_i16 s21, s21
	s_add_co_u32 s20, s20, __const._ZL38rocblas_trsm_small_left_device_sharedBILi12ELi12ELb0EddPKPKdPKPdEv13rocblas_fill_18rocblas_operation_17rocblas_diagonal_iiT3_T4_lilT5_lili.step_sizes@rel32@lo+12
	s_wait_alu 0xfffe
	s_add_co_ci_u32 s21, s21, __const._ZL38rocblas_trsm_small_left_device_sharedBILi12ELi12ELb0EddPKPKdPKPdEv13rocblas_fill_18rocblas_operation_17rocblas_diagonal_iiT3_T4_lilT5_lili.step_sizes@rel32@hi+24
	s_lshl_b64 s[22:23], s[18:19], 2
	s_wait_alu 0xfffe
	s_add_nc_u64 s[20:21], s[20:21], s[22:23]
	s_load_b32 s33, s[20:21], 0x0
	s_wait_kmcnt 0x0
	s_add_co_i32 s34, s33, -1
	s_wait_alu 0xfffe
	s_add_co_i32 s20, s34, s3
	s_wait_alu 0xfffe
	s_cmp_ge_i32 s20, s1
	s_cbranch_scc1 .LBB77_30
; %bb.15:                               ;   in Loop: Header=BB77_14 Depth=2
	s_mul_i32 s35, s3, 0x60
	s_max_i32 s36, s33, 1
	s_wait_alu 0xfffe
	v_add_nc_u32_e32 v75, s35, v68
	s_mul_i32 s37, s33, 0x60
	s_mul_i32 s38, s3, 0x68
	;; [unrolled: 1-line block ×3, first 2 shown]
	s_branch .LBB77_17
.LBB77_16:                              ;   in Loop: Header=BB77_17 Depth=3
	s_add_co_i32 s3, s3, s33
	v_add_nc_u32_e32 v75, s37, v75
	s_wait_alu 0xfffe
	s_add_co_i32 s20, s34, s3
	s_add_co_i32 s35, s35, s37
	;; [unrolled: 1-line block ×3, first 2 shown]
	s_wait_alu 0xfffe
	s_cmp_ge_i32 s20, s1
	s_cbranch_scc1 .LBB77_30
.LBB77_17:                              ;   Parent Loop BB77_3 Depth=1
                                        ;     Parent Loop BB77_14 Depth=2
                                        ; =>    This Loop Header: Depth=3
                                        ;         Child Loop BB77_18 Depth 4
                                        ;         Child Loop BB77_21 Depth 4
                                        ;           Child Loop BB77_22 Depth 5
                                        ;         Child Loop BB77_27 Depth 4
                                        ;           Child Loop BB77_29 Depth 5
	v_mov_b32_e32 v69, v75
	s_mov_b64 s[20:21], 0
.LBB77_18:                              ;   Parent Loop BB77_3 Depth=1
                                        ;     Parent Loop BB77_14 Depth=2
                                        ;       Parent Loop BB77_17 Depth=3
                                        ; =>      This Inner Loop Header: Depth=4
	ds_load_b64 v[76:77], v69
	v_add_nc_u32_e32 v69, 0x60, v69
	s_wait_alu 0xfffe
	s_lshl_b32 m0, s20, 1
	s_add_nc_u64 s[20:21], s[20:21], 1
	s_wait_alu 0xfffe
	s_cmp_eq_u32 s36, s20
	s_wait_dscnt 0x0
	v_movreld_b32_e32 v34, v76
	v_movreld_b32_e32 v35, v77
	s_cbranch_scc0 .LBB77_18
; %bb.19:                               ;   in Loop: Header=BB77_17 Depth=3
	s_cmp_lt_i32 s3, 1
	s_cbranch_scc1 .LBB77_24
; %bb.20:                               ;   in Loop: Header=BB77_17 Depth=3
	s_mov_b32 s22, 0
	s_mov_b32 s23, s35
.LBB77_21:                              ;   Parent Loop BB77_3 Depth=1
                                        ;     Parent Loop BB77_14 Depth=2
                                        ;       Parent Loop BB77_17 Depth=3
                                        ; =>      This Loop Header: Depth=4
                                        ;           Child Loop BB77_22 Depth 5
	s_wait_alu 0xfffe
	v_mad_co_u64_u32 v[69:70], null, 0x60, s22, v[68:69]
	s_mov_b64 s[20:21], 0
	s_mov_b32 s24, s23
	ds_load_b64 v[69:70], v69
.LBB77_22:                              ;   Parent Loop BB77_3 Depth=1
                                        ;     Parent Loop BB77_14 Depth=2
                                        ;       Parent Loop BB77_17 Depth=3
                                        ;         Parent Loop BB77_21 Depth=4
                                        ; =>        This Inner Loop Header: Depth=5
	s_wait_alu 0xfffe
	v_mov_b32_e32 v76, s24
	s_lshl_b32 m0, s20, 1
	s_add_nc_u64 s[20:21], s[20:21], 1
	v_movrels_b32_e32 v79, v35
	v_movrels_b32_e32 v78, v34
	ds_load_b64 v[76:77], v76
	s_addk_co_i32 s24, 0x60
	s_wait_alu 0xfffe
	s_cmp_eq_u32 s36, s20
	s_wait_dscnt 0x0
	v_fma_f64 v[76:77], -v[69:70], v[76:77], v[78:79]
	s_delay_alu instid0(VALU_DEP_1) | instskip(NEXT) | instid1(VALU_DEP_2)
	v_movreld_b32_e32 v34, v76
	v_movreld_b32_e32 v35, v77
	s_cbranch_scc0 .LBB77_22
; %bb.23:                               ;   in Loop: Header=BB77_21 Depth=4
	s_add_co_i32 s22, s22, 1
	s_add_co_i32 s23, s23, 8
	s_wait_alu 0xfffe
	s_cmp_eq_u32 s22, s3
	s_cbranch_scc0 .LBB77_21
.LBB77_24:                              ;   in Loop: Header=BB77_17 Depth=3
	s_mul_i32 s40, s3, 0x60
	s_mov_b64 s[20:21], 0
	s_mov_b32 s41, s38
	s_branch .LBB77_27
.LBB77_25:                              ;   in Loop: Header=BB77_27 Depth=4
	s_mov_b32 s43, s3
	s_mov_b64 s[22:23], 0
	s_mov_b32 s42, s40
.LBB77_26:                              ;   in Loop: Header=BB77_27 Depth=4
	s_wait_alu 0xfffe
	s_mul_i32 s23, s43, 0x68
	s_lshl_b32 m0, s22, 1
	s_wait_alu 0xfffe
	v_mov_b32_e32 v69, s23
	v_movrels_b32_e32 v77, v35
	v_movrels_b32_e32 v76, v34
	s_add_nc_u64 s[20:21], s[20:21], 1
	s_addk_co_i32 s41, 0x60
	ds_load_b64 v[69:70], v69
	s_wait_alu 0xfffe
	s_cmp_eq_u32 s20, s36
	s_wait_dscnt 0x0
	v_mul_f64_e32 v[69:70], v[76:77], v[69:70]
	v_add_nc_u32_e32 v76, s42, v68
	s_delay_alu instid0(VALU_DEP_2) | instskip(NEXT) | instid1(VALU_DEP_3)
	v_movreld_b32_e32 v34, v69
	v_movreld_b32_e32 v35, v70
	ds_store_b64 v76, v[69:70]
	s_cbranch_scc1 .LBB77_16
.LBB77_27:                              ;   Parent Loop BB77_3 Depth=1
                                        ;     Parent Loop BB77_14 Depth=2
                                        ;       Parent Loop BB77_17 Depth=3
                                        ; =>      This Loop Header: Depth=4
                                        ;           Child Loop BB77_29 Depth 5
	s_wait_alu 0xfffe
	s_cmp_eq_u32 s20, 0
	s_cbranch_scc1 .LBB77_25
; %bb.28:                               ;   in Loop: Header=BB77_27 Depth=4
	s_add_co_i32 s43, s20, s3
	s_mov_b64 s[22:23], s[20:21]
	s_mov_b64 s[24:25], 0
	s_wait_alu 0xfffe
	s_mul_i32 s42, s43, 0x60
	s_lshl_b32 s23, s20, 1
	s_mov_b32 s44, s41
.LBB77_29:                              ;   Parent Loop BB77_3 Depth=1
                                        ;     Parent Loop BB77_14 Depth=2
                                        ;       Parent Loop BB77_17 Depth=3
                                        ;         Parent Loop BB77_27 Depth=4
                                        ; =>        This Inner Loop Header: Depth=5
	s_wait_alu 0xfffe
	v_mov_b32_e32 v69, s44
	s_lshl_b32 m0, s24, 1
	s_add_nc_u64 s[24:25], s[24:25], 1
	v_movrels_b32_e32 v77, v35
	v_movrels_b32_e32 v76, v34
	ds_load_b64 v[69:70], v69
	s_mov_b32 m0, s23
	s_add_co_i32 s44, s44, 8
	v_movrels_b32_e32 v79, v35
	v_movrels_b32_e32 v78, v34
	s_wait_alu 0xfffe
	s_cmp_eq_u32 s20, s24
	s_wait_dscnt 0x0
	s_delay_alu instid0(VALU_DEP_1) | instskip(NEXT) | instid1(VALU_DEP_1)
	v_fma_f64 v[69:70], -v[76:77], v[69:70], v[78:79]
	v_movreld_b32_e32 v34, v69
	s_delay_alu instid0(VALU_DEP_2)
	v_movreld_b32_e32 v35, v70
	s_cbranch_scc0 .LBB77_29
	s_branch .LBB77_26
.LBB77_30:                              ;   in Loop: Header=BB77_14 Depth=2
	s_cmp_lt_i32 s3, s1
	s_cselect_b32 s21, -1, 0
	s_add_co_i32 s20, s18, 1
	s_cmp_lt_u32 s18, 2
	s_cselect_b32 s18, -1, 0
	s_wait_alu 0xfffe
	s_and_b32 s18, s21, s18
	s_delay_alu instid0(SALU_CYCLE_1)
	s_and_b32 vcc_lo, exec_lo, s18
	s_wait_alu 0xfffe
	s_cbranch_vccz .LBB77_32
; %bb.31:                               ;   in Loop: Header=BB77_14 Depth=2
	s_mov_b32 s18, s20
	s_branch .LBB77_14
.LBB77_32:                              ;   in Loop: Header=BB77_3 Depth=1
	s_mov_b32 s3, 0
.LBB77_33:                              ;   in Loop: Header=BB77_3 Depth=1
	s_wait_alu 0xfffe
	s_and_b32 vcc_lo, exec_lo, s3
	s_wait_alu 0xfffe
	s_cbranch_vccz .LBB77_53
; %bb.34:                               ;   in Loop: Header=BB77_3 Depth=1
	s_mov_b32 s18, 0
	s_mov_b32 s3, s27
.LBB77_35:                              ;   Parent Loop BB77_3 Depth=1
                                        ; =>  This Loop Header: Depth=2
                                        ;       Child Loop BB77_38 Depth 3
                                        ;         Child Loop BB77_39 Depth 4
                                        ;         Child Loop BB77_41 Depth 4
                                        ;           Child Loop BB77_42 Depth 5
                                        ;         Child Loop BB77_47 Depth 4
                                        ;           Child Loop BB77_49 Depth 5
	s_getpc_b64 s[20:21]
	s_wait_alu 0xfffe
	s_sext_i32_i16 s21, s21
	s_add_co_u32 s20, s20, __const._ZL38rocblas_trsm_small_left_device_sharedBILi12ELi12ELb0EddPKPKdPKPdEv13rocblas_fill_18rocblas_operation_17rocblas_diagonal_iiT3_T4_lilT5_lili.step_sizes@rel32@lo+12
	s_wait_alu 0xfffe
	s_add_co_ci_u32 s21, s21, __const._ZL38rocblas_trsm_small_left_device_sharedBILi12ELi12ELb0EddPKPKdPKPdEv13rocblas_fill_18rocblas_operation_17rocblas_diagonal_iiT3_T4_lilT5_lili.step_sizes@rel32@hi+24
	s_lshl_b64 s[22:23], s[18:19], 2
	s_wait_alu 0xfffe
	s_add_nc_u64 s[20:21], s[20:21], s[22:23]
	s_load_b32 s33, s[20:21], 0x0
	s_wait_kmcnt 0x0
	s_add_co_i32 s34, s33, -1
	s_wait_alu 0xfffe
	s_cmp_lt_i32 s3, s34
	s_cbranch_scc1 .LBB77_50
; %bb.36:                               ;   in Loop: Header=BB77_35 Depth=2
	v_mad_co_u64_u32 v[34:35], null, 0x60, s3, v[68:69]
	s_lshl_b32 s20, s3, 3
	s_lshl_b32 s21, s33, 3
	s_max_i32 s35, s33, 1
	s_mul_i32 s36, s33, 0xffffffa0
	s_wait_alu 0xfffe
	s_add_co_i32 s37, s31, s20
	s_sub_co_i32 s38, 0, s21
	s_mul_i32 s39, s3, 0x68
	s_mul_i32 s40, s33, 0xffffff98
	s_branch .LBB77_38
.LBB77_37:                              ;   in Loop: Header=BB77_38 Depth=3
	v_add_nc_u32_e32 v34, s36, v34
	s_sub_co_i32 s3, s3, s33
	s_add_co_i32 s37, s37, s38
	s_add_co_i32 s39, s39, s40
	s_wait_alu 0xfffe
	s_cmp_lt_i32 s3, s34
	s_cbranch_scc1 .LBB77_50
.LBB77_38:                              ;   Parent Loop BB77_3 Depth=1
                                        ;     Parent Loop BB77_35 Depth=2
                                        ; =>    This Loop Header: Depth=3
                                        ;         Child Loop BB77_39 Depth 4
                                        ;         Child Loop BB77_41 Depth 4
                                        ;           Child Loop BB77_42 Depth 5
                                        ;         Child Loop BB77_47 Depth 4
                                        ;           Child Loop BB77_49 Depth 5
	v_mov_b32_e32 v35, v34
	s_mov_b64 s[20:21], 0
.LBB77_39:                              ;   Parent Loop BB77_3 Depth=1
                                        ;     Parent Loop BB77_35 Depth=2
                                        ;       Parent Loop BB77_38 Depth=3
                                        ; =>      This Inner Loop Header: Depth=4
	ds_load_b64 v[36:37], v35
	v_add_nc_u32_e32 v35, 0xffffffa0, v35
	s_wait_alu 0xfffe
	s_lshl_b32 m0, s20, 1
	s_add_nc_u64 s[20:21], s[20:21], 1
	s_wait_alu 0xfffe
	s_cmp_eq_u32 s35, s20
	s_wait_dscnt 0x0
	v_movreld_b32_e32 v2, v36
	v_movreld_b32_e32 v3, v37
	s_cbranch_scc0 .LBB77_39
; %bb.40:                               ;   in Loop: Header=BB77_38 Depth=3
	s_cmp_le_i32 s27, s3
	s_mov_b32 s22, s37
	s_mov_b32 s23, s27
	s_cbranch_scc1 .LBB77_44
.LBB77_41:                              ;   Parent Loop BB77_3 Depth=1
                                        ;     Parent Loop BB77_35 Depth=2
                                        ;       Parent Loop BB77_38 Depth=3
                                        ; =>      This Loop Header: Depth=4
                                        ;           Child Loop BB77_42 Depth 5
	s_wait_alu 0xfffe
	v_mad_co_u64_u32 v[35:36], null, 0x60, s23, v[68:69]
	s_mov_b64 s[20:21], 0
	s_mov_b32 s24, s22
	ds_load_b64 v[35:36], v35
.LBB77_42:                              ;   Parent Loop BB77_3 Depth=1
                                        ;     Parent Loop BB77_35 Depth=2
                                        ;       Parent Loop BB77_38 Depth=3
                                        ;         Parent Loop BB77_41 Depth=4
                                        ; =>        This Inner Loop Header: Depth=5
	s_wait_alu 0xfffe
	v_mov_b32_e32 v37, s24
	s_lshl_b32 m0, s20, 1
	s_add_nc_u64 s[20:21], s[20:21], 1
	v_movrels_b32_e32 v40, v3
	v_movrels_b32_e32 v39, v2
	ds_load_b64 v[37:38], v37
	s_add_co_i32 s24, s24, -8
	s_wait_alu 0xfffe
	s_cmp_eq_u32 s35, s20
	s_wait_dscnt 0x0
	v_fma_f64 v[37:38], -v[35:36], v[37:38], v[39:40]
	s_delay_alu instid0(VALU_DEP_1) | instskip(NEXT) | instid1(VALU_DEP_2)
	v_movreld_b32_e32 v2, v37
	v_movreld_b32_e32 v3, v38
	s_cbranch_scc0 .LBB77_42
; %bb.43:                               ;   in Loop: Header=BB77_41 Depth=4
	s_add_co_i32 s23, s23, -1
	s_addk_co_i32 s22, 0xffa0
	s_wait_alu 0xfffe
	s_cmp_le_i32 s23, s3
	s_cbranch_scc0 .LBB77_41
.LBB77_44:                              ;   in Loop: Header=BB77_38 Depth=3
	s_mov_b64 s[20:21], 0
	s_mov_b32 s41, s39
	s_branch .LBB77_47
.LBB77_45:                              ;   in Loop: Header=BB77_47 Depth=4
	s_mov_b32 s42, s3
	s_mov_b64 s[22:23], 0
.LBB77_46:                              ;   in Loop: Header=BB77_47 Depth=4
	s_wait_alu 0xfffe
	s_mul_i32 s23, s42, 0x68
	s_lshl_b32 m0, s22, 1
	s_wait_alu 0xfffe
	v_mov_b32_e32 v35, s23
	v_movrels_b32_e32 v38, v3
	v_movrels_b32_e32 v37, v2
	s_add_nc_u64 s[20:21], s[20:21], 1
	s_add_co_i32 s41, s41, -8
	ds_load_b64 v[35:36], v35
	s_wait_alu 0xfffe
	s_cmp_eq_u32 s20, s35
	s_wait_dscnt 0x0
	v_mul_f64_e32 v[35:36], v[37:38], v[35:36]
	v_mad_co_u64_u32 v[37:38], null, 0x60, s42, v[68:69]
	s_delay_alu instid0(VALU_DEP_2) | instskip(NEXT) | instid1(VALU_DEP_3)
	v_movreld_b32_e32 v2, v35
	v_movreld_b32_e32 v3, v36
	ds_store_b64 v37, v[35:36]
	s_cbranch_scc1 .LBB77_37
.LBB77_47:                              ;   Parent Loop BB77_3 Depth=1
                                        ;     Parent Loop BB77_35 Depth=2
                                        ;       Parent Loop BB77_38 Depth=3
                                        ; =>      This Loop Header: Depth=4
                                        ;           Child Loop BB77_49 Depth 5
	s_wait_alu 0xfffe
	s_cmp_eq_u32 s20, 0
	s_cbranch_scc1 .LBB77_45
; %bb.48:                               ;   in Loop: Header=BB77_47 Depth=4
	s_mov_b64 s[22:23], s[20:21]
	s_sub_co_i32 s42, s3, s20
	s_mov_b64 s[24:25], 0
	s_lshl_b32 s23, s20, 1
	s_mov_b32 s43, s41
.LBB77_49:                              ;   Parent Loop BB77_3 Depth=1
                                        ;     Parent Loop BB77_35 Depth=2
                                        ;       Parent Loop BB77_38 Depth=3
                                        ;         Parent Loop BB77_47 Depth=4
                                        ; =>        This Inner Loop Header: Depth=5
	s_wait_alu 0xfffe
	v_mov_b32_e32 v35, s43
	s_lshl_b32 m0, s24, 1
	s_add_nc_u64 s[24:25], s[24:25], 1
	v_movrels_b32_e32 v38, v3
	v_movrels_b32_e32 v37, v2
	ds_load_b64 v[35:36], v35
	s_mov_b32 m0, s23
	s_addk_co_i32 s43, 0xffa0
	v_movrels_b32_e32 v40, v3
	v_movrels_b32_e32 v39, v2
	s_wait_alu 0xfffe
	s_cmp_eq_u32 s20, s24
	s_wait_dscnt 0x0
	s_delay_alu instid0(VALU_DEP_1) | instskip(NEXT) | instid1(VALU_DEP_1)
	v_fma_f64 v[35:36], -v[37:38], v[35:36], v[39:40]
	v_movreld_b32_e32 v2, v35
	s_delay_alu instid0(VALU_DEP_2)
	v_movreld_b32_e32 v3, v36
	s_cbranch_scc0 .LBB77_49
	s_branch .LBB77_46
.LBB77_50:                              ;   in Loop: Header=BB77_35 Depth=2
	s_cmp_gt_i32 s3, -1
	s_cselect_b32 s21, -1, 0
	s_add_co_i32 s20, s18, 1
	s_cmp_lt_u32 s18, 2
	s_cselect_b32 s18, -1, 0
	s_wait_alu 0xfffe
	s_and_b32 s18, s21, s18
	s_delay_alu instid0(SALU_CYCLE_1)
	s_and_not1_b32 vcc_lo, exec_lo, s18
	s_wait_alu 0xfffe
	s_cbranch_vccnz .LBB77_52
; %bb.51:                               ;   in Loop: Header=BB77_35 Depth=2
	s_mov_b32 s18, s20
	s_branch .LBB77_35
.LBB77_52:                              ;   in Loop: Header=BB77_3 Depth=1
	v_dual_mov_b32 v65, v33 :: v_dual_mov_b32 v64, v32
	v_dual_mov_b32 v63, v31 :: v_dual_mov_b32 v62, v30
	;; [unrolled: 1-line block ×16, first 2 shown]
.LBB77_53:                              ;   in Loop: Header=BB77_3 Depth=1
	; wave barrier
	s_wait_loadcnt_dscnt 0x0
	global_inv scope:SCOPE_SE
	s_and_saveexec_b32 s3, s30
	s_cbranch_execz .LBB77_2
; %bb.54:                               ;   in Loop: Header=BB77_3 Depth=1
	v_lshlrev_b64_e32 v[2:3], 3, v[66:67]
	v_mov_b32_e32 v4, v68
	s_mov_b32 s18, s1
	s_delay_alu instid0(VALU_DEP_2) | instskip(SKIP_1) | instid1(VALU_DEP_3)
	v_add_co_u32 v2, vcc_lo, v73, v2
	s_wait_alu 0xfffd
	v_add_co_ci_u32_e64 v3, null, v74, v3, vcc_lo
.LBB77_55:                              ;   Parent Loop BB77_3 Depth=1
                                        ; =>  This Inner Loop Header: Depth=2
	ds_load_b64 v[5:6], v4
	v_add_nc_u32_e32 v4, 0x60, v4
	s_add_co_i32 s18, s18, -1
	s_delay_alu instid0(SALU_CYCLE_1)
	s_cmp_lg_u32 s18, 0
	s_wait_dscnt 0x0
	flat_store_b64 v[2:3], v[5:6]
	v_add_co_u32 v2, vcc_lo, v2, 8
	s_wait_alu 0xfffd
	v_add_co_ci_u32_e64 v3, null, 0, v3, vcc_lo
	s_cbranch_scc1 .LBB77_55
	s_branch .LBB77_2
.LBB77_56:
	s_endpgm
	.section	.rodata,"a",@progbits
	.p2align	6, 0x0
	.amdhsa_kernel _ZL38rocblas_trsm_small_left_device_sharedBILi12ELi12ELb0EddPKPKdPKPdEv13rocblas_fill_18rocblas_operation_17rocblas_diagonal_iiT3_T4_lilT5_lili
		.amdhsa_group_segment_fixed_size 2304
		.amdhsa_private_segment_fixed_size 0
		.amdhsa_kernarg_size 360
		.amdhsa_user_sgpr_count 2
		.amdhsa_user_sgpr_dispatch_ptr 0
		.amdhsa_user_sgpr_queue_ptr 0
		.amdhsa_user_sgpr_kernarg_segment_ptr 1
		.amdhsa_user_sgpr_dispatch_id 0
		.amdhsa_user_sgpr_private_segment_size 0
		.amdhsa_wavefront_size32 1
		.amdhsa_uses_dynamic_stack 0
		.amdhsa_enable_private_segment 0
		.amdhsa_system_sgpr_workgroup_id_x 1
		.amdhsa_system_sgpr_workgroup_id_y 0
		.amdhsa_system_sgpr_workgroup_id_z 1
		.amdhsa_system_sgpr_workgroup_info 0
		.amdhsa_system_vgpr_workitem_id 0
		.amdhsa_next_free_vgpr 80
		.amdhsa_next_free_sgpr 45
		.amdhsa_reserve_vcc 1
		.amdhsa_float_round_mode_32 0
		.amdhsa_float_round_mode_16_64 0
		.amdhsa_float_denorm_mode_32 3
		.amdhsa_float_denorm_mode_16_64 3
		.amdhsa_fp16_overflow 0
		.amdhsa_workgroup_processor_mode 1
		.amdhsa_memory_ordered 1
		.amdhsa_forward_progress 1
		.amdhsa_inst_pref_size 24
		.amdhsa_round_robin_scheduling 0
		.amdhsa_exception_fp_ieee_invalid_op 0
		.amdhsa_exception_fp_denorm_src 0
		.amdhsa_exception_fp_ieee_div_zero 0
		.amdhsa_exception_fp_ieee_overflow 0
		.amdhsa_exception_fp_ieee_underflow 0
		.amdhsa_exception_fp_ieee_inexact 0
		.amdhsa_exception_int_div_zero 0
	.end_amdhsa_kernel
	.section	.text._ZL38rocblas_trsm_small_left_device_sharedBILi12ELi12ELb0EddPKPKdPKPdEv13rocblas_fill_18rocblas_operation_17rocblas_diagonal_iiT3_T4_lilT5_lili,"axG",@progbits,_ZL38rocblas_trsm_small_left_device_sharedBILi12ELi12ELb0EddPKPKdPKPdEv13rocblas_fill_18rocblas_operation_17rocblas_diagonal_iiT3_T4_lilT5_lili,comdat
.Lfunc_end77:
	.size	_ZL38rocblas_trsm_small_left_device_sharedBILi12ELi12ELb0EddPKPKdPKPdEv13rocblas_fill_18rocblas_operation_17rocblas_diagonal_iiT3_T4_lilT5_lili, .Lfunc_end77-_ZL38rocblas_trsm_small_left_device_sharedBILi12ELi12ELb0EddPKPKdPKPdEv13rocblas_fill_18rocblas_operation_17rocblas_diagonal_iiT3_T4_lilT5_lili
                                        ; -- End function
	.set _ZL38rocblas_trsm_small_left_device_sharedBILi12ELi12ELb0EddPKPKdPKPdEv13rocblas_fill_18rocblas_operation_17rocblas_diagonal_iiT3_T4_lilT5_lili.num_vgpr, 80
	.set _ZL38rocblas_trsm_small_left_device_sharedBILi12ELi12ELb0EddPKPKdPKPdEv13rocblas_fill_18rocblas_operation_17rocblas_diagonal_iiT3_T4_lilT5_lili.num_agpr, 0
	.set _ZL38rocblas_trsm_small_left_device_sharedBILi12ELi12ELb0EddPKPKdPKPdEv13rocblas_fill_18rocblas_operation_17rocblas_diagonal_iiT3_T4_lilT5_lili.numbered_sgpr, 45
	.set _ZL38rocblas_trsm_small_left_device_sharedBILi12ELi12ELb0EddPKPKdPKPdEv13rocblas_fill_18rocblas_operation_17rocblas_diagonal_iiT3_T4_lilT5_lili.num_named_barrier, 0
	.set _ZL38rocblas_trsm_small_left_device_sharedBILi12ELi12ELb0EddPKPKdPKPdEv13rocblas_fill_18rocblas_operation_17rocblas_diagonal_iiT3_T4_lilT5_lili.private_seg_size, 0
	.set _ZL38rocblas_trsm_small_left_device_sharedBILi12ELi12ELb0EddPKPKdPKPdEv13rocblas_fill_18rocblas_operation_17rocblas_diagonal_iiT3_T4_lilT5_lili.uses_vcc, 1
	.set _ZL38rocblas_trsm_small_left_device_sharedBILi12ELi12ELb0EddPKPKdPKPdEv13rocblas_fill_18rocblas_operation_17rocblas_diagonal_iiT3_T4_lilT5_lili.uses_flat_scratch, 0
	.set _ZL38rocblas_trsm_small_left_device_sharedBILi12ELi12ELb0EddPKPKdPKPdEv13rocblas_fill_18rocblas_operation_17rocblas_diagonal_iiT3_T4_lilT5_lili.has_dyn_sized_stack, 0
	.set _ZL38rocblas_trsm_small_left_device_sharedBILi12ELi12ELb0EddPKPKdPKPdEv13rocblas_fill_18rocblas_operation_17rocblas_diagonal_iiT3_T4_lilT5_lili.has_recursion, 0
	.set _ZL38rocblas_trsm_small_left_device_sharedBILi12ELi12ELb0EddPKPKdPKPdEv13rocblas_fill_18rocblas_operation_17rocblas_diagonal_iiT3_T4_lilT5_lili.has_indirect_call, 0
	.section	.AMDGPU.csdata,"",@progbits
; Kernel info:
; codeLenInByte = 2948
; TotalNumSgprs: 47
; NumVgprs: 80
; ScratchSize: 0
; MemoryBound: 0
; FloatMode: 240
; IeeeMode: 1
; LDSByteSize: 2304 bytes/workgroup (compile time only)
; SGPRBlocks: 0
; VGPRBlocks: 9
; NumSGPRsForWavesPerEU: 47
; NumVGPRsForWavesPerEU: 80
; Occupancy: 14
; WaveLimiterHint : 0
; COMPUTE_PGM_RSRC2:SCRATCH_EN: 0
; COMPUTE_PGM_RSRC2:USER_SGPR: 2
; COMPUTE_PGM_RSRC2:TRAP_HANDLER: 0
; COMPUTE_PGM_RSRC2:TGID_X_EN: 1
; COMPUTE_PGM_RSRC2:TGID_Y_EN: 0
; COMPUTE_PGM_RSRC2:TGID_Z_EN: 1
; COMPUTE_PGM_RSRC2:TIDIG_COMP_CNT: 0
	.section	.text._ZL30rocblas_trsm_small_left_deviceILi12ELi12ELb0EddPKPKdPKPdEv13rocblas_fill_18rocblas_operation_17rocblas_diagonal_iiT3_T4_lilT5_lili,"axG",@progbits,_ZL30rocblas_trsm_small_left_deviceILi12ELi12ELb0EddPKPKdPKPdEv13rocblas_fill_18rocblas_operation_17rocblas_diagonal_iiT3_T4_lilT5_lili,comdat
	.globl	_ZL30rocblas_trsm_small_left_deviceILi12ELi12ELb0EddPKPKdPKPdEv13rocblas_fill_18rocblas_operation_17rocblas_diagonal_iiT3_T4_lilT5_lili ; -- Begin function _ZL30rocblas_trsm_small_left_deviceILi12ELi12ELb0EddPKPKdPKPdEv13rocblas_fill_18rocblas_operation_17rocblas_diagonal_iiT3_T4_lilT5_lili
	.p2align	8
	.type	_ZL30rocblas_trsm_small_left_deviceILi12ELi12ELb0EddPKPKdPKPdEv13rocblas_fill_18rocblas_operation_17rocblas_diagonal_iiT3_T4_lilT5_lili,@function
_ZL30rocblas_trsm_small_left_deviceILi12ELi12ELb0EddPKPKdPKPdEv13rocblas_fill_18rocblas_operation_17rocblas_diagonal_iiT3_T4_lilT5_lili: ; @_ZL30rocblas_trsm_small_left_deviceILi12ELi12ELb0EddPKPKdPKPdEv13rocblas_fill_18rocblas_operation_17rocblas_diagonal_iiT3_T4_lilT5_lili
; %bb.0:
	s_load_b32 s33, s[0:1], 0x60
	s_lshr_b32 s2, ttmp7, 16
	s_wait_kmcnt 0x0
	s_cmp_ge_u32 s2, s33
	s_cbranch_scc1 .LBB78_53
; %bb.1:
	s_clause 0x5
	s_load_b96 s[16:18], s[0:1], 0x28
	s_load_b128 s[12:15], s[0:1], 0x4
	s_load_b32 s3, s[0:1], 0x68
	s_load_b32 s20, s[0:1], 0x50
	s_load_b128 s[4:7], s[0:1], 0x18
	s_load_b128 s[8:11], s[0:1], 0x40
	v_mad_co_u64_u32 v[2:3], null, ttmp9, 12, v[0:1]
	s_mul_i32 s0, ttmp9, -12
	v_dual_mov_b32 v1, 0 :: v_dual_lshlrev_b32 v74, 3, v0
	v_mul_u32_u24_e32 v34, 0x60, v0
	s_mov_b32 s41, 0
	s_delay_alu instid0(VALU_DEP_2)
	v_dual_mov_b32 v4, v1 :: v_dual_mov_b32 v5, v1
	v_dual_mov_b32 v6, v1 :: v_dual_mov_b32 v7, v1
	;; [unrolled: 1-line block ×3, first 2 shown]
	s_wait_kmcnt 0x0
	s_min_i32 s36, s14, 12
	s_add_co_i32 s3, s3, -1
	v_mad_co_i64_i32 v[2:3], null, s20, v2, 0
	s_ashr_i32 s19, s18, 31
	s_wait_alu 0xfffe
	s_add_co_i32 s0, s15, s0
	s_add_co_i32 s37, s36, -1
	s_wait_alu 0xfffe
	s_cmp_ge_u32 ttmp9, s3
	v_dual_mov_b32 v10, v1 :: v_dual_mov_b32 v11, v1
	s_cselect_b32 s1, s0, 12
	s_cmp_lg_u32 s13, 0x84
	v_lshlrev_b64_e32 v[66:67], 3, v[2:3]
	s_cselect_b32 s38, -1, 0
	s_cmp_lg_u32 s12, 0x6f
	v_dual_mov_b32 v2, v1 :: v_dual_mov_b32 v3, v1
	s_cselect_b32 s39, -1, 0
	s_lshl_b64 s[10:11], s[10:11], 3
	v_dual_mov_b32 v12, v1 :: v_dual_mov_b32 v13, v1
	v_dual_mov_b32 v14, v1 :: v_dual_mov_b32 v15, v1
	;; [unrolled: 1-line block ×6, first 2 shown]
	v_dual_mov_b32 v24, v1 :: v_dual_add_nc_u32 v77, v74, v34
	v_add_co_u32 v75, vcc_lo, v66, s10
	v_cmp_gt_i32_e64 s0, s36, v0
	s_wait_alu 0xfffe
	v_cmp_gt_i32_e64 s1, s1, v0
	v_dual_mov_b32 v33, v32 :: v_dual_lshlrev_b32 v0, 3, v0
	v_add_co_ci_u32_e64 v76, null, s11, v67, vcc_lo
	v_mov_b32_e32 v32, v31
	v_mov_b32_e32 v31, v30
	;; [unrolled: 1-line block ×31, first 2 shown]
	s_mul_i32 s40, s36, 0x60
	s_lshl_b64 s[12:13], s[18:19], 3
	s_mov_b32 s15, 0
	s_addk_co_i32 s40, 0xffa0
	s_lshl_b64 s[16:17], s[16:17], 3
	s_branch .LBB78_5
.LBB78_2:                               ;   in Loop: Header=BB78_5 Depth=1
	v_dual_mov_b32 v65, v33 :: v_dual_mov_b32 v64, v32
	v_dual_mov_b32 v63, v31 :: v_dual_mov_b32 v62, v30
	;; [unrolled: 1-line block ×16, first 2 shown]
.LBB78_3:                               ;   in Loop: Header=BB78_5 Depth=1
	s_add_co_i32 s2, s2, 0x10000
	s_delay_alu instid0(SALU_CYCLE_1) | instskip(SKIP_1) | instid1(SALU_CYCLE_1)
	s_cmp_ge_u32 s2, s33
	s_cselect_b32 s14, -1, 0
	s_or_not1_b32 s14, s14, exec_lo
.LBB78_4:                               ;   in Loop: Header=BB78_5 Depth=1
	s_or_b32 exec_lo, exec_lo, s3
	v_dual_mov_b32 v2, v34 :: v_dual_mov_b32 v3, v35
	v_dual_mov_b32 v4, v36 :: v_dual_mov_b32 v5, v37
	;; [unrolled: 1-line block ×16, first 2 shown]
	s_and_b32 s3, exec_lo, s14
	s_delay_alu instid0(SALU_CYCLE_1) | instskip(NEXT) | instid1(SALU_CYCLE_1)
	s_or_b32 s41, s3, s41
	s_and_not1_b32 exec_lo, exec_lo, s41
	s_cbranch_execz .LBB78_53
.LBB78_5:                               ; =>This Loop Header: Depth=1
                                        ;     Child Loop BB78_7 Depth 2
                                        ;     Child Loop BB78_14 Depth 2
                                        ;       Child Loop BB78_17 Depth 3
                                        ;         Child Loop BB78_18 Depth 4
                                        ;         Child Loop BB78_21 Depth 4
                                        ;           Child Loop BB78_22 Depth 5
                                        ;         Child Loop BB78_27 Depth 4
                                        ;           Child Loop BB78_29 Depth 5
                                        ;     Child Loop BB78_35 Depth 2
                                        ;       Child Loop BB78_38 Depth 3
                                        ;         Child Loop BB78_39 Depth 4
                                        ;         Child Loop BB78_41 Depth 4
                                        ;           Child Loop BB78_42 Depth 5
                                        ;         Child Loop BB78_47 Depth 4
                                        ;           Child Loop BB78_49 Depth 5
	s_mov_b32 s3, s15
	s_delay_alu instid0(SALU_CYCLE_1) | instskip(NEXT) | instid1(SALU_CYCLE_1)
	s_lshl_b64 s[18:19], s[2:3], 3
	s_add_nc_u64 s[20:21], s[8:9], s[18:19]
	global_load_b64 v[68:69], v1, s[20:21]
	s_and_saveexec_b32 s3, s0
	s_cbranch_execz .LBB78_11
; %bb.6:                                ;   in Loop: Header=BB78_5 Depth=1
	s_add_nc_u64 s[18:19], s[6:7], s[18:19]
	v_mov_b32_e32 v36, v74
	global_load_b64 v[34:35], v1, s[18:19]
	s_mov_b32 s14, s36
	s_wait_loadcnt 0x0
	v_add_co_u32 v34, vcc_lo, v34, s16
	s_wait_alu 0xfffd
	v_add_co_ci_u32_e64 v35, null, s17, v35, vcc_lo
	s_delay_alu instid0(VALU_DEP_2) | instskip(SKIP_1) | instid1(VALU_DEP_2)
	v_add_co_u32 v34, vcc_lo, v34, v0
	s_wait_alu 0xfffd
	v_add_co_ci_u32_e64 v35, null, 0, v35, vcc_lo
.LBB78_7:                               ;   Parent Loop BB78_5 Depth=1
                                        ; =>  This Inner Loop Header: Depth=2
	flat_load_b64 v[37:38], v[34:35]
	v_add_co_u32 v34, vcc_lo, v34, s12
	s_wait_alu 0xfffd
	v_add_co_ci_u32_e64 v35, null, s13, v35, vcc_lo
	s_add_co_i32 s14, s14, -1
	s_delay_alu instid0(SALU_CYCLE_1)
	s_cmp_eq_u32 s14, 0
	s_wait_loadcnt_dscnt 0x0
	ds_store_b64 v36, v[37:38]
	v_add_nc_u32_e32 v36, 0x60, v36
	s_cbranch_scc0 .LBB78_7
; %bb.8:                                ;   in Loop: Header=BB78_5 Depth=1
	v_mov_b32_e32 v34, 0
	v_mov_b32_e32 v35, 0x3ff00000
	s_and_b32 vcc_lo, exec_lo, s38
	s_wait_alu 0xfffe
	s_cbranch_vccz .LBB78_10
; %bb.9:                                ;   in Loop: Header=BB78_5 Depth=1
	ds_load_b64 v[34:35], v77
	s_wait_dscnt 0x0
	v_div_scale_f64 v[36:37], null, v[34:35], v[34:35], 1.0
	s_delay_alu instid0(VALU_DEP_1) | instskip(NEXT) | instid1(TRANS32_DEP_1)
	v_rcp_f64_e32 v[38:39], v[36:37]
	v_fma_f64 v[40:41], -v[36:37], v[38:39], 1.0
	s_delay_alu instid0(VALU_DEP_1) | instskip(NEXT) | instid1(VALU_DEP_1)
	v_fma_f64 v[38:39], v[38:39], v[40:41], v[38:39]
	v_fma_f64 v[40:41], -v[36:37], v[38:39], 1.0
	s_delay_alu instid0(VALU_DEP_1) | instskip(SKIP_1) | instid1(VALU_DEP_1)
	v_fma_f64 v[38:39], v[38:39], v[40:41], v[38:39]
	v_div_scale_f64 v[40:41], vcc_lo, 1.0, v[34:35], 1.0
	v_mul_f64_e32 v[42:43], v[40:41], v[38:39]
	s_delay_alu instid0(VALU_DEP_1) | instskip(SKIP_1) | instid1(VALU_DEP_1)
	v_fma_f64 v[36:37], -v[36:37], v[42:43], v[40:41]
	s_wait_alu 0xfffd
	v_div_fmas_f64 v[36:37], v[36:37], v[38:39], v[42:43]
	s_delay_alu instid0(VALU_DEP_1)
	v_div_fixup_f64 v[34:35], v[36:37], v[34:35], 1.0
.LBB78_10:                              ;   in Loop: Header=BB78_5 Depth=1
	ds_store_b64 v77, v[34:35]
.LBB78_11:                              ;   in Loop: Header=BB78_5 Depth=1
	s_or_b32 exec_lo, exec_lo, s3
	s_mov_b32 s14, -1
	; wave barrier
	s_wait_loadcnt_dscnt 0x0
	global_inv scope:SCOPE_SE
                                        ; implicit-def: $vgpr34_vgpr35_vgpr36_vgpr37_vgpr38_vgpr39_vgpr40_vgpr41_vgpr42_vgpr43_vgpr44_vgpr45_vgpr46_vgpr47_vgpr48_vgpr49_vgpr50_vgpr51_vgpr52_vgpr53_vgpr54_vgpr55_vgpr56_vgpr57_vgpr58_vgpr59_vgpr60_vgpr61_vgpr62_vgpr63_vgpr64_vgpr65
	s_and_saveexec_b32 s3, s1
	s_cbranch_execz .LBB78_4
; %bb.12:                               ;   in Loop: Header=BB78_5 Depth=1
	v_add_co_u32 v34, vcc_lo, v68, s10
	s_wait_alu 0xfffd
	v_add_co_ci_u32_e64 v35, null, s11, v69, vcc_lo
	s_delay_alu instid0(VALU_DEP_2) | instskip(SKIP_1) | instid1(VALU_DEP_2)
	v_add_co_u32 v78, vcc_lo, v34, v66
	s_wait_alu 0xfffd
	v_add_co_ci_u32_e64 v79, null, v35, v67, vcc_lo
	s_and_not1_b32 vcc_lo, exec_lo, s39
                                        ; implicit-def: $vgpr34_vgpr35_vgpr36_vgpr37_vgpr38_vgpr39_vgpr40_vgpr41_vgpr42_vgpr43_vgpr44_vgpr45_vgpr46_vgpr47_vgpr48_vgpr49_vgpr50_vgpr51_vgpr52_vgpr53_vgpr54_vgpr55_vgpr56_vgpr57_vgpr58_vgpr59_vgpr60_vgpr61_vgpr62_vgpr63_vgpr64_vgpr65
	s_wait_alu 0xfffe
	s_cbranch_vccnz .LBB78_33
; %bb.13:                               ;   in Loop: Header=BB78_5 Depth=1
	v_add_co_u32 v80, vcc_lo, v68, v75
	v_dual_mov_b32 v65, v33 :: v_dual_mov_b32 v64, v32
	v_dual_mov_b32 v63, v31 :: v_dual_mov_b32 v62, v30
	;; [unrolled: 1-line block ×16, first 2 shown]
	s_wait_alu 0xfffd
	v_add_co_ci_u32_e64 v81, null, v69, v76, vcc_lo
	s_mov_b32 s20, 0
	s_mov_b32 s18, 0
.LBB78_14:                              ;   Parent Loop BB78_5 Depth=1
                                        ; =>  This Loop Header: Depth=2
                                        ;       Child Loop BB78_17 Depth 3
                                        ;         Child Loop BB78_18 Depth 4
                                        ;         Child Loop BB78_21 Depth 4
                                        ;           Child Loop BB78_22 Depth 5
                                        ;         Child Loop BB78_27 Depth 4
                                        ;           Child Loop BB78_29 Depth 5
	s_mov_b32 s21, s15
	s_getpc_b64 s[22:23]
	s_wait_alu 0xfffe
	s_sext_i32_i16 s23, s23
	s_add_co_u32 s22, s22, __const._ZL30rocblas_trsm_small_left_deviceILi12ELi12ELb0EddPKPKdPKPdEv13rocblas_fill_18rocblas_operation_17rocblas_diagonal_iiT3_T4_lilT5_lili.step_sizes@rel32@lo+12
	s_wait_alu 0xfffe
	s_add_co_ci_u32 s23, s23, __const._ZL30rocblas_trsm_small_left_deviceILi12ELi12ELb0EddPKPKdPKPdEv13rocblas_fill_18rocblas_operation_17rocblas_diagonal_iiT3_T4_lilT5_lili.step_sizes@rel32@hi+24
	s_lshl_b64 s[24:25], s[20:21], 2
	s_wait_alu 0xfffe
	s_add_nc_u64 s[22:23], s[22:23], s[24:25]
	s_load_b32 s22, s[22:23], 0x0
	s_wait_kmcnt 0x0
	s_add_co_i32 s21, s22, -1
	s_wait_alu 0xfffe
	s_add_co_i32 s14, s21, s18
	s_delay_alu instid0(SALU_CYCLE_1)
	s_cmp_ge_i32 s14, s36
	s_cbranch_scc1 .LBB78_30
; %bb.15:                               ;   in Loop: Header=BB78_14 Depth=2
	s_ashr_i32 s19, s18, 31
	s_ashr_i32 s23, s22, 31
	s_lshl_b64 s[24:25], s[18:19], 3
	s_max_i32 s42, s22, 1
	s_wait_alu 0xfffe
	v_add_co_u32 v70, vcc_lo, v80, s24
	s_wait_alu 0xfffd
	v_add_co_ci_u32_e64 v71, null, s25, v81, vcc_lo
	s_lshl_b64 s[24:25], s[22:23], 3
	s_mul_i32 s19, s18, 0x60
	s_mul_i32 s23, s22, 0x60
	;; [unrolled: 1-line block ×4, first 2 shown]
	s_branch .LBB78_17
.LBB78_16:                              ;   in Loop: Header=BB78_17 Depth=3
	v_add_co_u32 v70, vcc_lo, v70, s24
	s_add_co_i32 s18, s18, s22
	s_wait_alu 0xfffd
	v_add_co_ci_u32_e64 v71, null, s25, v71, vcc_lo
	s_add_co_i32 s14, s21, s18
	s_add_co_i32 s19, s19, s23
	;; [unrolled: 1-line block ×3, first 2 shown]
	s_cmp_ge_i32 s14, s36
	s_cbranch_scc1 .LBB78_30
.LBB78_17:                              ;   Parent Loop BB78_5 Depth=1
                                        ;     Parent Loop BB78_14 Depth=2
                                        ; =>    This Loop Header: Depth=3
                                        ;         Child Loop BB78_18 Depth 4
                                        ;         Child Loop BB78_21 Depth 4
                                        ;           Child Loop BB78_22 Depth 5
                                        ;         Child Loop BB78_27 Depth 4
                                        ;           Child Loop BB78_29 Depth 5
	v_dual_mov_b32 v73, v71 :: v_dual_mov_b32 v72, v70
	s_mov_b64 s[26:27], 0
.LBB78_18:                              ;   Parent Loop BB78_5 Depth=1
                                        ;     Parent Loop BB78_14 Depth=2
                                        ;       Parent Loop BB78_17 Depth=3
                                        ; =>      This Inner Loop Header: Depth=4
	flat_load_b64 v[82:83], v[72:73]
	v_add_co_u32 v72, vcc_lo, v72, 8
	s_wait_alu 0xfffd
	v_add_co_ci_u32_e64 v73, null, 0, v73, vcc_lo
	s_wait_alu 0xfffe
	s_lshl_b32 m0, s26, 1
	s_add_nc_u64 s[26:27], s[26:27], 1
	s_wait_alu 0xfffe
	s_cmp_eq_u32 s42, s26
	s_wait_loadcnt_dscnt 0x0
	v_mul_f64_e32 v[82:83], s[4:5], v[82:83]
	s_delay_alu instid0(VALU_DEP_1) | instskip(NEXT) | instid1(VALU_DEP_2)
	v_movreld_b32_e32 v34, v82
	v_movreld_b32_e32 v35, v83
	s_cbranch_scc0 .LBB78_18
; %bb.19:                               ;   in Loop: Header=BB78_17 Depth=3
	s_cmp_lt_i32 s18, 1
	s_cbranch_scc1 .LBB78_24
; %bb.20:                               ;   in Loop: Header=BB78_17 Depth=3
	s_mov_b32 s14, 0
	s_mov_b32 s28, s19
.LBB78_21:                              ;   Parent Loop BB78_5 Depth=1
                                        ;     Parent Loop BB78_14 Depth=2
                                        ;       Parent Loop BB78_17 Depth=3
                                        ; =>      This Loop Header: Depth=4
                                        ;           Child Loop BB78_22 Depth 5
	s_lshl_b64 s[26:27], s[14:15], 3
	s_wait_alu 0xfffe
	s_mov_b32 s29, s28
	v_add_co_u32 v72, vcc_lo, v78, s26
	s_wait_alu 0xfffd
	v_add_co_ci_u32_e64 v73, null, s27, v79, vcc_lo
	s_mov_b64 s[26:27], 0
	flat_load_b64 v[72:73], v[72:73]
.LBB78_22:                              ;   Parent Loop BB78_5 Depth=1
                                        ;     Parent Loop BB78_14 Depth=2
                                        ;       Parent Loop BB78_17 Depth=3
                                        ;         Parent Loop BB78_21 Depth=4
                                        ; =>        This Inner Loop Header: Depth=5
	s_wait_alu 0xfffe
	v_mov_b32_e32 v82, s29
	s_lshl_b32 m0, s26, 1
	s_add_nc_u64 s[26:27], s[26:27], 1
	v_movrels_b32_e32 v85, v35
	v_movrels_b32_e32 v84, v34
	ds_load_b64 v[82:83], v82
	s_addk_co_i32 s29, 0x60
	s_wait_alu 0xfffe
	s_cmp_eq_u32 s42, s26
	s_wait_loadcnt_dscnt 0x0
	v_fma_f64 v[82:83], -v[72:73], v[82:83], v[84:85]
	s_delay_alu instid0(VALU_DEP_1) | instskip(NEXT) | instid1(VALU_DEP_2)
	v_movreld_b32_e32 v34, v82
	v_movreld_b32_e32 v35, v83
	s_cbranch_scc0 .LBB78_22
; %bb.23:                               ;   in Loop: Header=BB78_21 Depth=4
	s_add_co_i32 s14, s14, 1
	s_add_co_i32 s28, s28, 8
	s_cmp_eq_u32 s14, s18
	s_cbranch_scc0 .LBB78_21
.LBB78_24:                              ;   in Loop: Header=BB78_17 Depth=3
	s_mov_b64 s[26:27], 0
	s_mov_b32 s14, s43
	s_branch .LBB78_27
.LBB78_25:                              ;   in Loop: Header=BB78_27 Depth=4
	s_mov_b32 s28, s18
	s_mov_b64 s[30:31], 0
.LBB78_26:                              ;   in Loop: Header=BB78_27 Depth=4
	s_wait_alu 0xfffe
	s_mul_i32 s29, s28, 0x68
	s_lshl_b32 m0, s30, 1
	s_wait_alu 0xfffe
	v_mov_b32_e32 v72, s29
	v_movrels_b32_e32 v83, v35
	v_movrels_b32_e32 v82, v34
	s_ashr_i32 s29, s28, 31
	s_add_nc_u64 s[26:27], s[26:27], 1
	ds_load_b64 v[72:73], v72
	s_wait_alu 0xfffe
	s_lshl_b64 s[28:29], s[28:29], 3
	s_addk_co_i32 s14, 0x60
	s_cmp_eq_u32 s26, s42
	s_wait_dscnt 0x0
	v_mul_f64_e32 v[72:73], v[82:83], v[72:73]
	s_wait_alu 0xfffe
	v_add_co_u32 v82, vcc_lo, v78, s28
	s_wait_alu 0xfffd
	v_add_co_ci_u32_e64 v83, null, s29, v79, vcc_lo
	s_delay_alu instid0(VALU_DEP_3) | instskip(NEXT) | instid1(VALU_DEP_4)
	v_movreld_b32_e32 v34, v72
	v_movreld_b32_e32 v35, v73
	flat_store_b64 v[82:83], v[72:73]
	s_cbranch_scc1 .LBB78_16
.LBB78_27:                              ;   Parent Loop BB78_5 Depth=1
                                        ;     Parent Loop BB78_14 Depth=2
                                        ;       Parent Loop BB78_17 Depth=3
                                        ; =>      This Loop Header: Depth=4
                                        ;           Child Loop BB78_29 Depth 5
	s_wait_alu 0xfffe
	s_cmp_eq_u32 s26, 0
	s_cbranch_scc1 .LBB78_25
; %bb.28:                               ;   in Loop: Header=BB78_27 Depth=4
	s_mov_b64 s[30:31], s[26:27]
	s_add_co_i32 s28, s26, s18
	s_mov_b64 s[34:35], 0
	s_lshl_b32 s29, s26, 1
	s_mov_b32 s31, s14
.LBB78_29:                              ;   Parent Loop BB78_5 Depth=1
                                        ;     Parent Loop BB78_14 Depth=2
                                        ;       Parent Loop BB78_17 Depth=3
                                        ;         Parent Loop BB78_27 Depth=4
                                        ; =>        This Inner Loop Header: Depth=5
	s_wait_alu 0xfffe
	v_mov_b32_e32 v72, s31
	s_lshl_b32 m0, s34, 1
	s_add_nc_u64 s[34:35], s[34:35], 1
	v_movrels_b32_e32 v83, v35
	v_movrels_b32_e32 v82, v34
	ds_load_b64 v[72:73], v72
	s_mov_b32 m0, s29
	s_add_co_i32 s31, s31, 8
	v_movrels_b32_e32 v85, v35
	v_movrels_b32_e32 v84, v34
	s_cmp_eq_u32 s26, s34
	s_wait_dscnt 0x0
	s_delay_alu instid0(VALU_DEP_1) | instskip(NEXT) | instid1(VALU_DEP_1)
	v_fma_f64 v[72:73], -v[82:83], v[72:73], v[84:85]
	v_movreld_b32_e32 v34, v72
	s_delay_alu instid0(VALU_DEP_2)
	v_movreld_b32_e32 v35, v73
	s_cbranch_scc0 .LBB78_29
	s_branch .LBB78_26
.LBB78_30:                              ;   in Loop: Header=BB78_14 Depth=2
	s_cmp_lt_i32 s18, s36
	s_cselect_b32 s19, -1, 0
	s_add_co_i32 s14, s20, 1
	s_cmp_lt_u32 s20, 2
	s_cselect_b32 s20, -1, 0
	s_wait_alu 0xfffe
	s_and_b32 s19, s19, s20
	s_delay_alu instid0(SALU_CYCLE_1)
	s_and_b32 vcc_lo, exec_lo, s19
	s_wait_alu 0xfffe
	s_cbranch_vccz .LBB78_32
; %bb.31:                               ;   in Loop: Header=BB78_14 Depth=2
	s_mov_b32 s20, s14
	s_branch .LBB78_14
.LBB78_32:                              ;   in Loop: Header=BB78_5 Depth=1
	s_mov_b32 s14, 0
.LBB78_33:                              ;   in Loop: Header=BB78_5 Depth=1
	s_delay_alu instid0(SALU_CYCLE_1)
	s_and_b32 vcc_lo, exec_lo, s14
	s_wait_alu 0xfffe
	s_cbranch_vccz .LBB78_3
; %bb.34:                               ;   in Loop: Header=BB78_5 Depth=1
	v_add_co_u32 v36, vcc_lo, v68, v75
	s_wait_alu 0xfffd
	v_add_co_ci_u32_e64 v37, null, v69, v76, vcc_lo
	s_mov_b32 s14, 0
	s_mov_b32 s18, s37
.LBB78_35:                              ;   Parent Loop BB78_5 Depth=1
                                        ; =>  This Loop Header: Depth=2
                                        ;       Child Loop BB78_38 Depth 3
                                        ;         Child Loop BB78_39 Depth 4
                                        ;         Child Loop BB78_41 Depth 4
                                        ;           Child Loop BB78_42 Depth 5
                                        ;         Child Loop BB78_47 Depth 4
                                        ;           Child Loop BB78_49 Depth 5
	s_getpc_b64 s[20:21]
	s_wait_alu 0xfffe
	s_sext_i32_i16 s21, s21
	s_add_co_u32 s20, s20, __const._ZL30rocblas_trsm_small_left_deviceILi12ELi12ELb0EddPKPKdPKPdEv13rocblas_fill_18rocblas_operation_17rocblas_diagonal_iiT3_T4_lilT5_lili.step_sizes@rel32@lo+12
	s_wait_alu 0xfffe
	s_add_co_ci_u32 s21, s21, __const._ZL30rocblas_trsm_small_left_deviceILi12ELi12ELb0EddPKPKdPKPdEv13rocblas_fill_18rocblas_operation_17rocblas_diagonal_iiT3_T4_lilT5_lili.step_sizes@rel32@hi+24
	s_lshl_b64 s[22:23], s[14:15], 2
	s_wait_alu 0xfffe
	s_add_nc_u64 s[20:21], s[20:21], s[22:23]
	s_load_b32 s28, s[20:21], 0x0
	s_wait_kmcnt 0x0
	s_add_co_i32 s29, s28, -1
	s_wait_alu 0xfffe
	s_cmp_lt_i32 s18, s29
	s_cbranch_scc1 .LBB78_51
; %bb.36:                               ;   in Loop: Header=BB78_35 Depth=2
	s_lshl_b32 s19, s18, 3
	s_lshl_b32 s20, s28, 3
	s_max_i32 s30, s28, 1
	s_add_co_i32 s31, s40, s19
	s_wait_alu 0xfffe
	s_sub_co_i32 s34, 0, s20
	s_mul_i32 s35, s18, 0x68
	s_mul_i32 s42, s28, 0xffffff98
	s_branch .LBB78_38
.LBB78_37:                              ;   in Loop: Header=BB78_38 Depth=3
	s_sub_co_i32 s18, s18, s28
	s_add_co_i32 s31, s31, s34
	s_add_co_i32 s35, s35, s42
	s_cmp_lt_i32 s18, s29
	s_cbranch_scc1 .LBB78_51
.LBB78_38:                              ;   Parent Loop BB78_5 Depth=1
                                        ;     Parent Loop BB78_35 Depth=2
                                        ; =>    This Loop Header: Depth=3
                                        ;         Child Loop BB78_39 Depth 4
                                        ;         Child Loop BB78_41 Depth 4
                                        ;           Child Loop BB78_42 Depth 5
                                        ;         Child Loop BB78_47 Depth 4
                                        ;           Child Loop BB78_49 Depth 5
	s_ashr_i32 s19, s18, 31
	s_delay_alu instid0(SALU_CYCLE_1)
	s_lshl_b64 s[20:21], s[18:19], 3
	s_wait_alu 0xfffe
	v_add_co_u32 v34, vcc_lo, v36, s20
	s_wait_alu 0xfffd
	v_add_co_ci_u32_e64 v35, null, s21, v37, vcc_lo
	s_mov_b64 s[20:21], 0
.LBB78_39:                              ;   Parent Loop BB78_5 Depth=1
                                        ;     Parent Loop BB78_35 Depth=2
                                        ;       Parent Loop BB78_38 Depth=3
                                        ; =>      This Inner Loop Header: Depth=4
	flat_load_b64 v[38:39], v[34:35]
	v_add_co_u32 v34, vcc_lo, v34, -8
	s_wait_alu 0xfffd
	v_add_co_ci_u32_e64 v35, null, -1, v35, vcc_lo
	s_wait_alu 0xfffe
	s_lshl_b32 m0, s20, 1
	s_add_nc_u64 s[20:21], s[20:21], 1
	s_wait_alu 0xfffe
	s_cmp_eq_u32 s30, s20
	s_wait_loadcnt_dscnt 0x0
	v_mul_f64_e32 v[38:39], s[4:5], v[38:39]
	s_delay_alu instid0(VALU_DEP_1) | instskip(NEXT) | instid1(VALU_DEP_2)
	v_movreld_b32_e32 v2, v38
	v_movreld_b32_e32 v3, v39
	s_cbranch_scc0 .LBB78_39
; %bb.40:                               ;   in Loop: Header=BB78_38 Depth=3
	s_cmp_le_i32 s37, s18
	s_mov_b32 s24, s31
	s_mov_b32 s20, s37
	s_cbranch_scc1 .LBB78_44
.LBB78_41:                              ;   Parent Loop BB78_5 Depth=1
                                        ;     Parent Loop BB78_35 Depth=2
                                        ;       Parent Loop BB78_38 Depth=3
                                        ; =>      This Loop Header: Depth=4
                                        ;           Child Loop BB78_42 Depth 5
	s_wait_alu 0xfffe
	s_ashr_i32 s21, s20, 31
	s_wait_alu 0xfffe
	s_lshl_b64 s[22:23], s[20:21], 3
	s_mov_b32 s21, s24
	s_wait_alu 0xfffe
	v_add_co_u32 v34, vcc_lo, v78, s22
	s_wait_alu 0xfffd
	v_add_co_ci_u32_e64 v35, null, s23, v79, vcc_lo
	s_mov_b64 s[22:23], 0
	flat_load_b64 v[34:35], v[34:35]
.LBB78_42:                              ;   Parent Loop BB78_5 Depth=1
                                        ;     Parent Loop BB78_35 Depth=2
                                        ;       Parent Loop BB78_38 Depth=3
                                        ;         Parent Loop BB78_41 Depth=4
                                        ; =>        This Inner Loop Header: Depth=5
	s_wait_alu 0xfffe
	v_mov_b32_e32 v38, s21
	s_lshl_b32 m0, s22, 1
	s_add_nc_u64 s[22:23], s[22:23], 1
	v_movrels_b32_e32 v41, v3
	v_movrels_b32_e32 v40, v2
	ds_load_b64 v[38:39], v38
	s_add_co_i32 s21, s21, -8
	s_wait_alu 0xfffe
	s_cmp_eq_u32 s30, s22
	s_wait_loadcnt_dscnt 0x0
	v_fma_f64 v[38:39], -v[34:35], v[38:39], v[40:41]
	s_delay_alu instid0(VALU_DEP_1) | instskip(NEXT) | instid1(VALU_DEP_2)
	v_movreld_b32_e32 v2, v38
	v_movreld_b32_e32 v3, v39
	s_cbranch_scc0 .LBB78_42
; %bb.43:                               ;   in Loop: Header=BB78_41 Depth=4
	s_add_co_i32 s20, s20, -1
	s_addk_co_i32 s24, 0xffa0
	s_wait_alu 0xfffe
	s_cmp_le_i32 s20, s18
	s_cbranch_scc0 .LBB78_41
.LBB78_44:                              ;   in Loop: Header=BB78_38 Depth=3
	s_mov_b64 s[20:21], 0
	s_mov_b32 s43, s35
	s_branch .LBB78_47
.LBB78_45:                              ;   in Loop: Header=BB78_47 Depth=4
	s_mov_b32 s26, s18
	s_mov_b64 s[22:23], 0
	s_mov_b64 s[24:25], s[18:19]
.LBB78_46:                              ;   in Loop: Header=BB78_47 Depth=4
	s_wait_alu 0xfffe
	s_mul_i32 s23, s26, 0x68
	s_lshl_b32 m0, s22, 1
	s_wait_alu 0xfffe
	v_mov_b32_e32 v34, s23
	v_movrels_b32_e32 v39, v3
	v_movrels_b32_e32 v38, v2
	s_lshl_b64 s[22:23], s[24:25], 3
	s_add_nc_u64 s[20:21], s[20:21], 1
	ds_load_b64 v[34:35], v34
	s_add_co_i32 s43, s43, -8
	s_wait_alu 0xfffe
	s_cmp_eq_u32 s20, s30
	s_wait_dscnt 0x0
	v_mul_f64_e32 v[34:35], v[38:39], v[34:35]
	v_add_co_u32 v38, vcc_lo, v78, s22
	s_wait_alu 0xfffd
	v_add_co_ci_u32_e64 v39, null, s23, v79, vcc_lo
	s_delay_alu instid0(VALU_DEP_3) | instskip(NEXT) | instid1(VALU_DEP_4)
	v_movreld_b32_e32 v2, v34
	v_movreld_b32_e32 v3, v35
	flat_store_b64 v[38:39], v[34:35]
	s_cbranch_scc1 .LBB78_37
.LBB78_47:                              ;   Parent Loop BB78_5 Depth=1
                                        ;     Parent Loop BB78_35 Depth=2
                                        ;       Parent Loop BB78_38 Depth=3
                                        ; =>      This Loop Header: Depth=4
                                        ;           Child Loop BB78_49 Depth 5
	s_wait_alu 0xfffe
	s_cmp_eq_u32 s20, 0
	s_cbranch_scc1 .LBB78_45
; %bb.48:                               ;   in Loop: Header=BB78_47 Depth=4
	s_mov_b64 s[22:23], s[20:21]
	s_mov_b64 s[24:25], 0
	s_lshl_b32 s23, s20, 1
	s_mov_b32 s26, s43
.LBB78_49:                              ;   Parent Loop BB78_5 Depth=1
                                        ;     Parent Loop BB78_35 Depth=2
                                        ;       Parent Loop BB78_38 Depth=3
                                        ;         Parent Loop BB78_47 Depth=4
                                        ; =>        This Inner Loop Header: Depth=5
	s_wait_alu 0xfffe
	v_mov_b32_e32 v34, s26
	s_lshl_b32 m0, s24, 1
	s_add_nc_u64 s[24:25], s[24:25], 1
	v_movrels_b32_e32 v39, v3
	v_movrels_b32_e32 v38, v2
	ds_load_b64 v[34:35], v34
	s_mov_b32 m0, s23
	s_addk_co_i32 s26, 0xffa0
	v_movrels_b32_e32 v41, v3
	v_movrels_b32_e32 v40, v2
	s_wait_alu 0xfffe
	s_cmp_eq_u32 s20, s24
	s_wait_dscnt 0x0
	s_delay_alu instid0(VALU_DEP_1) | instskip(NEXT) | instid1(VALU_DEP_1)
	v_fma_f64 v[34:35], -v[38:39], v[34:35], v[40:41]
	v_movreld_b32_e32 v2, v34
	s_delay_alu instid0(VALU_DEP_2)
	v_movreld_b32_e32 v3, v35
	s_cbranch_scc0 .LBB78_49
; %bb.50:                               ;   in Loop: Header=BB78_47 Depth=4
	s_sub_co_i32 s26, s18, s20
	s_wait_alu 0xfffe
	s_ashr_i32 s27, s26, 31
	s_wait_alu 0xfffe
	s_mov_b64 s[24:25], s[26:27]
	s_branch .LBB78_46
.LBB78_51:                              ;   in Loop: Header=BB78_35 Depth=2
	s_cmp_gt_i32 s18, -1
	s_cselect_b32 s20, -1, 0
	s_add_co_i32 s19, s14, 1
	s_cmp_lt_u32 s14, 2
	s_cselect_b32 s14, -1, 0
	s_wait_alu 0xfffe
	s_and_b32 s14, s20, s14
	s_delay_alu instid0(SALU_CYCLE_1)
	s_and_not1_b32 vcc_lo, exec_lo, s14
	s_wait_alu 0xfffe
	s_cbranch_vccnz .LBB78_2
; %bb.52:                               ;   in Loop: Header=BB78_35 Depth=2
	s_mov_b32 s14, s19
	s_branch .LBB78_35
.LBB78_53:
	s_endpgm
	.section	.rodata,"a",@progbits
	.p2align	6, 0x0
	.amdhsa_kernel _ZL30rocblas_trsm_small_left_deviceILi12ELi12ELb0EddPKPKdPKPdEv13rocblas_fill_18rocblas_operation_17rocblas_diagonal_iiT3_T4_lilT5_lili
		.amdhsa_group_segment_fixed_size 1152
		.amdhsa_private_segment_fixed_size 0
		.amdhsa_kernarg_size 360
		.amdhsa_user_sgpr_count 2
		.amdhsa_user_sgpr_dispatch_ptr 0
		.amdhsa_user_sgpr_queue_ptr 0
		.amdhsa_user_sgpr_kernarg_segment_ptr 1
		.amdhsa_user_sgpr_dispatch_id 0
		.amdhsa_user_sgpr_private_segment_size 0
		.amdhsa_wavefront_size32 1
		.amdhsa_uses_dynamic_stack 0
		.amdhsa_enable_private_segment 0
		.amdhsa_system_sgpr_workgroup_id_x 1
		.amdhsa_system_sgpr_workgroup_id_y 0
		.amdhsa_system_sgpr_workgroup_id_z 1
		.amdhsa_system_sgpr_workgroup_info 0
		.amdhsa_system_vgpr_workitem_id 0
		.amdhsa_next_free_vgpr 86
		.amdhsa_next_free_sgpr 45
		.amdhsa_reserve_vcc 1
		.amdhsa_float_round_mode_32 0
		.amdhsa_float_round_mode_16_64 0
		.amdhsa_float_denorm_mode_32 3
		.amdhsa_float_denorm_mode_16_64 3
		.amdhsa_fp16_overflow 0
		.amdhsa_workgroup_processor_mode 1
		.amdhsa_memory_ordered 1
		.amdhsa_forward_progress 1
		.amdhsa_inst_pref_size 23
		.amdhsa_round_robin_scheduling 0
		.amdhsa_exception_fp_ieee_invalid_op 0
		.amdhsa_exception_fp_denorm_src 0
		.amdhsa_exception_fp_ieee_div_zero 0
		.amdhsa_exception_fp_ieee_overflow 0
		.amdhsa_exception_fp_ieee_underflow 0
		.amdhsa_exception_fp_ieee_inexact 0
		.amdhsa_exception_int_div_zero 0
	.end_amdhsa_kernel
	.section	.text._ZL30rocblas_trsm_small_left_deviceILi12ELi12ELb0EddPKPKdPKPdEv13rocblas_fill_18rocblas_operation_17rocblas_diagonal_iiT3_T4_lilT5_lili,"axG",@progbits,_ZL30rocblas_trsm_small_left_deviceILi12ELi12ELb0EddPKPKdPKPdEv13rocblas_fill_18rocblas_operation_17rocblas_diagonal_iiT3_T4_lilT5_lili,comdat
.Lfunc_end78:
	.size	_ZL30rocblas_trsm_small_left_deviceILi12ELi12ELb0EddPKPKdPKPdEv13rocblas_fill_18rocblas_operation_17rocblas_diagonal_iiT3_T4_lilT5_lili, .Lfunc_end78-_ZL30rocblas_trsm_small_left_deviceILi12ELi12ELb0EddPKPKdPKPdEv13rocblas_fill_18rocblas_operation_17rocblas_diagonal_iiT3_T4_lilT5_lili
                                        ; -- End function
	.set _ZL30rocblas_trsm_small_left_deviceILi12ELi12ELb0EddPKPKdPKPdEv13rocblas_fill_18rocblas_operation_17rocblas_diagonal_iiT3_T4_lilT5_lili.num_vgpr, 86
	.set _ZL30rocblas_trsm_small_left_deviceILi12ELi12ELb0EddPKPKdPKPdEv13rocblas_fill_18rocblas_operation_17rocblas_diagonal_iiT3_T4_lilT5_lili.num_agpr, 0
	.set _ZL30rocblas_trsm_small_left_deviceILi12ELi12ELb0EddPKPKdPKPdEv13rocblas_fill_18rocblas_operation_17rocblas_diagonal_iiT3_T4_lilT5_lili.numbered_sgpr, 45
	.set _ZL30rocblas_trsm_small_left_deviceILi12ELi12ELb0EddPKPKdPKPdEv13rocblas_fill_18rocblas_operation_17rocblas_diagonal_iiT3_T4_lilT5_lili.num_named_barrier, 0
	.set _ZL30rocblas_trsm_small_left_deviceILi12ELi12ELb0EddPKPKdPKPdEv13rocblas_fill_18rocblas_operation_17rocblas_diagonal_iiT3_T4_lilT5_lili.private_seg_size, 0
	.set _ZL30rocblas_trsm_small_left_deviceILi12ELi12ELb0EddPKPKdPKPdEv13rocblas_fill_18rocblas_operation_17rocblas_diagonal_iiT3_T4_lilT5_lili.uses_vcc, 1
	.set _ZL30rocblas_trsm_small_left_deviceILi12ELi12ELb0EddPKPKdPKPdEv13rocblas_fill_18rocblas_operation_17rocblas_diagonal_iiT3_T4_lilT5_lili.uses_flat_scratch, 0
	.set _ZL30rocblas_trsm_small_left_deviceILi12ELi12ELb0EddPKPKdPKPdEv13rocblas_fill_18rocblas_operation_17rocblas_diagonal_iiT3_T4_lilT5_lili.has_dyn_sized_stack, 0
	.set _ZL30rocblas_trsm_small_left_deviceILi12ELi12ELb0EddPKPKdPKPdEv13rocblas_fill_18rocblas_operation_17rocblas_diagonal_iiT3_T4_lilT5_lili.has_recursion, 0
	.set _ZL30rocblas_trsm_small_left_deviceILi12ELi12ELb0EddPKPKdPKPdEv13rocblas_fill_18rocblas_operation_17rocblas_diagonal_iiT3_T4_lilT5_lili.has_indirect_call, 0
	.section	.AMDGPU.csdata,"",@progbits
; Kernel info:
; codeLenInByte = 2924
; TotalNumSgprs: 47
; NumVgprs: 86
; ScratchSize: 0
; MemoryBound: 0
; FloatMode: 240
; IeeeMode: 1
; LDSByteSize: 1152 bytes/workgroup (compile time only)
; SGPRBlocks: 0
; VGPRBlocks: 10
; NumSGPRsForWavesPerEU: 47
; NumVGPRsForWavesPerEU: 86
; Occupancy: 16
; WaveLimiterHint : 1
; COMPUTE_PGM_RSRC2:SCRATCH_EN: 0
; COMPUTE_PGM_RSRC2:USER_SGPR: 2
; COMPUTE_PGM_RSRC2:TRAP_HANDLER: 0
; COMPUTE_PGM_RSRC2:TGID_X_EN: 1
; COMPUTE_PGM_RSRC2:TGID_Y_EN: 0
; COMPUTE_PGM_RSRC2:TGID_Z_EN: 1
; COMPUTE_PGM_RSRC2:TIDIG_COMP_CNT: 0
	.section	.text._ZL38rocblas_trsm_small_left_device_sharedBILi12ELi12ELb1EddPKPKdPKPdEv13rocblas_fill_18rocblas_operation_17rocblas_diagonal_iiT3_T4_lilT5_lili,"axG",@progbits,_ZL38rocblas_trsm_small_left_device_sharedBILi12ELi12ELb1EddPKPKdPKPdEv13rocblas_fill_18rocblas_operation_17rocblas_diagonal_iiT3_T4_lilT5_lili,comdat
	.globl	_ZL38rocblas_trsm_small_left_device_sharedBILi12ELi12ELb1EddPKPKdPKPdEv13rocblas_fill_18rocblas_operation_17rocblas_diagonal_iiT3_T4_lilT5_lili ; -- Begin function _ZL38rocblas_trsm_small_left_device_sharedBILi12ELi12ELb1EddPKPKdPKPdEv13rocblas_fill_18rocblas_operation_17rocblas_diagonal_iiT3_T4_lilT5_lili
	.p2align	8
	.type	_ZL38rocblas_trsm_small_left_device_sharedBILi12ELi12ELb1EddPKPKdPKPdEv13rocblas_fill_18rocblas_operation_17rocblas_diagonal_iiT3_T4_lilT5_lili,@function
_ZL38rocblas_trsm_small_left_device_sharedBILi12ELi12ELb1EddPKPKdPKPdEv13rocblas_fill_18rocblas_operation_17rocblas_diagonal_iiT3_T4_lilT5_lili: ; @_ZL38rocblas_trsm_small_left_device_sharedBILi12ELi12ELb1EddPKPKdPKPdEv13rocblas_fill_18rocblas_operation_17rocblas_diagonal_iiT3_T4_lilT5_lili
; %bb.0:
	s_load_b32 s26, s[0:1], 0x60
	s_lshr_b32 s2, ttmp7, 16
	s_wait_kmcnt 0x0
	s_cmp_ge_u32 s2, s26
	s_cbranch_scc1 .LBB79_56
; %bb.1:
	s_clause 0x5
	s_load_b96 s[16:18], s[0:1], 0x28
	s_load_b32 s20, s[0:1], 0x50
	s_load_b128 s[12:15], s[0:1], 0x4
	s_load_b32 s3, s[0:1], 0x68
	s_load_b128 s[4:7], s[0:1], 0x18
	s_load_b128 s[8:11], s[0:1], 0x40
	s_mul_i32 s0, ttmp9, -12
	s_mul_i32 s22, ttmp9, 12
	v_mov_b32_e32 v1, 0
	v_lshlrev_b32_e32 v71, 3, v0
	v_mul_u32_u24_e32 v34, 0x60, v0
	s_mov_b32 s19, 0
	s_wait_kmcnt 0x0
	s_ashr_i32 s25, s18, 31
	s_ashr_i32 s21, s20, 31
	s_min_i32 s1, s14, 12
	s_add_co_i32 s3, s3, -1
	s_add_co_i32 s15, s15, s0
	s_add_co_i32 s27, s1, -1
	s_cmp_ge_u32 ttmp9, s3
	v_mad_co_i64_i32 v[66:67], null, s20, v0, 0
	s_cselect_b32 s3, s15, 12
	s_ashr_i32 s23, s22, 31
	s_cmp_lg_u32 s13, 0x84
	v_cmp_gt_i32_e64 s0, s1, v0
	s_cselect_b32 s28, -1, 0
	s_cmp_gt_i32 s14, 0
	v_cmp_gt_i32_e32 vcc_lo, s3, v0
	v_lshlrev_b32_e32 v0, 3, v0
	v_dual_mov_b32 v2, v1 :: v_dual_mov_b32 v3, v1
	v_dual_mov_b32 v4, v1 :: v_dual_mov_b32 v5, v1
	;; [unrolled: 1-line block ×11, first 2 shown]
	v_mov_b32_e32 v24, v1
	s_cselect_b32 s3, -1, 0
	s_cmp_lg_u32 s12, 0x6f
	v_dual_mov_b32 v33, v32 :: v_dual_add_nc_u32 v72, v71, v34
	v_or_b32_e32 v68, 0x480, v71
	v_mov_b32_e32 v32, v31
	v_mov_b32_e32 v31, v30
	;; [unrolled: 1-line block ×31, first 2 shown]
	s_mov_b32 s24, s18
	s_mul_u64 s[20:21], s[20:21], s[22:23]
	s_cselect_b32 s29, -1, 0
	s_lshl_b32 s31, s1, 3
	s_wait_alu 0xfffe
	s_and_b32 s30, vcc_lo, s3
	s_lshl_b64 s[12:13], s[24:25], 3
	s_add_co_i32 s31, s31, -8
	s_lshl_b64 s[14:15], s[16:17], 3
	s_lshl_b64 s[10:11], s[10:11], 3
	;; [unrolled: 1-line block ×3, first 2 shown]
	s_branch .LBB79_3
.LBB79_2:                               ;   in Loop: Header=BB79_3 Depth=1
	s_wait_alu 0xfffe
	s_or_b32 exec_lo, exec_lo, s3
	v_dual_mov_b32 v2, v34 :: v_dual_mov_b32 v3, v35
	v_dual_mov_b32 v4, v36 :: v_dual_mov_b32 v5, v37
	;; [unrolled: 1-line block ×16, first 2 shown]
	s_add_co_i32 s2, s2, 0x10000
	s_wait_alu 0xfffe
	s_cmp_lt_u32 s2, s26
	s_cbranch_scc0 .LBB79_56
.LBB79_3:                               ; =>This Loop Header: Depth=1
                                        ;     Child Loop BB79_5 Depth 2
                                        ;     Child Loop BB79_11 Depth 2
	;; [unrolled: 1-line block ×3, first 2 shown]
                                        ;       Child Loop BB79_17 Depth 3
                                        ;         Child Loop BB79_18 Depth 4
                                        ;         Child Loop BB79_20 Depth 4
                                        ;           Child Loop BB79_21 Depth 5
                                        ;         Child Loop BB79_26 Depth 4
                                        ;           Child Loop BB79_28 Depth 5
                                        ;     Child Loop BB79_34 Depth 2
                                        ;       Child Loop BB79_37 Depth 3
                                        ;         Child Loop BB79_38 Depth 4
                                        ;         Child Loop BB79_41 Depth 4
                                        ;           Child Loop BB79_42 Depth 5
                                        ;         Child Loop BB79_47 Depth 4
                                        ;           Child Loop BB79_49 Depth 5
                                        ;     Child Loop BB79_55 Depth 2
	s_mov_b32 s3, s19
	s_wait_alu 0xfffe
	s_lshl_b64 s[20:21], s[2:3], 3
	s_wait_alu 0xfffe
	s_add_nc_u64 s[22:23], s[8:9], s[20:21]
	global_load_b64 v[34:35], v1, s[22:23]
	s_and_saveexec_b32 s3, s0
	s_cbranch_execz .LBB79_9
; %bb.4:                                ;   in Loop: Header=BB79_3 Depth=1
	s_add_nc_u64 s[20:21], s[6:7], s[20:21]
	v_mov_b32_e32 v38, v71
	global_load_b64 v[36:37], v1, s[20:21]
	s_mov_b32 s18, s1
	s_wait_loadcnt 0x0
	v_add_co_u32 v36, vcc_lo, v36, s14
	s_wait_alu 0xfffd
	v_add_co_ci_u32_e64 v37, null, s15, v37, vcc_lo
	s_delay_alu instid0(VALU_DEP_2) | instskip(SKIP_1) | instid1(VALU_DEP_2)
	v_add_co_u32 v36, vcc_lo, v36, v0
	s_wait_alu 0xfffd
	v_add_co_ci_u32_e64 v37, null, 0, v37, vcc_lo
.LBB79_5:                               ;   Parent Loop BB79_3 Depth=1
                                        ; =>  This Inner Loop Header: Depth=2
	flat_load_b64 v[39:40], v[36:37]
	v_add_co_u32 v36, vcc_lo, v36, s12
	s_wait_alu 0xfffd
	v_add_co_ci_u32_e64 v37, null, s13, v37, vcc_lo
	s_add_co_i32 s18, s18, -1
	s_delay_alu instid0(SALU_CYCLE_1)
	s_cmp_eq_u32 s18, 0
	s_wait_loadcnt_dscnt 0x0
	ds_store_b64 v38, v[39:40]
	v_add_nc_u32_e32 v38, 0x60, v38
	s_cbranch_scc0 .LBB79_5
; %bb.6:                                ;   in Loop: Header=BB79_3 Depth=1
	v_mov_b32_e32 v36, 0
	v_mov_b32_e32 v37, 0x3ff00000
	s_and_b32 vcc_lo, exec_lo, s28
	s_wait_alu 0xfffe
	s_cbranch_vccz .LBB79_8
; %bb.7:                                ;   in Loop: Header=BB79_3 Depth=1
	ds_load_b64 v[36:37], v72
	s_wait_dscnt 0x0
	v_div_scale_f64 v[38:39], null, v[36:37], v[36:37], 1.0
	s_delay_alu instid0(VALU_DEP_1) | instskip(NEXT) | instid1(TRANS32_DEP_1)
	v_rcp_f64_e32 v[40:41], v[38:39]
	v_fma_f64 v[42:43], -v[38:39], v[40:41], 1.0
	s_delay_alu instid0(VALU_DEP_1) | instskip(NEXT) | instid1(VALU_DEP_1)
	v_fma_f64 v[40:41], v[40:41], v[42:43], v[40:41]
	v_fma_f64 v[42:43], -v[38:39], v[40:41], 1.0
	s_delay_alu instid0(VALU_DEP_1) | instskip(SKIP_1) | instid1(VALU_DEP_1)
	v_fma_f64 v[40:41], v[40:41], v[42:43], v[40:41]
	v_div_scale_f64 v[42:43], vcc_lo, 1.0, v[36:37], 1.0
	v_mul_f64_e32 v[44:45], v[42:43], v[40:41]
	s_delay_alu instid0(VALU_DEP_1) | instskip(SKIP_1) | instid1(VALU_DEP_1)
	v_fma_f64 v[38:39], -v[38:39], v[44:45], v[42:43]
	s_wait_alu 0xfffd
	v_div_fmas_f64 v[38:39], v[38:39], v[40:41], v[44:45]
	s_delay_alu instid0(VALU_DEP_1)
	v_div_fixup_f64 v[36:37], v[38:39], v[36:37], 1.0
.LBB79_8:                               ;   in Loop: Header=BB79_3 Depth=1
	ds_store_b64 v72, v[36:37]
.LBB79_9:                               ;   in Loop: Header=BB79_3 Depth=1
	s_wait_alu 0xfffe
	s_or_b32 exec_lo, exec_lo, s3
	s_wait_loadcnt 0x0
	v_add_co_u32 v34, vcc_lo, v34, s10
	s_wait_alu 0xfffd
	v_add_co_ci_u32_e64 v35, null, s11, v35, vcc_lo
	s_delay_alu instid0(VALU_DEP_2) | instskip(SKIP_1) | instid1(VALU_DEP_2)
	v_add_co_u32 v73, vcc_lo, v34, s16
	s_wait_alu 0xfffd
	v_add_co_ci_u32_e64 v74, null, s17, v35, vcc_lo
	s_and_saveexec_b32 s3, s30
	s_cbranch_execz .LBB79_12
; %bb.10:                               ;   in Loop: Header=BB79_3 Depth=1
	v_lshlrev_b64_e32 v[34:35], 3, v[66:67]
	v_mov_b32_e32 v36, v68
	s_mov_b32 s18, s1
	s_delay_alu instid0(VALU_DEP_2) | instskip(SKIP_1) | instid1(VALU_DEP_3)
	v_add_co_u32 v34, vcc_lo, v73, v34
	s_wait_alu 0xfffd
	v_add_co_ci_u32_e64 v35, null, v74, v35, vcc_lo
.LBB79_11:                              ;   Parent Loop BB79_3 Depth=1
                                        ; =>  This Inner Loop Header: Depth=2
	flat_load_b64 v[37:38], v[34:35]
	v_add_co_u32 v34, vcc_lo, v34, 8
	s_wait_alu 0xfffd
	v_add_co_ci_u32_e64 v35, null, 0, v35, vcc_lo
	s_add_co_i32 s18, s18, -1
	s_delay_alu instid0(SALU_CYCLE_1)
	s_cmp_lg_u32 s18, 0
	s_wait_loadcnt_dscnt 0x0
	v_mul_f64_e32 v[37:38], s[4:5], v[37:38]
	ds_store_b64 v36, v[37:38]
	v_add_nc_u32_e32 v36, 0x60, v36
	s_cbranch_scc1 .LBB79_11
.LBB79_12:                              ;   in Loop: Header=BB79_3 Depth=1
	s_wait_alu 0xfffe
	s_or_b32 exec_lo, exec_lo, s3
	s_delay_alu instid0(SALU_CYCLE_1)
	s_and_not1_b32 vcc_lo, exec_lo, s29
	s_mov_b32 s3, -1
	s_wait_dscnt 0x0
	; wave barrier
	global_inv scope:SCOPE_SE
                                        ; implicit-def: $vgpr34_vgpr35_vgpr36_vgpr37_vgpr38_vgpr39_vgpr40_vgpr41_vgpr42_vgpr43_vgpr44_vgpr45_vgpr46_vgpr47_vgpr48_vgpr49_vgpr50_vgpr51_vgpr52_vgpr53_vgpr54_vgpr55_vgpr56_vgpr57_vgpr58_vgpr59_vgpr60_vgpr61_vgpr62_vgpr63_vgpr64_vgpr65
	s_wait_alu 0xfffe
	s_cbranch_vccnz .LBB79_32
; %bb.13:                               ;   in Loop: Header=BB79_3 Depth=1
	v_dual_mov_b32 v65, v33 :: v_dual_mov_b32 v64, v32
	v_dual_mov_b32 v63, v31 :: v_dual_mov_b32 v62, v30
	;; [unrolled: 1-line block ×16, first 2 shown]
	s_mov_b32 s18, 0
	s_mov_b32 s3, s27
.LBB79_14:                              ;   Parent Loop BB79_3 Depth=1
                                        ; =>  This Loop Header: Depth=2
                                        ;       Child Loop BB79_17 Depth 3
                                        ;         Child Loop BB79_18 Depth 4
                                        ;         Child Loop BB79_20 Depth 4
                                        ;           Child Loop BB79_21 Depth 5
                                        ;         Child Loop BB79_26 Depth 4
                                        ;           Child Loop BB79_28 Depth 5
	s_getpc_b64 s[20:21]
	s_wait_alu 0xfffe
	s_sext_i32_i16 s21, s21
	s_add_co_u32 s20, s20, __const._ZL38rocblas_trsm_small_left_device_sharedBILi12ELi12ELb1EddPKPKdPKPdEv13rocblas_fill_18rocblas_operation_17rocblas_diagonal_iiT3_T4_lilT5_lili.step_sizes@rel32@lo+12
	s_wait_alu 0xfffe
	s_add_co_ci_u32 s21, s21, __const._ZL38rocblas_trsm_small_left_device_sharedBILi12ELi12ELb1EddPKPKdPKPdEv13rocblas_fill_18rocblas_operation_17rocblas_diagonal_iiT3_T4_lilT5_lili.step_sizes@rel32@hi+24
	s_lshl_b64 s[22:23], s[18:19], 2
	s_wait_alu 0xfffe
	s_add_nc_u64 s[20:21], s[20:21], s[22:23]
	s_load_b32 s33, s[20:21], 0x0
	s_wait_kmcnt 0x0
	s_add_co_i32 s34, s33, -1
	s_delay_alu instid0(SALU_CYCLE_1)
	s_cmp_lt_i32 s3, s34
	s_cbranch_scc1 .LBB79_29
; %bb.15:                               ;   in Loop: Header=BB79_14 Depth=2
	s_mul_i32 s20, s3, 0x60
	s_max_i32 s35, s33, 1
	s_wait_alu 0xfffe
	v_add_nc_u32_e32 v75, s20, v68
	s_mul_i32 s36, s33, 0xffffffa0
	s_add_co_i32 s37, s31, s20
	s_mul_i32 s38, s3, 0x68
	s_mul_i32 s39, s33, 0xffffff98
	s_branch .LBB79_17
.LBB79_16:                              ;   in Loop: Header=BB79_17 Depth=3
	v_add_nc_u32_e32 v75, s36, v75
	s_sub_co_i32 s3, s3, s33
	s_add_co_i32 s37, s37, s36
	s_add_co_i32 s38, s38, s39
	s_wait_alu 0xfffe
	s_cmp_lt_i32 s3, s34
	s_cbranch_scc1 .LBB79_29
.LBB79_17:                              ;   Parent Loop BB79_3 Depth=1
                                        ;     Parent Loop BB79_14 Depth=2
                                        ; =>    This Loop Header: Depth=3
                                        ;         Child Loop BB79_18 Depth 4
                                        ;         Child Loop BB79_20 Depth 4
                                        ;           Child Loop BB79_21 Depth 5
                                        ;         Child Loop BB79_26 Depth 4
                                        ;           Child Loop BB79_28 Depth 5
	v_mov_b32_e32 v69, v75
	s_mov_b64 s[20:21], 0
.LBB79_18:                              ;   Parent Loop BB79_3 Depth=1
                                        ;     Parent Loop BB79_14 Depth=2
                                        ;       Parent Loop BB79_17 Depth=3
                                        ; =>      This Inner Loop Header: Depth=4
	ds_load_b64 v[76:77], v69
	v_add_nc_u32_e32 v69, 0xffffffa0, v69
	s_wait_alu 0xfffe
	s_lshl_b32 m0, s20, 1
	s_add_nc_u64 s[20:21], s[20:21], 1
	s_wait_alu 0xfffe
	s_cmp_eq_u32 s35, s20
	s_wait_dscnt 0x0
	v_movreld_b32_e32 v34, v76
	v_movreld_b32_e32 v35, v77
	s_cbranch_scc0 .LBB79_18
; %bb.19:                               ;   in Loop: Header=BB79_17 Depth=3
	s_cmp_le_i32 s27, s3
	s_mov_b32 s22, s37
	s_mov_b32 s23, s27
	s_cbranch_scc1 .LBB79_23
.LBB79_20:                              ;   Parent Loop BB79_3 Depth=1
                                        ;     Parent Loop BB79_14 Depth=2
                                        ;       Parent Loop BB79_17 Depth=3
                                        ; =>      This Loop Header: Depth=4
                                        ;           Child Loop BB79_21 Depth 5
	s_wait_alu 0xfffe
	v_mad_co_u64_u32 v[69:70], null, 0x60, s23, v[68:69]
	s_mov_b64 s[20:21], 0
	s_mov_b32 s24, s22
	ds_load_b64 v[69:70], v69
.LBB79_21:                              ;   Parent Loop BB79_3 Depth=1
                                        ;     Parent Loop BB79_14 Depth=2
                                        ;       Parent Loop BB79_17 Depth=3
                                        ;         Parent Loop BB79_20 Depth=4
                                        ; =>        This Inner Loop Header: Depth=5
	s_wait_alu 0xfffe
	v_mov_b32_e32 v76, s24
	s_lshl_b32 m0, s20, 1
	s_add_nc_u64 s[20:21], s[20:21], 1
	v_movrels_b32_e32 v79, v35
	v_movrels_b32_e32 v78, v34
	ds_load_b64 v[76:77], v76
	s_addk_co_i32 s24, 0xffa0
	s_wait_alu 0xfffe
	s_cmp_eq_u32 s35, s20
	s_wait_dscnt 0x0
	v_fma_f64 v[76:77], -v[69:70], v[76:77], v[78:79]
	s_delay_alu instid0(VALU_DEP_1) | instskip(NEXT) | instid1(VALU_DEP_2)
	v_movreld_b32_e32 v34, v76
	v_movreld_b32_e32 v35, v77
	s_cbranch_scc0 .LBB79_21
; %bb.22:                               ;   in Loop: Header=BB79_20 Depth=4
	s_add_co_i32 s23, s23, -1
	s_add_co_i32 s22, s22, -8
	s_wait_alu 0xfffe
	s_cmp_le_i32 s23, s3
	s_cbranch_scc0 .LBB79_20
.LBB79_23:                              ;   in Loop: Header=BB79_17 Depth=3
	s_mul_i32 s40, s3, 0x60
	s_mov_b64 s[20:21], 0
	s_mov_b32 s41, s38
	s_branch .LBB79_26
.LBB79_24:                              ;   in Loop: Header=BB79_26 Depth=4
	s_mov_b32 s43, s3
	s_mov_b64 s[22:23], 0
	s_mov_b32 s42, s40
.LBB79_25:                              ;   in Loop: Header=BB79_26 Depth=4
	s_wait_alu 0xfffe
	s_mul_i32 s23, s43, 0x68
	s_lshl_b32 m0, s22, 1
	s_wait_alu 0xfffe
	v_mov_b32_e32 v69, s23
	v_movrels_b32_e32 v77, v35
	v_movrels_b32_e32 v76, v34
	s_add_nc_u64 s[20:21], s[20:21], 1
	s_addk_co_i32 s41, 0xffa0
	ds_load_b64 v[69:70], v69
	s_wait_alu 0xfffe
	s_cmp_eq_u32 s20, s35
	s_wait_dscnt 0x0
	v_mul_f64_e32 v[69:70], v[76:77], v[69:70]
	v_add_nc_u32_e32 v76, s42, v68
	s_delay_alu instid0(VALU_DEP_2) | instskip(NEXT) | instid1(VALU_DEP_3)
	v_movreld_b32_e32 v34, v69
	v_movreld_b32_e32 v35, v70
	ds_store_b64 v76, v[69:70]
	s_cbranch_scc1 .LBB79_16
.LBB79_26:                              ;   Parent Loop BB79_3 Depth=1
                                        ;     Parent Loop BB79_14 Depth=2
                                        ;       Parent Loop BB79_17 Depth=3
                                        ; =>      This Loop Header: Depth=4
                                        ;           Child Loop BB79_28 Depth 5
	s_wait_alu 0xfffe
	s_cmp_eq_u32 s20, 0
	s_cbranch_scc1 .LBB79_24
; %bb.27:                               ;   in Loop: Header=BB79_26 Depth=4
	s_sub_co_i32 s43, s3, s20
	s_mov_b64 s[22:23], s[20:21]
	s_mov_b64 s[24:25], 0
	s_wait_alu 0xfffe
	s_mul_i32 s42, s43, 0x60
	s_lshl_b32 s23, s20, 1
	s_mov_b32 s44, s41
.LBB79_28:                              ;   Parent Loop BB79_3 Depth=1
                                        ;     Parent Loop BB79_14 Depth=2
                                        ;       Parent Loop BB79_17 Depth=3
                                        ;         Parent Loop BB79_26 Depth=4
                                        ; =>        This Inner Loop Header: Depth=5
	s_wait_alu 0xfffe
	v_mov_b32_e32 v69, s44
	s_lshl_b32 m0, s24, 1
	s_add_nc_u64 s[24:25], s[24:25], 1
	v_movrels_b32_e32 v77, v35
	v_movrels_b32_e32 v76, v34
	ds_load_b64 v[69:70], v69
	s_mov_b32 m0, s23
	s_add_co_i32 s44, s44, -8
	v_movrels_b32_e32 v79, v35
	v_movrels_b32_e32 v78, v34
	s_wait_alu 0xfffe
	s_cmp_eq_u32 s20, s24
	s_wait_dscnt 0x0
	s_delay_alu instid0(VALU_DEP_1) | instskip(NEXT) | instid1(VALU_DEP_1)
	v_fma_f64 v[69:70], -v[76:77], v[69:70], v[78:79]
	v_movreld_b32_e32 v34, v69
	s_delay_alu instid0(VALU_DEP_2)
	v_movreld_b32_e32 v35, v70
	s_cbranch_scc0 .LBB79_28
	s_branch .LBB79_25
.LBB79_29:                              ;   in Loop: Header=BB79_14 Depth=2
	s_cmp_gt_i32 s3, -1
	s_cselect_b32 s21, -1, 0
	s_add_co_i32 s20, s18, 1
	s_cmp_lt_u32 s18, 2
	s_cselect_b32 s18, -1, 0
	s_wait_alu 0xfffe
	s_and_b32 s18, s21, s18
	s_delay_alu instid0(SALU_CYCLE_1)
	s_and_b32 vcc_lo, exec_lo, s18
	s_wait_alu 0xfffe
	s_cbranch_vccz .LBB79_31
; %bb.30:                               ;   in Loop: Header=BB79_14 Depth=2
	s_mov_b32 s18, s20
	s_branch .LBB79_14
.LBB79_31:                              ;   in Loop: Header=BB79_3 Depth=1
	s_mov_b32 s3, 0
.LBB79_32:                              ;   in Loop: Header=BB79_3 Depth=1
	s_wait_alu 0xfffe
	s_and_b32 vcc_lo, exec_lo, s3
	s_wait_alu 0xfffe
	s_cbranch_vccz .LBB79_53
; %bb.33:                               ;   in Loop: Header=BB79_3 Depth=1
	s_mov_b32 s3, 0
	s_wait_alu 0xfffe
	s_mov_b32 s18, s3
.LBB79_34:                              ;   Parent Loop BB79_3 Depth=1
                                        ; =>  This Loop Header: Depth=2
                                        ;       Child Loop BB79_37 Depth 3
                                        ;         Child Loop BB79_38 Depth 4
                                        ;         Child Loop BB79_41 Depth 4
                                        ;           Child Loop BB79_42 Depth 5
                                        ;         Child Loop BB79_47 Depth 4
                                        ;           Child Loop BB79_49 Depth 5
	s_getpc_b64 s[20:21]
	s_wait_alu 0xfffe
	s_sext_i32_i16 s21, s21
	s_add_co_u32 s20, s20, __const._ZL38rocblas_trsm_small_left_device_sharedBILi12ELi12ELb1EddPKPKdPKPdEv13rocblas_fill_18rocblas_operation_17rocblas_diagonal_iiT3_T4_lilT5_lili.step_sizes@rel32@lo+12
	s_wait_alu 0xfffe
	s_add_co_ci_u32 s21, s21, __const._ZL38rocblas_trsm_small_left_device_sharedBILi12ELi12ELb1EddPKPKdPKPdEv13rocblas_fill_18rocblas_operation_17rocblas_diagonal_iiT3_T4_lilT5_lili.step_sizes@rel32@hi+24
	s_lshl_b64 s[22:23], s[18:19], 2
	s_wait_alu 0xfffe
	s_add_nc_u64 s[20:21], s[20:21], s[22:23]
	s_load_b32 s33, s[20:21], 0x0
	s_wait_kmcnt 0x0
	s_add_co_i32 s34, s33, -1
	s_delay_alu instid0(SALU_CYCLE_1)
	s_add_co_i32 s20, s34, s3
	s_wait_alu 0xfffe
	s_cmp_ge_i32 s20, s1
	s_cbranch_scc1 .LBB79_50
; %bb.35:                               ;   in Loop: Header=BB79_34 Depth=2
	v_mad_co_u64_u32 v[34:35], null, 0x60, s3, v[68:69]
	s_max_i32 s35, s33, 1
	s_mul_i32 s36, s33, 0x60
	s_lshl_b32 s37, s3, 3
	s_lshl_b32 s38, s33, 3
	s_mul_i32 s39, s3, 0x68
	s_mul_i32 s40, s33, 0x68
	s_branch .LBB79_37
.LBB79_36:                              ;   in Loop: Header=BB79_37 Depth=3
	s_add_co_i32 s3, s3, s33
	v_add_nc_u32_e32 v34, s36, v34
	s_wait_alu 0xfffe
	s_add_co_i32 s20, s34, s3
	s_add_co_i32 s37, s37, s38
	;; [unrolled: 1-line block ×3, first 2 shown]
	s_wait_alu 0xfffe
	s_cmp_ge_i32 s20, s1
	s_cbranch_scc1 .LBB79_50
.LBB79_37:                              ;   Parent Loop BB79_3 Depth=1
                                        ;     Parent Loop BB79_34 Depth=2
                                        ; =>    This Loop Header: Depth=3
                                        ;         Child Loop BB79_38 Depth 4
                                        ;         Child Loop BB79_41 Depth 4
                                        ;           Child Loop BB79_42 Depth 5
                                        ;         Child Loop BB79_47 Depth 4
                                        ;           Child Loop BB79_49 Depth 5
	v_mov_b32_e32 v35, v34
	s_mov_b64 s[20:21], 0
.LBB79_38:                              ;   Parent Loop BB79_3 Depth=1
                                        ;     Parent Loop BB79_34 Depth=2
                                        ;       Parent Loop BB79_37 Depth=3
                                        ; =>      This Inner Loop Header: Depth=4
	ds_load_b64 v[36:37], v35
	v_add_nc_u32_e32 v35, 0x60, v35
	s_wait_alu 0xfffe
	s_lshl_b32 m0, s20, 1
	s_add_nc_u64 s[20:21], s[20:21], 1
	s_wait_alu 0xfffe
	s_cmp_eq_u32 s35, s20
	s_wait_dscnt 0x0
	v_movreld_b32_e32 v2, v36
	v_movreld_b32_e32 v3, v37
	s_cbranch_scc0 .LBB79_38
; %bb.39:                               ;   in Loop: Header=BB79_37 Depth=3
	s_cmp_lt_i32 s3, 1
	s_cbranch_scc1 .LBB79_44
; %bb.40:                               ;   in Loop: Header=BB79_37 Depth=3
	s_mov_b32 s22, 0
	s_mov_b32 s23, s37
.LBB79_41:                              ;   Parent Loop BB79_3 Depth=1
                                        ;     Parent Loop BB79_34 Depth=2
                                        ;       Parent Loop BB79_37 Depth=3
                                        ; =>      This Loop Header: Depth=4
                                        ;           Child Loop BB79_42 Depth 5
	s_wait_alu 0xfffe
	v_mad_co_u64_u32 v[35:36], null, 0x60, s22, v[68:69]
	s_mov_b64 s[20:21], 0
	s_mov_b32 s24, s23
	ds_load_b64 v[35:36], v35
.LBB79_42:                              ;   Parent Loop BB79_3 Depth=1
                                        ;     Parent Loop BB79_34 Depth=2
                                        ;       Parent Loop BB79_37 Depth=3
                                        ;         Parent Loop BB79_41 Depth=4
                                        ; =>        This Inner Loop Header: Depth=5
	s_wait_alu 0xfffe
	v_mov_b32_e32 v37, s24
	s_lshl_b32 m0, s20, 1
	s_add_nc_u64 s[20:21], s[20:21], 1
	v_movrels_b32_e32 v40, v3
	v_movrels_b32_e32 v39, v2
	ds_load_b64 v[37:38], v37
	s_add_co_i32 s24, s24, 8
	s_wait_alu 0xfffe
	s_cmp_eq_u32 s35, s20
	s_wait_dscnt 0x0
	v_fma_f64 v[37:38], -v[35:36], v[37:38], v[39:40]
	s_delay_alu instid0(VALU_DEP_1) | instskip(NEXT) | instid1(VALU_DEP_2)
	v_movreld_b32_e32 v2, v37
	v_movreld_b32_e32 v3, v38
	s_cbranch_scc0 .LBB79_42
; %bb.43:                               ;   in Loop: Header=BB79_41 Depth=4
	s_add_co_i32 s22, s22, 1
	s_addk_co_i32 s23, 0x60
	s_wait_alu 0xfffe
	s_cmp_eq_u32 s22, s3
	s_cbranch_scc0 .LBB79_41
.LBB79_44:                              ;   in Loop: Header=BB79_37 Depth=3
	s_mov_b64 s[20:21], 0
	s_mov_b32 s41, s39
	s_branch .LBB79_47
.LBB79_45:                              ;   in Loop: Header=BB79_47 Depth=4
	s_mov_b64 s[22:23], 0
.LBB79_46:                              ;   in Loop: Header=BB79_47 Depth=4
	s_add_co_i32 s23, s20, s3
	s_wait_alu 0xfffe
	s_lshl_b32 m0, s22, 1
	s_mul_i32 s24, s23, 0x68
	v_movrels_b32_e32 v38, v3
	s_wait_alu 0xfffe
	v_mov_b32_e32 v35, s24
	v_movrels_b32_e32 v37, v2
	s_add_nc_u64 s[20:21], s[20:21], 1
	s_add_co_i32 s41, s41, 8
	s_wait_alu 0xfffe
	s_cmp_eq_u32 s20, s35
	ds_load_b64 v[35:36], v35
	s_wait_dscnt 0x0
	v_mul_f64_e32 v[35:36], v[37:38], v[35:36]
	v_mad_co_u64_u32 v[37:38], null, 0x60, s23, v[68:69]
	s_delay_alu instid0(VALU_DEP_2) | instskip(NEXT) | instid1(VALU_DEP_3)
	v_movreld_b32_e32 v2, v35
	v_movreld_b32_e32 v3, v36
	ds_store_b64 v37, v[35:36]
	s_cbranch_scc1 .LBB79_36
.LBB79_47:                              ;   Parent Loop BB79_3 Depth=1
                                        ;     Parent Loop BB79_34 Depth=2
                                        ;       Parent Loop BB79_37 Depth=3
                                        ; =>      This Loop Header: Depth=4
                                        ;           Child Loop BB79_49 Depth 5
	s_wait_alu 0xfffe
	s_cmp_eq_u32 s20, 0
	s_cbranch_scc1 .LBB79_45
; %bb.48:                               ;   in Loop: Header=BB79_47 Depth=4
	s_mov_b64 s[22:23], s[20:21]
	s_mov_b64 s[24:25], 0
	s_lshl_b32 s23, s20, 1
	s_mov_b32 s42, s41
.LBB79_49:                              ;   Parent Loop BB79_3 Depth=1
                                        ;     Parent Loop BB79_34 Depth=2
                                        ;       Parent Loop BB79_37 Depth=3
                                        ;         Parent Loop BB79_47 Depth=4
                                        ; =>        This Inner Loop Header: Depth=5
	s_wait_alu 0xfffe
	v_mov_b32_e32 v35, s42
	s_lshl_b32 m0, s24, 1
	s_add_nc_u64 s[24:25], s[24:25], 1
	v_movrels_b32_e32 v38, v3
	v_movrels_b32_e32 v37, v2
	ds_load_b64 v[35:36], v35
	s_mov_b32 m0, s23
	s_addk_co_i32 s42, 0x60
	v_movrels_b32_e32 v40, v3
	v_movrels_b32_e32 v39, v2
	s_wait_alu 0xfffe
	s_cmp_eq_u32 s20, s24
	s_wait_dscnt 0x0
	s_delay_alu instid0(VALU_DEP_1) | instskip(NEXT) | instid1(VALU_DEP_1)
	v_fma_f64 v[35:36], -v[37:38], v[35:36], v[39:40]
	v_movreld_b32_e32 v2, v35
	s_delay_alu instid0(VALU_DEP_2)
	v_movreld_b32_e32 v3, v36
	s_cbranch_scc0 .LBB79_49
	s_branch .LBB79_46
.LBB79_50:                              ;   in Loop: Header=BB79_34 Depth=2
	s_cmp_lt_i32 s3, s1
	s_cselect_b32 s21, -1, 0
	s_add_co_i32 s20, s18, 1
	s_cmp_lt_u32 s18, 2
	s_cselect_b32 s18, -1, 0
	s_wait_alu 0xfffe
	s_and_b32 s18, s21, s18
	s_delay_alu instid0(SALU_CYCLE_1)
	s_and_not1_b32 vcc_lo, exec_lo, s18
	s_wait_alu 0xfffe
	s_cbranch_vccnz .LBB79_52
; %bb.51:                               ;   in Loop: Header=BB79_34 Depth=2
	s_mov_b32 s18, s20
	s_branch .LBB79_34
.LBB79_52:                              ;   in Loop: Header=BB79_3 Depth=1
	v_dual_mov_b32 v65, v33 :: v_dual_mov_b32 v64, v32
	v_dual_mov_b32 v63, v31 :: v_dual_mov_b32 v62, v30
	;; [unrolled: 1-line block ×16, first 2 shown]
.LBB79_53:                              ;   in Loop: Header=BB79_3 Depth=1
	; wave barrier
	s_wait_loadcnt_dscnt 0x0
	global_inv scope:SCOPE_SE
	s_and_saveexec_b32 s3, s30
	s_cbranch_execz .LBB79_2
; %bb.54:                               ;   in Loop: Header=BB79_3 Depth=1
	v_lshlrev_b64_e32 v[2:3], 3, v[66:67]
	v_mov_b32_e32 v4, v68
	s_mov_b32 s18, s1
	s_delay_alu instid0(VALU_DEP_2) | instskip(SKIP_1) | instid1(VALU_DEP_3)
	v_add_co_u32 v2, vcc_lo, v73, v2
	s_wait_alu 0xfffd
	v_add_co_ci_u32_e64 v3, null, v74, v3, vcc_lo
.LBB79_55:                              ;   Parent Loop BB79_3 Depth=1
                                        ; =>  This Inner Loop Header: Depth=2
	ds_load_b64 v[5:6], v4
	v_add_nc_u32_e32 v4, 0x60, v4
	s_add_co_i32 s18, s18, -1
	s_delay_alu instid0(SALU_CYCLE_1)
	s_cmp_lg_u32 s18, 0
	s_wait_dscnt 0x0
	flat_store_b64 v[2:3], v[5:6]
	v_add_co_u32 v2, vcc_lo, v2, 8
	s_wait_alu 0xfffd
	v_add_co_ci_u32_e64 v3, null, 0, v3, vcc_lo
	s_cbranch_scc1 .LBB79_55
	s_branch .LBB79_2
.LBB79_56:
	s_endpgm
	.section	.rodata,"a",@progbits
	.p2align	6, 0x0
	.amdhsa_kernel _ZL38rocblas_trsm_small_left_device_sharedBILi12ELi12ELb1EddPKPKdPKPdEv13rocblas_fill_18rocblas_operation_17rocblas_diagonal_iiT3_T4_lilT5_lili
		.amdhsa_group_segment_fixed_size 2304
		.amdhsa_private_segment_fixed_size 0
		.amdhsa_kernarg_size 360
		.amdhsa_user_sgpr_count 2
		.amdhsa_user_sgpr_dispatch_ptr 0
		.amdhsa_user_sgpr_queue_ptr 0
		.amdhsa_user_sgpr_kernarg_segment_ptr 1
		.amdhsa_user_sgpr_dispatch_id 0
		.amdhsa_user_sgpr_private_segment_size 0
		.amdhsa_wavefront_size32 1
		.amdhsa_uses_dynamic_stack 0
		.amdhsa_enable_private_segment 0
		.amdhsa_system_sgpr_workgroup_id_x 1
		.amdhsa_system_sgpr_workgroup_id_y 0
		.amdhsa_system_sgpr_workgroup_id_z 1
		.amdhsa_system_sgpr_workgroup_info 0
		.amdhsa_system_vgpr_workitem_id 0
		.amdhsa_next_free_vgpr 80
		.amdhsa_next_free_sgpr 45
		.amdhsa_reserve_vcc 1
		.amdhsa_float_round_mode_32 0
		.amdhsa_float_round_mode_16_64 0
		.amdhsa_float_denorm_mode_32 3
		.amdhsa_float_denorm_mode_16_64 3
		.amdhsa_fp16_overflow 0
		.amdhsa_workgroup_processor_mode 1
		.amdhsa_memory_ordered 1
		.amdhsa_forward_progress 1
		.amdhsa_inst_pref_size 23
		.amdhsa_round_robin_scheduling 0
		.amdhsa_exception_fp_ieee_invalid_op 0
		.amdhsa_exception_fp_denorm_src 0
		.amdhsa_exception_fp_ieee_div_zero 0
		.amdhsa_exception_fp_ieee_overflow 0
		.amdhsa_exception_fp_ieee_underflow 0
		.amdhsa_exception_fp_ieee_inexact 0
		.amdhsa_exception_int_div_zero 0
	.end_amdhsa_kernel
	.section	.text._ZL38rocblas_trsm_small_left_device_sharedBILi12ELi12ELb1EddPKPKdPKPdEv13rocblas_fill_18rocblas_operation_17rocblas_diagonal_iiT3_T4_lilT5_lili,"axG",@progbits,_ZL38rocblas_trsm_small_left_device_sharedBILi12ELi12ELb1EddPKPKdPKPdEv13rocblas_fill_18rocblas_operation_17rocblas_diagonal_iiT3_T4_lilT5_lili,comdat
.Lfunc_end79:
	.size	_ZL38rocblas_trsm_small_left_device_sharedBILi12ELi12ELb1EddPKPKdPKPdEv13rocblas_fill_18rocblas_operation_17rocblas_diagonal_iiT3_T4_lilT5_lili, .Lfunc_end79-_ZL38rocblas_trsm_small_left_device_sharedBILi12ELi12ELb1EddPKPKdPKPdEv13rocblas_fill_18rocblas_operation_17rocblas_diagonal_iiT3_T4_lilT5_lili
                                        ; -- End function
	.set _ZL38rocblas_trsm_small_left_device_sharedBILi12ELi12ELb1EddPKPKdPKPdEv13rocblas_fill_18rocblas_operation_17rocblas_diagonal_iiT3_T4_lilT5_lili.num_vgpr, 80
	.set _ZL38rocblas_trsm_small_left_device_sharedBILi12ELi12ELb1EddPKPKdPKPdEv13rocblas_fill_18rocblas_operation_17rocblas_diagonal_iiT3_T4_lilT5_lili.num_agpr, 0
	.set _ZL38rocblas_trsm_small_left_device_sharedBILi12ELi12ELb1EddPKPKdPKPdEv13rocblas_fill_18rocblas_operation_17rocblas_diagonal_iiT3_T4_lilT5_lili.numbered_sgpr, 45
	.set _ZL38rocblas_trsm_small_left_device_sharedBILi12ELi12ELb1EddPKPKdPKPdEv13rocblas_fill_18rocblas_operation_17rocblas_diagonal_iiT3_T4_lilT5_lili.num_named_barrier, 0
	.set _ZL38rocblas_trsm_small_left_device_sharedBILi12ELi12ELb1EddPKPKdPKPdEv13rocblas_fill_18rocblas_operation_17rocblas_diagonal_iiT3_T4_lilT5_lili.private_seg_size, 0
	.set _ZL38rocblas_trsm_small_left_device_sharedBILi12ELi12ELb1EddPKPKdPKPdEv13rocblas_fill_18rocblas_operation_17rocblas_diagonal_iiT3_T4_lilT5_lili.uses_vcc, 1
	.set _ZL38rocblas_trsm_small_left_device_sharedBILi12ELi12ELb1EddPKPKdPKPdEv13rocblas_fill_18rocblas_operation_17rocblas_diagonal_iiT3_T4_lilT5_lili.uses_flat_scratch, 0
	.set _ZL38rocblas_trsm_small_left_device_sharedBILi12ELi12ELb1EddPKPKdPKPdEv13rocblas_fill_18rocblas_operation_17rocblas_diagonal_iiT3_T4_lilT5_lili.has_dyn_sized_stack, 0
	.set _ZL38rocblas_trsm_small_left_device_sharedBILi12ELi12ELb1EddPKPKdPKPdEv13rocblas_fill_18rocblas_operation_17rocblas_diagonal_iiT3_T4_lilT5_lili.has_recursion, 0
	.set _ZL38rocblas_trsm_small_left_device_sharedBILi12ELi12ELb1EddPKPKdPKPdEv13rocblas_fill_18rocblas_operation_17rocblas_diagonal_iiT3_T4_lilT5_lili.has_indirect_call, 0
	.section	.AMDGPU.csdata,"",@progbits
; Kernel info:
; codeLenInByte = 2932
; TotalNumSgprs: 47
; NumVgprs: 80
; ScratchSize: 0
; MemoryBound: 0
; FloatMode: 240
; IeeeMode: 1
; LDSByteSize: 2304 bytes/workgroup (compile time only)
; SGPRBlocks: 0
; VGPRBlocks: 9
; NumSGPRsForWavesPerEU: 47
; NumVGPRsForWavesPerEU: 80
; Occupancy: 14
; WaveLimiterHint : 0
; COMPUTE_PGM_RSRC2:SCRATCH_EN: 0
; COMPUTE_PGM_RSRC2:USER_SGPR: 2
; COMPUTE_PGM_RSRC2:TRAP_HANDLER: 0
; COMPUTE_PGM_RSRC2:TGID_X_EN: 1
; COMPUTE_PGM_RSRC2:TGID_Y_EN: 0
; COMPUTE_PGM_RSRC2:TGID_Z_EN: 1
; COMPUTE_PGM_RSRC2:TIDIG_COMP_CNT: 0
	.section	.text._ZL30rocblas_trsm_small_left_deviceILi12ELi12ELb1EddPKPKdPKPdEv13rocblas_fill_18rocblas_operation_17rocblas_diagonal_iiT3_T4_lilT5_lili,"axG",@progbits,_ZL30rocblas_trsm_small_left_deviceILi12ELi12ELb1EddPKPKdPKPdEv13rocblas_fill_18rocblas_operation_17rocblas_diagonal_iiT3_T4_lilT5_lili,comdat
	.globl	_ZL30rocblas_trsm_small_left_deviceILi12ELi12ELb1EddPKPKdPKPdEv13rocblas_fill_18rocblas_operation_17rocblas_diagonal_iiT3_T4_lilT5_lili ; -- Begin function _ZL30rocblas_trsm_small_left_deviceILi12ELi12ELb1EddPKPKdPKPdEv13rocblas_fill_18rocblas_operation_17rocblas_diagonal_iiT3_T4_lilT5_lili
	.p2align	8
	.type	_ZL30rocblas_trsm_small_left_deviceILi12ELi12ELb1EddPKPKdPKPdEv13rocblas_fill_18rocblas_operation_17rocblas_diagonal_iiT3_T4_lilT5_lili,@function
_ZL30rocblas_trsm_small_left_deviceILi12ELi12ELb1EddPKPKdPKPdEv13rocblas_fill_18rocblas_operation_17rocblas_diagonal_iiT3_T4_lilT5_lili: ; @_ZL30rocblas_trsm_small_left_deviceILi12ELi12ELb1EddPKPKdPKPdEv13rocblas_fill_18rocblas_operation_17rocblas_diagonal_iiT3_T4_lilT5_lili
; %bb.0:
	s_load_b32 s33, s[0:1], 0x60
	s_lshr_b32 s2, ttmp7, 16
	s_wait_kmcnt 0x0
	s_cmp_ge_u32 s2, s33
	s_cbranch_scc1 .LBB80_53
; %bb.1:
	s_clause 0x5
	s_load_b96 s[16:18], s[0:1], 0x28
	s_load_b128 s[12:15], s[0:1], 0x4
	s_load_b32 s3, s[0:1], 0x68
	s_load_b32 s20, s[0:1], 0x50
	s_load_b128 s[4:7], s[0:1], 0x18
	s_load_b128 s[8:11], s[0:1], 0x40
	v_mad_co_u64_u32 v[2:3], null, ttmp9, 12, v[0:1]
	s_mul_i32 s0, ttmp9, -12
	v_dual_mov_b32 v1, 0 :: v_dual_lshlrev_b32 v72, 3, v0
	v_mul_u32_u24_e32 v34, 0x60, v0
	s_mov_b32 s39, 0
	s_delay_alu instid0(VALU_DEP_2)
	v_dual_mov_b32 v4, v1 :: v_dual_mov_b32 v5, v1
	v_dual_mov_b32 v6, v1 :: v_dual_mov_b32 v7, v1
	;; [unrolled: 1-line block ×3, first 2 shown]
	s_wait_kmcnt 0x0
	s_min_i32 s34, s14, 12
	s_add_co_i32 s3, s3, -1
	v_mad_co_i64_i32 v[2:3], null, s20, v2, 0
	s_ashr_i32 s19, s18, 31
	s_wait_alu 0xfffe
	s_add_co_i32 s0, s15, s0
	s_add_co_i32 s35, s34, -1
	s_wait_alu 0xfffe
	s_cmp_ge_u32 ttmp9, s3
	v_dual_mov_b32 v10, v1 :: v_dual_mov_b32 v11, v1
	s_cselect_b32 s1, s0, 12
	s_cmp_lg_u32 s13, 0x84
	v_lshlrev_b64_e32 v[66:67], 3, v[2:3]
	s_cselect_b32 s36, -1, 0
	s_cmp_lg_u32 s12, 0x6f
	v_dual_mov_b32 v2, v1 :: v_dual_mov_b32 v3, v1
	s_cselect_b32 s37, -1, 0
	s_lshl_b64 s[10:11], s[10:11], 3
	v_dual_mov_b32 v12, v1 :: v_dual_mov_b32 v13, v1
	v_dual_mov_b32 v14, v1 :: v_dual_mov_b32 v15, v1
	;; [unrolled: 1-line block ×6, first 2 shown]
	v_dual_mov_b32 v24, v1 :: v_dual_add_nc_u32 v75, v72, v34
	v_add_co_u32 v73, vcc_lo, v66, s10
	v_cmp_gt_i32_e64 s0, s34, v0
	s_wait_alu 0xfffe
	v_cmp_gt_i32_e64 s1, s1, v0
	v_dual_mov_b32 v33, v32 :: v_dual_lshlrev_b32 v0, 3, v0
	v_add_co_ci_u32_e64 v74, null, s11, v67, vcc_lo
	v_mov_b32_e32 v32, v31
	v_mov_b32_e32 v31, v30
	;; [unrolled: 1-line block ×31, first 2 shown]
	s_lshl_b32 s38, s34, 3
	s_lshl_b64 s[12:13], s[18:19], 3
	s_mov_b32 s15, 0
	s_add_co_i32 s38, s38, -8
	s_lshl_b64 s[16:17], s[16:17], 3
	s_branch .LBB80_5
.LBB80_2:                               ;   in Loop: Header=BB80_5 Depth=1
	v_dual_mov_b32 v65, v33 :: v_dual_mov_b32 v64, v32
	v_dual_mov_b32 v63, v31 :: v_dual_mov_b32 v62, v30
	;; [unrolled: 1-line block ×16, first 2 shown]
.LBB80_3:                               ;   in Loop: Header=BB80_5 Depth=1
	s_add_co_i32 s2, s2, 0x10000
	s_delay_alu instid0(SALU_CYCLE_1) | instskip(SKIP_1) | instid1(SALU_CYCLE_1)
	s_cmp_ge_u32 s2, s33
	s_cselect_b32 s14, -1, 0
	s_or_not1_b32 s14, s14, exec_lo
.LBB80_4:                               ;   in Loop: Header=BB80_5 Depth=1
	s_or_b32 exec_lo, exec_lo, s3
	v_dual_mov_b32 v2, v34 :: v_dual_mov_b32 v3, v35
	v_dual_mov_b32 v4, v36 :: v_dual_mov_b32 v5, v37
	;; [unrolled: 1-line block ×16, first 2 shown]
	s_and_b32 s3, exec_lo, s14
	s_delay_alu instid0(SALU_CYCLE_1) | instskip(NEXT) | instid1(SALU_CYCLE_1)
	s_or_b32 s39, s3, s39
	s_and_not1_b32 exec_lo, exec_lo, s39
	s_cbranch_execz .LBB80_53
.LBB80_5:                               ; =>This Loop Header: Depth=1
                                        ;     Child Loop BB80_7 Depth 2
                                        ;     Child Loop BB80_14 Depth 2
                                        ;       Child Loop BB80_17 Depth 3
                                        ;         Child Loop BB80_18 Depth 4
                                        ;         Child Loop BB80_20 Depth 4
                                        ;           Child Loop BB80_21 Depth 5
                                        ;         Child Loop BB80_26 Depth 4
                                        ;           Child Loop BB80_28 Depth 5
                                        ;     Child Loop BB80_35 Depth 2
                                        ;       Child Loop BB80_38 Depth 3
                                        ;         Child Loop BB80_39 Depth 4
                                        ;         Child Loop BB80_42 Depth 4
                                        ;           Child Loop BB80_43 Depth 5
                                        ;         Child Loop BB80_48 Depth 4
                                        ;           Child Loop BB80_50 Depth 5
	s_mov_b32 s3, s15
	s_delay_alu instid0(SALU_CYCLE_1) | instskip(NEXT) | instid1(SALU_CYCLE_1)
	s_lshl_b64 s[18:19], s[2:3], 3
	s_add_nc_u64 s[20:21], s[8:9], s[18:19]
	global_load_b64 v[68:69], v1, s[20:21]
	s_and_saveexec_b32 s3, s0
	s_cbranch_execz .LBB80_11
; %bb.6:                                ;   in Loop: Header=BB80_5 Depth=1
	s_add_nc_u64 s[18:19], s[6:7], s[18:19]
	v_mov_b32_e32 v36, v72
	global_load_b64 v[34:35], v1, s[18:19]
	s_mov_b32 s14, s34
	s_wait_loadcnt 0x0
	v_add_co_u32 v34, vcc_lo, v34, s16
	s_wait_alu 0xfffd
	v_add_co_ci_u32_e64 v35, null, s17, v35, vcc_lo
	s_delay_alu instid0(VALU_DEP_2) | instskip(SKIP_1) | instid1(VALU_DEP_2)
	v_add_co_u32 v34, vcc_lo, v34, v0
	s_wait_alu 0xfffd
	v_add_co_ci_u32_e64 v35, null, 0, v35, vcc_lo
.LBB80_7:                               ;   Parent Loop BB80_5 Depth=1
                                        ; =>  This Inner Loop Header: Depth=2
	flat_load_b64 v[37:38], v[34:35]
	v_add_co_u32 v34, vcc_lo, v34, s12
	s_wait_alu 0xfffd
	v_add_co_ci_u32_e64 v35, null, s13, v35, vcc_lo
	s_add_co_i32 s14, s14, -1
	s_delay_alu instid0(SALU_CYCLE_1)
	s_cmp_eq_u32 s14, 0
	s_wait_loadcnt_dscnt 0x0
	ds_store_b64 v36, v[37:38]
	v_add_nc_u32_e32 v36, 0x60, v36
	s_cbranch_scc0 .LBB80_7
; %bb.8:                                ;   in Loop: Header=BB80_5 Depth=1
	v_mov_b32_e32 v34, 0
	v_mov_b32_e32 v35, 0x3ff00000
	s_and_b32 vcc_lo, exec_lo, s36
	s_wait_alu 0xfffe
	s_cbranch_vccz .LBB80_10
; %bb.9:                                ;   in Loop: Header=BB80_5 Depth=1
	ds_load_b64 v[34:35], v75
	s_wait_dscnt 0x0
	v_div_scale_f64 v[36:37], null, v[34:35], v[34:35], 1.0
	s_delay_alu instid0(VALU_DEP_1) | instskip(NEXT) | instid1(TRANS32_DEP_1)
	v_rcp_f64_e32 v[38:39], v[36:37]
	v_fma_f64 v[40:41], -v[36:37], v[38:39], 1.0
	s_delay_alu instid0(VALU_DEP_1) | instskip(NEXT) | instid1(VALU_DEP_1)
	v_fma_f64 v[38:39], v[38:39], v[40:41], v[38:39]
	v_fma_f64 v[40:41], -v[36:37], v[38:39], 1.0
	s_delay_alu instid0(VALU_DEP_1) | instskip(SKIP_1) | instid1(VALU_DEP_1)
	v_fma_f64 v[38:39], v[38:39], v[40:41], v[38:39]
	v_div_scale_f64 v[40:41], vcc_lo, 1.0, v[34:35], 1.0
	v_mul_f64_e32 v[42:43], v[40:41], v[38:39]
	s_delay_alu instid0(VALU_DEP_1) | instskip(SKIP_1) | instid1(VALU_DEP_1)
	v_fma_f64 v[36:37], -v[36:37], v[42:43], v[40:41]
	s_wait_alu 0xfffd
	v_div_fmas_f64 v[36:37], v[36:37], v[38:39], v[42:43]
	s_delay_alu instid0(VALU_DEP_1)
	v_div_fixup_f64 v[34:35], v[36:37], v[34:35], 1.0
.LBB80_10:                              ;   in Loop: Header=BB80_5 Depth=1
	ds_store_b64 v75, v[34:35]
.LBB80_11:                              ;   in Loop: Header=BB80_5 Depth=1
	s_or_b32 exec_lo, exec_lo, s3
	s_mov_b32 s14, -1
	; wave barrier
	s_wait_loadcnt_dscnt 0x0
	global_inv scope:SCOPE_SE
                                        ; implicit-def: $vgpr34_vgpr35_vgpr36_vgpr37_vgpr38_vgpr39_vgpr40_vgpr41_vgpr42_vgpr43_vgpr44_vgpr45_vgpr46_vgpr47_vgpr48_vgpr49_vgpr50_vgpr51_vgpr52_vgpr53_vgpr54_vgpr55_vgpr56_vgpr57_vgpr58_vgpr59_vgpr60_vgpr61_vgpr62_vgpr63_vgpr64_vgpr65
	s_and_saveexec_b32 s3, s1
	s_cbranch_execz .LBB80_4
; %bb.12:                               ;   in Loop: Header=BB80_5 Depth=1
	v_add_co_u32 v34, vcc_lo, v68, s10
	s_wait_alu 0xfffd
	v_add_co_ci_u32_e64 v35, null, s11, v69, vcc_lo
	s_delay_alu instid0(VALU_DEP_2) | instskip(SKIP_1) | instid1(VALU_DEP_2)
	v_add_co_u32 v76, vcc_lo, v34, v66
	s_wait_alu 0xfffd
	v_add_co_ci_u32_e64 v77, null, v35, v67, vcc_lo
	s_and_not1_b32 vcc_lo, exec_lo, s37
                                        ; implicit-def: $vgpr34_vgpr35_vgpr36_vgpr37_vgpr38_vgpr39_vgpr40_vgpr41_vgpr42_vgpr43_vgpr44_vgpr45_vgpr46_vgpr47_vgpr48_vgpr49_vgpr50_vgpr51_vgpr52_vgpr53_vgpr54_vgpr55_vgpr56_vgpr57_vgpr58_vgpr59_vgpr60_vgpr61_vgpr62_vgpr63_vgpr64_vgpr65
	s_wait_alu 0xfffe
	s_cbranch_vccnz .LBB80_33
; %bb.13:                               ;   in Loop: Header=BB80_5 Depth=1
	v_add_co_u32 v78, vcc_lo, v68, v73
	v_dual_mov_b32 v65, v33 :: v_dual_mov_b32 v64, v32
	v_dual_mov_b32 v63, v31 :: v_dual_mov_b32 v62, v30
	;; [unrolled: 1-line block ×16, first 2 shown]
	s_wait_alu 0xfffd
	v_add_co_ci_u32_e64 v79, null, v69, v74, vcc_lo
	s_mov_b32 s14, 0
	s_mov_b32 s18, s35
.LBB80_14:                              ;   Parent Loop BB80_5 Depth=1
                                        ; =>  This Loop Header: Depth=2
                                        ;       Child Loop BB80_17 Depth 3
                                        ;         Child Loop BB80_18 Depth 4
                                        ;         Child Loop BB80_20 Depth 4
                                        ;           Child Loop BB80_21 Depth 5
                                        ;         Child Loop BB80_26 Depth 4
                                        ;           Child Loop BB80_28 Depth 5
	s_getpc_b64 s[20:21]
	s_wait_alu 0xfffe
	s_sext_i32_i16 s21, s21
	s_add_co_u32 s20, s20, __const._ZL30rocblas_trsm_small_left_deviceILi12ELi12ELb1EddPKPKdPKPdEv13rocblas_fill_18rocblas_operation_17rocblas_diagonal_iiT3_T4_lilT5_lili.step_sizes@rel32@lo+12
	s_wait_alu 0xfffe
	s_add_co_ci_u32 s21, s21, __const._ZL30rocblas_trsm_small_left_deviceILi12ELi12ELb1EddPKPKdPKPdEv13rocblas_fill_18rocblas_operation_17rocblas_diagonal_iiT3_T4_lilT5_lili.step_sizes@rel32@hi+24
	s_lshl_b64 s[22:23], s[14:15], 2
	s_wait_alu 0xfffe
	s_add_nc_u64 s[20:21], s[20:21], s[22:23]
	s_load_b32 s28, s[20:21], 0x0
	s_wait_kmcnt 0x0
	s_add_co_i32 s29, s28, -1
	s_wait_alu 0xfffe
	s_cmp_lt_i32 s18, s29
	s_cbranch_scc1 .LBB80_30
; %bb.15:                               ;   in Loop: Header=BB80_14 Depth=2
	s_mul_i32 s19, s18, 0x60
	s_max_i32 s30, s28, 1
	s_add_co_i32 s31, s38, s19
	s_mul_i32 s40, s28, 0xffffffa0
	s_mul_i32 s41, s18, 0x68
	s_mul_i32 s42, s28, 0xffffff98
	s_branch .LBB80_17
.LBB80_16:                              ;   in Loop: Header=BB80_17 Depth=3
	s_sub_co_i32 s18, s18, s28
	s_add_co_i32 s31, s31, s40
	s_add_co_i32 s41, s41, s42
	s_cmp_lt_i32 s18, s29
	s_cbranch_scc1 .LBB80_30
.LBB80_17:                              ;   Parent Loop BB80_5 Depth=1
                                        ;     Parent Loop BB80_14 Depth=2
                                        ; =>    This Loop Header: Depth=3
                                        ;         Child Loop BB80_18 Depth 4
                                        ;         Child Loop BB80_20 Depth 4
                                        ;           Child Loop BB80_21 Depth 5
                                        ;         Child Loop BB80_26 Depth 4
                                        ;           Child Loop BB80_28 Depth 5
	s_ashr_i32 s19, s18, 31
	s_delay_alu instid0(SALU_CYCLE_1)
	s_lshl_b64 s[20:21], s[18:19], 3
	s_wait_alu 0xfffe
	v_add_co_u32 v70, vcc_lo, v78, s20
	s_wait_alu 0xfffd
	v_add_co_ci_u32_e64 v71, null, s21, v79, vcc_lo
	s_mov_b64 s[20:21], 0
.LBB80_18:                              ;   Parent Loop BB80_5 Depth=1
                                        ;     Parent Loop BB80_14 Depth=2
                                        ;       Parent Loop BB80_17 Depth=3
                                        ; =>      This Inner Loop Header: Depth=4
	flat_load_b64 v[80:81], v[70:71]
	v_add_co_u32 v70, vcc_lo, v70, -8
	s_wait_alu 0xfffd
	v_add_co_ci_u32_e64 v71, null, -1, v71, vcc_lo
	s_wait_alu 0xfffe
	s_lshl_b32 m0, s20, 1
	s_add_nc_u64 s[20:21], s[20:21], 1
	s_wait_alu 0xfffe
	s_cmp_eq_u32 s30, s20
	s_wait_loadcnt_dscnt 0x0
	v_mul_f64_e32 v[80:81], s[4:5], v[80:81]
	s_delay_alu instid0(VALU_DEP_1) | instskip(NEXT) | instid1(VALU_DEP_2)
	v_movreld_b32_e32 v34, v80
	v_movreld_b32_e32 v35, v81
	s_cbranch_scc0 .LBB80_18
; %bb.19:                               ;   in Loop: Header=BB80_17 Depth=3
	s_cmp_le_i32 s35, s18
	s_mov_b32 s24, s31
	s_mov_b32 s20, s35
	s_cbranch_scc1 .LBB80_23
.LBB80_20:                              ;   Parent Loop BB80_5 Depth=1
                                        ;     Parent Loop BB80_14 Depth=2
                                        ;       Parent Loop BB80_17 Depth=3
                                        ; =>      This Loop Header: Depth=4
                                        ;           Child Loop BB80_21 Depth 5
	s_wait_alu 0xfffe
	s_ashr_i32 s21, s20, 31
	s_wait_alu 0xfffe
	s_lshl_b64 s[22:23], s[20:21], 3
	s_mov_b32 s21, s24
	s_wait_alu 0xfffe
	v_add_co_u32 v70, vcc_lo, v76, s22
	s_wait_alu 0xfffd
	v_add_co_ci_u32_e64 v71, null, s23, v77, vcc_lo
	s_mov_b64 s[22:23], 0
	flat_load_b64 v[70:71], v[70:71]
.LBB80_21:                              ;   Parent Loop BB80_5 Depth=1
                                        ;     Parent Loop BB80_14 Depth=2
                                        ;       Parent Loop BB80_17 Depth=3
                                        ;         Parent Loop BB80_20 Depth=4
                                        ; =>        This Inner Loop Header: Depth=5
	s_wait_alu 0xfffe
	v_mov_b32_e32 v80, s21
	s_lshl_b32 m0, s22, 1
	s_add_nc_u64 s[22:23], s[22:23], 1
	v_movrels_b32_e32 v83, v35
	v_movrels_b32_e32 v82, v34
	ds_load_b64 v[80:81], v80
	s_addk_co_i32 s21, 0xffa0
	s_wait_alu 0xfffe
	s_cmp_eq_u32 s30, s22
	s_wait_loadcnt_dscnt 0x0
	v_fma_f64 v[80:81], -v[70:71], v[80:81], v[82:83]
	s_delay_alu instid0(VALU_DEP_1) | instskip(NEXT) | instid1(VALU_DEP_2)
	v_movreld_b32_e32 v34, v80
	v_movreld_b32_e32 v35, v81
	s_cbranch_scc0 .LBB80_21
; %bb.22:                               ;   in Loop: Header=BB80_20 Depth=4
	s_add_co_i32 s20, s20, -1
	s_add_co_i32 s24, s24, -8
	s_wait_alu 0xfffe
	s_cmp_le_i32 s20, s18
	s_cbranch_scc0 .LBB80_20
.LBB80_23:                              ;   in Loop: Header=BB80_17 Depth=3
	s_mov_b64 s[20:21], 0
	s_mov_b32 s43, s41
	s_branch .LBB80_26
.LBB80_24:                              ;   in Loop: Header=BB80_26 Depth=4
	s_mov_b32 s26, s18
	s_mov_b64 s[22:23], 0
	s_mov_b64 s[24:25], s[18:19]
.LBB80_25:                              ;   in Loop: Header=BB80_26 Depth=4
	s_wait_alu 0xfffe
	s_mul_i32 s23, s26, 0x68
	s_lshl_b32 m0, s22, 1
	s_wait_alu 0xfffe
	v_mov_b32_e32 v70, s23
	v_movrels_b32_e32 v81, v35
	v_movrels_b32_e32 v80, v34
	s_lshl_b64 s[22:23], s[24:25], 3
	s_add_nc_u64 s[20:21], s[20:21], 1
	ds_load_b64 v[70:71], v70
	s_addk_co_i32 s43, 0xffa0
	s_wait_alu 0xfffe
	s_cmp_eq_u32 s20, s30
	s_wait_dscnt 0x0
	v_mul_f64_e32 v[70:71], v[80:81], v[70:71]
	v_add_co_u32 v80, vcc_lo, v76, s22
	s_wait_alu 0xfffd
	v_add_co_ci_u32_e64 v81, null, s23, v77, vcc_lo
	s_delay_alu instid0(VALU_DEP_3) | instskip(NEXT) | instid1(VALU_DEP_4)
	v_movreld_b32_e32 v34, v70
	v_movreld_b32_e32 v35, v71
	flat_store_b64 v[80:81], v[70:71]
	s_cbranch_scc1 .LBB80_16
.LBB80_26:                              ;   Parent Loop BB80_5 Depth=1
                                        ;     Parent Loop BB80_14 Depth=2
                                        ;       Parent Loop BB80_17 Depth=3
                                        ; =>      This Loop Header: Depth=4
                                        ;           Child Loop BB80_28 Depth 5
	s_wait_alu 0xfffe
	s_cmp_eq_u32 s20, 0
	s_cbranch_scc1 .LBB80_24
; %bb.27:                               ;   in Loop: Header=BB80_26 Depth=4
	s_mov_b64 s[22:23], s[20:21]
	s_mov_b64 s[24:25], 0
	s_lshl_b32 s23, s20, 1
	s_mov_b32 s26, s43
.LBB80_28:                              ;   Parent Loop BB80_5 Depth=1
                                        ;     Parent Loop BB80_14 Depth=2
                                        ;       Parent Loop BB80_17 Depth=3
                                        ;         Parent Loop BB80_26 Depth=4
                                        ; =>        This Inner Loop Header: Depth=5
	s_wait_alu 0xfffe
	v_mov_b32_e32 v70, s26
	s_lshl_b32 m0, s24, 1
	s_add_nc_u64 s[24:25], s[24:25], 1
	v_movrels_b32_e32 v81, v35
	v_movrels_b32_e32 v80, v34
	ds_load_b64 v[70:71], v70
	s_mov_b32 m0, s23
	s_add_co_i32 s26, s26, -8
	v_movrels_b32_e32 v83, v35
	v_movrels_b32_e32 v82, v34
	s_wait_alu 0xfffe
	s_cmp_eq_u32 s20, s24
	s_wait_dscnt 0x0
	s_delay_alu instid0(VALU_DEP_1) | instskip(NEXT) | instid1(VALU_DEP_1)
	v_fma_f64 v[70:71], -v[80:81], v[70:71], v[82:83]
	v_movreld_b32_e32 v34, v70
	s_delay_alu instid0(VALU_DEP_2)
	v_movreld_b32_e32 v35, v71
	s_cbranch_scc0 .LBB80_28
; %bb.29:                               ;   in Loop: Header=BB80_26 Depth=4
	s_sub_co_i32 s26, s18, s20
	s_wait_alu 0xfffe
	s_ashr_i32 s27, s26, 31
	s_wait_alu 0xfffe
	s_mov_b64 s[24:25], s[26:27]
	s_branch .LBB80_25
.LBB80_30:                              ;   in Loop: Header=BB80_14 Depth=2
	s_cmp_gt_i32 s18, -1
	s_cselect_b32 s20, -1, 0
	s_add_co_i32 s19, s14, 1
	s_cmp_lt_u32 s14, 2
	s_cselect_b32 s14, -1, 0
	s_wait_alu 0xfffe
	s_and_b32 s14, s20, s14
	s_delay_alu instid0(SALU_CYCLE_1)
	s_and_b32 vcc_lo, exec_lo, s14
	s_wait_alu 0xfffe
	s_cbranch_vccz .LBB80_32
; %bb.31:                               ;   in Loop: Header=BB80_14 Depth=2
	s_mov_b32 s14, s19
	s_branch .LBB80_14
.LBB80_32:                              ;   in Loop: Header=BB80_5 Depth=1
	s_mov_b32 s14, 0
.LBB80_33:                              ;   in Loop: Header=BB80_5 Depth=1
	s_delay_alu instid0(SALU_CYCLE_1)
	s_and_b32 vcc_lo, exec_lo, s14
	s_wait_alu 0xfffe
	s_cbranch_vccz .LBB80_3
; %bb.34:                               ;   in Loop: Header=BB80_5 Depth=1
	v_add_co_u32 v38, vcc_lo, v68, v73
	s_wait_alu 0xfffd
	v_add_co_ci_u32_e64 v39, null, v69, v74, vcc_lo
	s_mov_b32 s18, 0
	s_mov_b32 s20, 0
.LBB80_35:                              ;   Parent Loop BB80_5 Depth=1
                                        ; =>  This Loop Header: Depth=2
                                        ;       Child Loop BB80_38 Depth 3
                                        ;         Child Loop BB80_39 Depth 4
                                        ;         Child Loop BB80_42 Depth 4
                                        ;           Child Loop BB80_43 Depth 5
                                        ;         Child Loop BB80_48 Depth 4
                                        ;           Child Loop BB80_50 Depth 5
	s_mov_b32 s21, s15
	s_getpc_b64 s[22:23]
	s_wait_alu 0xfffe
	s_sext_i32_i16 s23, s23
	s_add_co_u32 s22, s22, __const._ZL30rocblas_trsm_small_left_deviceILi12ELi12ELb1EddPKPKdPKPdEv13rocblas_fill_18rocblas_operation_17rocblas_diagonal_iiT3_T4_lilT5_lili.step_sizes@rel32@lo+12
	s_wait_alu 0xfffe
	s_add_co_ci_u32 s23, s23, __const._ZL30rocblas_trsm_small_left_deviceILi12ELi12ELb1EddPKPKdPKPdEv13rocblas_fill_18rocblas_operation_17rocblas_diagonal_iiT3_T4_lilT5_lili.step_sizes@rel32@hi+24
	s_lshl_b64 s[24:25], s[20:21], 2
	s_wait_alu 0xfffe
	s_add_nc_u64 s[22:23], s[22:23], s[24:25]
	s_load_b32 s22, s[22:23], 0x0
	s_wait_kmcnt 0x0
	s_add_co_i32 s21, s22, -1
	s_wait_alu 0xfffe
	s_add_co_i32 s14, s21, s18
	s_delay_alu instid0(SALU_CYCLE_1)
	s_cmp_ge_i32 s14, s34
	s_cbranch_scc1 .LBB80_51
; %bb.36:                               ;   in Loop: Header=BB80_35 Depth=2
	s_ashr_i32 s19, s18, 31
	s_ashr_i32 s23, s22, 31
	s_lshl_b64 s[24:25], s[18:19], 3
	s_max_i32 s40, s22, 1
	s_wait_alu 0xfffe
	v_add_co_u32 v34, vcc_lo, v38, s24
	s_wait_alu 0xfffd
	v_add_co_ci_u32_e64 v35, null, s25, v39, vcc_lo
	s_lshl_b64 s[24:25], s[22:23], 3
	s_lshl_b32 s19, s18, 3
	s_lshl_b32 s23, s22, 3
	s_mul_i32 s41, s18, 0x68
	s_mul_i32 s42, s22, 0x68
	s_branch .LBB80_38
.LBB80_37:                              ;   in Loop: Header=BB80_38 Depth=3
	v_add_co_u32 v34, vcc_lo, v34, s24
	s_add_co_i32 s18, s18, s22
	s_wait_alu 0xfffd
	v_add_co_ci_u32_e64 v35, null, s25, v35, vcc_lo
	s_add_co_i32 s14, s21, s18
	s_add_co_i32 s19, s19, s23
	;; [unrolled: 1-line block ×3, first 2 shown]
	s_cmp_ge_i32 s14, s34
	s_cbranch_scc1 .LBB80_51
.LBB80_38:                              ;   Parent Loop BB80_5 Depth=1
                                        ;     Parent Loop BB80_35 Depth=2
                                        ; =>    This Loop Header: Depth=3
                                        ;         Child Loop BB80_39 Depth 4
                                        ;         Child Loop BB80_42 Depth 4
                                        ;           Child Loop BB80_43 Depth 5
                                        ;         Child Loop BB80_48 Depth 4
                                        ;           Child Loop BB80_50 Depth 5
	v_dual_mov_b32 v37, v35 :: v_dual_mov_b32 v36, v34
	s_mov_b64 s[26:27], 0
.LBB80_39:                              ;   Parent Loop BB80_5 Depth=1
                                        ;     Parent Loop BB80_35 Depth=2
                                        ;       Parent Loop BB80_38 Depth=3
                                        ; =>      This Inner Loop Header: Depth=4
	flat_load_b64 v[40:41], v[36:37]
	v_add_co_u32 v36, vcc_lo, v36, 8
	s_wait_alu 0xfffd
	v_add_co_ci_u32_e64 v37, null, 0, v37, vcc_lo
	s_wait_alu 0xfffe
	s_lshl_b32 m0, s26, 1
	s_add_nc_u64 s[26:27], s[26:27], 1
	s_wait_alu 0xfffe
	s_cmp_eq_u32 s40, s26
	s_wait_loadcnt_dscnt 0x0
	v_mul_f64_e32 v[40:41], s[4:5], v[40:41]
	s_delay_alu instid0(VALU_DEP_1) | instskip(NEXT) | instid1(VALU_DEP_2)
	v_movreld_b32_e32 v2, v40
	v_movreld_b32_e32 v3, v41
	s_cbranch_scc0 .LBB80_39
; %bb.40:                               ;   in Loop: Header=BB80_38 Depth=3
	s_cmp_lt_i32 s18, 1
	s_cbranch_scc1 .LBB80_45
; %bb.41:                               ;   in Loop: Header=BB80_38 Depth=3
	s_mov_b32 s14, 0
	s_mov_b32 s28, s19
.LBB80_42:                              ;   Parent Loop BB80_5 Depth=1
                                        ;     Parent Loop BB80_35 Depth=2
                                        ;       Parent Loop BB80_38 Depth=3
                                        ; =>      This Loop Header: Depth=4
                                        ;           Child Loop BB80_43 Depth 5
	s_lshl_b64 s[26:27], s[14:15], 3
	s_wait_alu 0xfffe
	s_mov_b32 s29, s28
	v_add_co_u32 v36, vcc_lo, v76, s26
	s_wait_alu 0xfffd
	v_add_co_ci_u32_e64 v37, null, s27, v77, vcc_lo
	s_mov_b64 s[26:27], 0
	flat_load_b64 v[36:37], v[36:37]
.LBB80_43:                              ;   Parent Loop BB80_5 Depth=1
                                        ;     Parent Loop BB80_35 Depth=2
                                        ;       Parent Loop BB80_38 Depth=3
                                        ;         Parent Loop BB80_42 Depth=4
                                        ; =>        This Inner Loop Header: Depth=5
	s_wait_alu 0xfffe
	v_mov_b32_e32 v40, s29
	s_lshl_b32 m0, s26, 1
	s_add_nc_u64 s[26:27], s[26:27], 1
	v_movrels_b32_e32 v43, v3
	v_movrels_b32_e32 v42, v2
	ds_load_b64 v[40:41], v40
	s_add_co_i32 s29, s29, 8
	s_wait_alu 0xfffe
	s_cmp_eq_u32 s40, s26
	s_wait_loadcnt_dscnt 0x0
	v_fma_f64 v[40:41], -v[36:37], v[40:41], v[42:43]
	s_delay_alu instid0(VALU_DEP_1) | instskip(NEXT) | instid1(VALU_DEP_2)
	v_movreld_b32_e32 v2, v40
	v_movreld_b32_e32 v3, v41
	s_cbranch_scc0 .LBB80_43
; %bb.44:                               ;   in Loop: Header=BB80_42 Depth=4
	s_add_co_i32 s14, s14, 1
	s_addk_co_i32 s28, 0x60
	s_cmp_eq_u32 s14, s18
	s_cbranch_scc0 .LBB80_42
.LBB80_45:                              ;   in Loop: Header=BB80_38 Depth=3
	s_mov_b64 s[26:27], 0
	s_mov_b32 s14, s41
	s_branch .LBB80_48
.LBB80_46:                              ;   in Loop: Header=BB80_48 Depth=4
	s_mov_b64 s[28:29], 0
.LBB80_47:                              ;   in Loop: Header=BB80_48 Depth=4
	s_add_co_i32 s30, s26, s18
	s_wait_alu 0xfffe
	s_lshl_b32 m0, s28, 1
	s_mul_i32 s29, s30, 0x68
	v_movrels_b32_e32 v41, v3
	s_wait_alu 0xfffe
	v_mov_b32_e32 v36, s29
	v_movrels_b32_e32 v40, v2
	s_ashr_i32 s31, s30, 31
	s_add_nc_u64 s[26:27], s[26:27], 1
	s_lshl_b64 s[28:29], s[30:31], 3
	ds_load_b64 v[36:37], v36
	s_add_co_i32 s14, s14, 8
	s_wait_alu 0xfffe
	s_cmp_eq_u32 s26, s40
	s_wait_dscnt 0x0
	v_mul_f64_e32 v[36:37], v[40:41], v[36:37]
	v_add_co_u32 v40, vcc_lo, v76, s28
	s_wait_alu 0xfffd
	v_add_co_ci_u32_e64 v41, null, s29, v77, vcc_lo
	s_delay_alu instid0(VALU_DEP_3) | instskip(NEXT) | instid1(VALU_DEP_4)
	v_movreld_b32_e32 v2, v36
	v_movreld_b32_e32 v3, v37
	flat_store_b64 v[40:41], v[36:37]
	s_cbranch_scc1 .LBB80_37
.LBB80_48:                              ;   Parent Loop BB80_5 Depth=1
                                        ;     Parent Loop BB80_35 Depth=2
                                        ;       Parent Loop BB80_38 Depth=3
                                        ; =>      This Loop Header: Depth=4
                                        ;           Child Loop BB80_50 Depth 5
	s_wait_alu 0xfffe
	s_cmp_eq_u32 s26, 0
	s_cbranch_scc1 .LBB80_46
; %bb.49:                               ;   in Loop: Header=BB80_48 Depth=4
	s_mov_b64 s[28:29], s[26:27]
	s_mov_b64 s[30:31], 0
	s_lshl_b32 s29, s26, 1
	s_mov_b32 s43, s14
.LBB80_50:                              ;   Parent Loop BB80_5 Depth=1
                                        ;     Parent Loop BB80_35 Depth=2
                                        ;       Parent Loop BB80_38 Depth=3
                                        ;         Parent Loop BB80_48 Depth=4
                                        ; =>        This Inner Loop Header: Depth=5
	s_wait_alu 0xfffe
	v_mov_b32_e32 v36, s43
	s_lshl_b32 m0, s30, 1
	s_add_nc_u64 s[30:31], s[30:31], 1
	v_movrels_b32_e32 v41, v3
	v_movrels_b32_e32 v40, v2
	ds_load_b64 v[36:37], v36
	s_mov_b32 m0, s29
	s_addk_co_i32 s43, 0x60
	v_movrels_b32_e32 v43, v3
	v_movrels_b32_e32 v42, v2
	s_cmp_eq_u32 s26, s30
	s_wait_dscnt 0x0
	s_delay_alu instid0(VALU_DEP_1) | instskip(NEXT) | instid1(VALU_DEP_1)
	v_fma_f64 v[36:37], -v[40:41], v[36:37], v[42:43]
	v_movreld_b32_e32 v2, v36
	s_delay_alu instid0(VALU_DEP_2)
	v_movreld_b32_e32 v3, v37
	s_cbranch_scc0 .LBB80_50
	s_branch .LBB80_47
.LBB80_51:                              ;   in Loop: Header=BB80_35 Depth=2
	s_cmp_lt_i32 s18, s34
	s_cselect_b32 s19, -1, 0
	s_add_co_i32 s14, s20, 1
	s_cmp_lt_u32 s20, 2
	s_cselect_b32 s20, -1, 0
	s_wait_alu 0xfffe
	s_and_b32 s19, s19, s20
	s_delay_alu instid0(SALU_CYCLE_1)
	s_and_not1_b32 vcc_lo, exec_lo, s19
	s_wait_alu 0xfffe
	s_cbranch_vccnz .LBB80_2
; %bb.52:                               ;   in Loop: Header=BB80_35 Depth=2
	s_mov_b32 s20, s14
	s_branch .LBB80_35
.LBB80_53:
	s_endpgm
	.section	.rodata,"a",@progbits
	.p2align	6, 0x0
	.amdhsa_kernel _ZL30rocblas_trsm_small_left_deviceILi12ELi12ELb1EddPKPKdPKPdEv13rocblas_fill_18rocblas_operation_17rocblas_diagonal_iiT3_T4_lilT5_lili
		.amdhsa_group_segment_fixed_size 1152
		.amdhsa_private_segment_fixed_size 0
		.amdhsa_kernarg_size 360
		.amdhsa_user_sgpr_count 2
		.amdhsa_user_sgpr_dispatch_ptr 0
		.amdhsa_user_sgpr_queue_ptr 0
		.amdhsa_user_sgpr_kernarg_segment_ptr 1
		.amdhsa_user_sgpr_dispatch_id 0
		.amdhsa_user_sgpr_private_segment_size 0
		.amdhsa_wavefront_size32 1
		.amdhsa_uses_dynamic_stack 0
		.amdhsa_enable_private_segment 0
		.amdhsa_system_sgpr_workgroup_id_x 1
		.amdhsa_system_sgpr_workgroup_id_y 0
		.amdhsa_system_sgpr_workgroup_id_z 1
		.amdhsa_system_sgpr_workgroup_info 0
		.amdhsa_system_vgpr_workitem_id 0
		.amdhsa_next_free_vgpr 84
		.amdhsa_next_free_sgpr 44
		.amdhsa_reserve_vcc 1
		.amdhsa_float_round_mode_32 0
		.amdhsa_float_round_mode_16_64 0
		.amdhsa_float_denorm_mode_32 3
		.amdhsa_float_denorm_mode_16_64 3
		.amdhsa_fp16_overflow 0
		.amdhsa_workgroup_processor_mode 1
		.amdhsa_memory_ordered 1
		.amdhsa_forward_progress 1
		.amdhsa_inst_pref_size 23
		.amdhsa_round_robin_scheduling 0
		.amdhsa_exception_fp_ieee_invalid_op 0
		.amdhsa_exception_fp_denorm_src 0
		.amdhsa_exception_fp_ieee_div_zero 0
		.amdhsa_exception_fp_ieee_overflow 0
		.amdhsa_exception_fp_ieee_underflow 0
		.amdhsa_exception_fp_ieee_inexact 0
		.amdhsa_exception_int_div_zero 0
	.end_amdhsa_kernel
	.section	.text._ZL30rocblas_trsm_small_left_deviceILi12ELi12ELb1EddPKPKdPKPdEv13rocblas_fill_18rocblas_operation_17rocblas_diagonal_iiT3_T4_lilT5_lili,"axG",@progbits,_ZL30rocblas_trsm_small_left_deviceILi12ELi12ELb1EddPKPKdPKPdEv13rocblas_fill_18rocblas_operation_17rocblas_diagonal_iiT3_T4_lilT5_lili,comdat
.Lfunc_end80:
	.size	_ZL30rocblas_trsm_small_left_deviceILi12ELi12ELb1EddPKPKdPKPdEv13rocblas_fill_18rocblas_operation_17rocblas_diagonal_iiT3_T4_lilT5_lili, .Lfunc_end80-_ZL30rocblas_trsm_small_left_deviceILi12ELi12ELb1EddPKPKdPKPdEv13rocblas_fill_18rocblas_operation_17rocblas_diagonal_iiT3_T4_lilT5_lili
                                        ; -- End function
	.set _ZL30rocblas_trsm_small_left_deviceILi12ELi12ELb1EddPKPKdPKPdEv13rocblas_fill_18rocblas_operation_17rocblas_diagonal_iiT3_T4_lilT5_lili.num_vgpr, 84
	.set _ZL30rocblas_trsm_small_left_deviceILi12ELi12ELb1EddPKPKdPKPdEv13rocblas_fill_18rocblas_operation_17rocblas_diagonal_iiT3_T4_lilT5_lili.num_agpr, 0
	.set _ZL30rocblas_trsm_small_left_deviceILi12ELi12ELb1EddPKPKdPKPdEv13rocblas_fill_18rocblas_operation_17rocblas_diagonal_iiT3_T4_lilT5_lili.numbered_sgpr, 44
	.set _ZL30rocblas_trsm_small_left_deviceILi12ELi12ELb1EddPKPKdPKPdEv13rocblas_fill_18rocblas_operation_17rocblas_diagonal_iiT3_T4_lilT5_lili.num_named_barrier, 0
	.set _ZL30rocblas_trsm_small_left_deviceILi12ELi12ELb1EddPKPKdPKPdEv13rocblas_fill_18rocblas_operation_17rocblas_diagonal_iiT3_T4_lilT5_lili.private_seg_size, 0
	.set _ZL30rocblas_trsm_small_left_deviceILi12ELi12ELb1EddPKPKdPKPdEv13rocblas_fill_18rocblas_operation_17rocblas_diagonal_iiT3_T4_lilT5_lili.uses_vcc, 1
	.set _ZL30rocblas_trsm_small_left_deviceILi12ELi12ELb1EddPKPKdPKPdEv13rocblas_fill_18rocblas_operation_17rocblas_diagonal_iiT3_T4_lilT5_lili.uses_flat_scratch, 0
	.set _ZL30rocblas_trsm_small_left_deviceILi12ELi12ELb1EddPKPKdPKPdEv13rocblas_fill_18rocblas_operation_17rocblas_diagonal_iiT3_T4_lilT5_lili.has_dyn_sized_stack, 0
	.set _ZL30rocblas_trsm_small_left_deviceILi12ELi12ELb1EddPKPKdPKPdEv13rocblas_fill_18rocblas_operation_17rocblas_diagonal_iiT3_T4_lilT5_lili.has_recursion, 0
	.set _ZL30rocblas_trsm_small_left_deviceILi12ELi12ELb1EddPKPKdPKPdEv13rocblas_fill_18rocblas_operation_17rocblas_diagonal_iiT3_T4_lilT5_lili.has_indirect_call, 0
	.section	.AMDGPU.csdata,"",@progbits
; Kernel info:
; codeLenInByte = 2904
; TotalNumSgprs: 46
; NumVgprs: 84
; ScratchSize: 0
; MemoryBound: 0
; FloatMode: 240
; IeeeMode: 1
; LDSByteSize: 1152 bytes/workgroup (compile time only)
; SGPRBlocks: 0
; VGPRBlocks: 10
; NumSGPRsForWavesPerEU: 46
; NumVGPRsForWavesPerEU: 84
; Occupancy: 16
; WaveLimiterHint : 1
; COMPUTE_PGM_RSRC2:SCRATCH_EN: 0
; COMPUTE_PGM_RSRC2:USER_SGPR: 2
; COMPUTE_PGM_RSRC2:TRAP_HANDLER: 0
; COMPUTE_PGM_RSRC2:TGID_X_EN: 1
; COMPUTE_PGM_RSRC2:TGID_Y_EN: 0
; COMPUTE_PGM_RSRC2:TGID_Z_EN: 1
; COMPUTE_PGM_RSRC2:TIDIG_COMP_CNT: 0
	.section	.text._ZL31rocblas_trsm_small_right_deviceIddPKPKdPKPdLi12EEv13rocblas_fill_18rocblas_operation_17rocblas_diagonal_iiT0_T1_lilT2_lili,"axG",@progbits,_ZL31rocblas_trsm_small_right_deviceIddPKPKdPKPdLi12EEv13rocblas_fill_18rocblas_operation_17rocblas_diagonal_iiT0_T1_lilT2_lili,comdat
	.globl	_ZL31rocblas_trsm_small_right_deviceIddPKPKdPKPdLi12EEv13rocblas_fill_18rocblas_operation_17rocblas_diagonal_iiT0_T1_lilT2_lili ; -- Begin function _ZL31rocblas_trsm_small_right_deviceIddPKPKdPKPdLi12EEv13rocblas_fill_18rocblas_operation_17rocblas_diagonal_iiT0_T1_lilT2_lili
	.p2align	8
	.type	_ZL31rocblas_trsm_small_right_deviceIddPKPKdPKPdLi12EEv13rocblas_fill_18rocblas_operation_17rocblas_diagonal_iiT0_T1_lilT2_lili,@function
_ZL31rocblas_trsm_small_right_deviceIddPKPKdPKPdLi12EEv13rocblas_fill_18rocblas_operation_17rocblas_diagonal_iiT0_T1_lilT2_lili: ; @_ZL31rocblas_trsm_small_right_deviceIddPKPKdPKPdLi12EEv13rocblas_fill_18rocblas_operation_17rocblas_diagonal_iiT0_T1_lilT2_lili
; %bb.0:
	s_load_b32 s22, s[0:1], 0x60
	s_lshr_b32 s2, ttmp7, 16
	s_wait_kmcnt 0x0
	s_cmp_ge_u32 s2, s22
	s_cbranch_scc1 .LBB81_82
; %bb.1:
	s_clause 0x6
	s_load_b96 s[16:18], s[0:1], 0x28
	s_load_b32 s30, s[0:1], 0x50
	s_load_b128 s[12:15], s[0:1], 0x0
	s_load_b32 s23, s[0:1], 0x10
	s_load_b32 s3, s[0:1], 0x68
	s_load_b128 s[4:7], s[0:1], 0x18
	s_load_b128 s[8:11], s[0:1], 0x40
	s_mul_i32 s0, ttmp9, -12
	v_dual_mov_b32 v8, 0 :: v_dual_lshlrev_b32 v13, 3, v0
	v_mul_u32_u24_e32 v1, 0x60, v0
	v_lshlrev_b32_e32 v17, 3, v0
	v_mov_b32_e32 v9, 0x3ff00000
	s_delay_alu instid0(VALU_DEP_4)
	v_or_b32_e32 v10, 0x480, v13
	s_mov_b32 s20, ttmp9
	v_add_nc_u32_e32 v16, v13, v1
	s_wait_kmcnt 0x0
	s_ashr_i32 s19, s18, 31
	s_ashr_i32 s31, s30, 31
	s_cmp_lg_u32 s12, 0x7a
	s_cselect_b32 s26, -1, 0
	s_min_i32 s1, s23, 12
	s_add_co_i32 s3, s3, -1
	s_add_co_i32 s0, s15, s0
	s_add_co_i32 s24, s1, -1
	s_cmp_ge_u32 ttmp9, s3
	s_mul_i32 s33, s1, 0x60
	s_cselect_b32 s15, s0, 12
	s_ashr_i32 s21, ttmp9, 31
	s_cmp_eq_u32 s14, 0x84
	v_cmp_gt_i32_e32 vcc_lo, s15, v0
	s_cselect_b32 s25, -1, 0
	s_cmp_gt_i32 s23, 0
	v_cmp_gt_i32_e64 s0, s1, v0
	s_cselect_b32 s14, -1, 0
	s_cmp_lg_u32 s13, 0x6f
	v_add3_u32 v15, s33, v13, 0x420
	s_cselect_b32 s13, -1, 0
	s_cmp_lg_u32 s12, 0x79
	s_mul_i32 s34, s1, 0x68
	s_cselect_b32 s12, -1, 0
	s_or_b32 s26, s26, s13
	s_or_b32 s27, s12, s13
	s_cmp_gt_i32 s23, 3
	v_cndmask_b32_e64 v14, 0, 1, s12
	s_cselect_b32 s28, -1, 0
	s_lshl_b32 s36, s1, 3
	s_mov_b32 s3, 0
	s_mul_u64 s[12:13], s[20:21], 0x60
	s_wait_alu 0xfffe
	s_and_b32 s29, vcc_lo, s14
	s_lshl_b64 s[14:15], s[18:19], 3
	s_lshl_b64 s[18:19], s[30:31], 3
	s_add_co_i32 s30, s34, 0xffffff80
	s_add_co_i32 s31, s33, 0xffffffa0
	s_addk_co_i32 s33, 0xff98
	s_addk_co_i32 s34, 0xfe78
	s_add_co_i32 s35, s36, -8
	s_addk_co_i32 s36, 0xff98
	s_lshl_b64 s[16:17], s[16:17], 3
	s_lshl_b64 s[10:11], s[10:11], 3
	s_branch .LBB81_3
.LBB81_2:                               ;   in Loop: Header=BB81_3 Depth=1
	s_wait_alu 0xfffe
	s_or_b32 exec_lo, exec_lo, s20
	s_add_co_i32 s2, s2, 0x10000
	s_delay_alu instid0(SALU_CYCLE_1)
	s_cmp_lt_u32 s2, s22
	s_cbranch_scc0 .LBB81_82
.LBB81_3:                               ; =>This Loop Header: Depth=1
                                        ;     Child Loop BB81_5 Depth 2
                                        ;     Child Loop BB81_10 Depth 2
	;; [unrolled: 1-line block ×3, first 2 shown]
                                        ;       Child Loop BB81_17 Depth 3
                                        ;     Child Loop BB81_23 Depth 2
                                        ;       Child Loop BB81_24 Depth 3
                                        ;     Child Loop BB81_28 Depth 2
	;; [unrolled: 2-line block ×3, first 2 shown]
                                        ;     Child Loop BB81_42 Depth 2
                                        ;       Child Loop BB81_43 Depth 3
                                        ;       Child Loop BB81_45 Depth 3
                                        ;     Child Loop BB81_49 Depth 2
                                        ;       Child Loop BB81_50 Depth 3
                                        ;     Child Loop BB81_57 Depth 2
                                        ;     Child Loop BB81_62 Depth 2
                                        ;       Child Loop BB81_63 Depth 3
                                        ;       Child Loop BB81_65 Depth 3
                                        ;     Child Loop BB81_70 Depth 2
                                        ;       Child Loop BB81_71 Depth 3
                                        ;     Child Loop BB81_77 Depth 2
	;; [unrolled: 2-line block ×3, first 2 shown]
	s_lshl_b64 s[20:21], s[2:3], 3
	s_wait_alu 0xfffe
	s_add_nc_u64 s[38:39], s[8:9], s[20:21]
	global_load_b64 v[0:1], v8, s[38:39]
	s_and_saveexec_b32 s37, s0
	s_cbranch_execz .LBB81_8
; %bb.4:                                ;   in Loop: Header=BB81_3 Depth=1
	s_add_nc_u64 s[20:21], s[6:7], s[20:21]
	v_mov_b32_e32 v4, v13
	global_load_b64 v[2:3], v8, s[20:21]
	s_mov_b32 s20, s1
	s_wait_loadcnt 0x0
	v_add_co_u32 v2, vcc_lo, v2, s16
	s_wait_alu 0xfffd
	v_add_co_ci_u32_e64 v3, null, s17, v3, vcc_lo
	s_delay_alu instid0(VALU_DEP_2) | instskip(SKIP_1) | instid1(VALU_DEP_2)
	v_add_co_u32 v2, vcc_lo, v2, v17
	s_wait_alu 0xfffd
	v_add_co_ci_u32_e64 v3, null, 0, v3, vcc_lo
.LBB81_5:                               ;   Parent Loop BB81_3 Depth=1
                                        ; =>  This Inner Loop Header: Depth=2
	flat_load_b64 v[5:6], v[2:3]
	s_wait_alu 0xfffe
	v_add_co_u32 v2, vcc_lo, v2, s14
	s_wait_alu 0xfffd
	v_add_co_ci_u32_e64 v3, null, s15, v3, vcc_lo
	s_add_co_i32 s20, s20, -1
	s_wait_alu 0xfffe
	s_cmp_eq_u32 s20, 0
	s_wait_loadcnt_dscnt 0x0
	ds_store_b64 v4, v[5:6]
	v_add_nc_u32_e32 v4, 0x60, v4
	s_cbranch_scc0 .LBB81_5
; %bb.6:                                ;   in Loop: Header=BB81_3 Depth=1
	s_and_b32 vcc_lo, exec_lo, s25
	s_wait_alu 0xfffe
	s_cbranch_vccz .LBB81_8
; %bb.7:                                ;   in Loop: Header=BB81_3 Depth=1
	ds_store_b64 v16, v[8:9]
.LBB81_8:                               ;   in Loop: Header=BB81_3 Depth=1
	s_wait_alu 0xfffe
	s_or_b32 exec_lo, exec_lo, s37
	s_wait_loadcnt 0x0
	v_add_co_u32 v0, vcc_lo, v0, s10
	s_wait_alu 0xfffd
	v_add_co_ci_u32_e64 v1, null, s11, v1, vcc_lo
	s_delay_alu instid0(VALU_DEP_2) | instskip(SKIP_1) | instid1(VALU_DEP_2)
	v_add_co_u32 v18, vcc_lo, v0, s12
	s_wait_alu 0xfffd
	v_add_co_ci_u32_e64 v19, null, s13, v1, vcc_lo
	s_and_saveexec_b32 s20, s29
	s_cbranch_execz .LBB81_11
; %bb.9:                                ;   in Loop: Header=BB81_3 Depth=1
	v_add_co_u32 v0, vcc_lo, v18, v17
	s_wait_alu 0xfffd
	v_add_co_ci_u32_e64 v1, null, 0, v19, vcc_lo
	v_mov_b32_e32 v2, v10
	s_mov_b32 s21, s23
.LBB81_10:                              ;   Parent Loop BB81_3 Depth=1
                                        ; =>  This Inner Loop Header: Depth=2
	flat_load_b64 v[3:4], v[0:1]
	v_add_co_u32 v0, vcc_lo, v0, s18
	s_wait_alu 0xfffd
	v_add_co_ci_u32_e64 v1, null, s19, v1, vcc_lo
	s_wait_alu 0xfffe
	s_add_co_i32 s21, s21, -1
	s_wait_alu 0xfffe
	s_cmp_lg_u32 s21, 0
	s_wait_loadcnt_dscnt 0x0
	v_mul_f64_e32 v[3:4], s[4:5], v[3:4]
	ds_store_b64 v2, v[3:4]
	v_add_nc_u32_e32 v2, 0x60, v2
	s_cbranch_scc1 .LBB81_10
.LBB81_11:                              ;   in Loop: Header=BB81_3 Depth=1
	s_wait_alu 0xfffe
	s_or_b32 exec_lo, exec_lo, s20
	s_delay_alu instid0(SALU_CYCLE_1)
	s_and_b32 vcc_lo, exec_lo, s27
	s_mov_b32 s20, -1
	s_wait_dscnt 0x0
	; wave barrier
	global_inv scope:SCOPE_SE
	s_wait_alu 0xfffe
	s_cbranch_vccz .LBB81_67
; %bb.12:                               ;   in Loop: Header=BB81_3 Depth=1
	s_and_b32 vcc_lo, exec_lo, s26
	s_wait_alu 0xfffe
	s_cbranch_vccz .LBB81_47
; %bb.13:                               ;   in Loop: Header=BB81_3 Depth=1
	v_cmp_ne_u32_e32 vcc_lo, 1, v14
	s_cbranch_vccnz .LBB81_26
; %bb.14:                               ;   in Loop: Header=BB81_3 Depth=1
	s_and_not1_b32 vcc_lo, exec_lo, s28
	s_mov_b32 s37, 0
	s_wait_alu 0xfffe
	s_cbranch_vccnz .LBB81_20
; %bb.15:                               ;   in Loop: Header=BB81_3 Depth=1
	s_mov_b32 s20, 0
	s_mov_b32 s21, 0
.LBB81_16:                              ;   Parent Loop BB81_3 Depth=1
                                        ; =>  This Loop Header: Depth=2
                                        ;       Child Loop BB81_17 Depth 3
	s_wait_alu 0xfffe
	v_mad_co_u64_u32 v[4:5], null, 0x60, s21, v[10:11]
	s_or_b32 s37, s21, 3
	s_cmp_eq_u32 s21, 0
	s_wait_alu 0xfffe
	s_mulk_i32 s37, 0x60
	s_wait_alu 0xfffe
	v_dual_mov_b32 v20, v10 :: v_dual_add_nc_u32 v7, s37, v10
	s_mov_b32 s37, s20
	ds_load_2addr_b64 v[0:3], v4 offset1:12
	ds_load_b64 v[11:12], v4 offset:192
	ds_load_b64 v[5:6], v7
	s_mov_b32 s38, s21
	s_cbranch_scc1 .LBB81_18
.LBB81_17:                              ;   Parent Loop BB81_3 Depth=1
                                        ;     Parent Loop BB81_16 Depth=2
                                        ; =>    This Inner Loop Header: Depth=3
	s_wait_alu 0xfffe
	v_mov_b32_e32 v25, s37
	s_add_co_i32 s38, s38, -1
	s_addk_co_i32 s37, 0x60
	s_wait_alu 0xfffe
	s_cmp_eq_u32 s38, 0
	ds_load_b64 v[29:30], v20
	ds_load_b128 v[21:24], v25
	ds_load_b128 v[25:28], v25 offset:16
	v_add_nc_u32_e32 v20, 0x60, v20
	s_wait_dscnt 0x1
	v_fma_f64 v[0:1], -v[29:30], v[21:22], v[0:1]
	v_fma_f64 v[2:3], -v[29:30], v[23:24], v[2:3]
	s_wait_dscnt 0x0
	v_fma_f64 v[11:12], -v[29:30], v[25:26], v[11:12]
	v_fma_f64 v[5:6], -v[29:30], v[27:28], v[5:6]
	s_cbranch_scc0 .LBB81_17
.LBB81_18:                              ;   in Loop: Header=BB81_16 Depth=2
	s_lshl_b32 s37, s21, 3
	s_mul_i32 s38, s21, 0x60
	s_wait_alu 0xfffe
	s_or_b32 s39, s37, 8
	s_add_co_i32 s38, s37, s38
	s_add_co_i32 s20, s20, 32
	s_wait_alu 0xfffe
	v_mov_b32_e32 v40, s38
	s_addk_co_i32 s38, 0x68
	ds_load_b128 v[20:23], v40
	ds_load_b128 v[24:27], v40 offset:16
	s_wait_alu 0xfffe
	s_sub_co_i32 s38, s38, s39
	s_wait_alu 0xfffe
	s_add_co_i32 s37, s38, s37
	s_wait_dscnt 0x1
	v_div_scale_f64 v[28:29], null, v[20:21], v[20:21], v[0:1]
	v_div_scale_f64 v[34:35], vcc_lo, v[0:1], v[20:21], v[0:1]
	s_delay_alu instid0(VALU_DEP_2) | instskip(NEXT) | instid1(TRANS32_DEP_1)
	v_rcp_f64_e32 v[30:31], v[28:29]
	v_fma_f64 v[32:33], -v[28:29], v[30:31], 1.0
	s_delay_alu instid0(VALU_DEP_1) | instskip(NEXT) | instid1(VALU_DEP_1)
	v_fma_f64 v[30:31], v[30:31], v[32:33], v[30:31]
	v_fma_f64 v[32:33], -v[28:29], v[30:31], 1.0
	s_delay_alu instid0(VALU_DEP_1) | instskip(NEXT) | instid1(VALU_DEP_1)
	v_fma_f64 v[30:31], v[30:31], v[32:33], v[30:31]
	v_mul_f64_e32 v[32:33], v[34:35], v[30:31]
	s_delay_alu instid0(VALU_DEP_1) | instskip(SKIP_1) | instid1(VALU_DEP_1)
	v_fma_f64 v[28:29], -v[28:29], v[32:33], v[34:35]
	s_wait_alu 0xfffd
	v_div_fmas_f64 v[28:29], v[28:29], v[30:31], v[32:33]
	s_delay_alu instid0(VALU_DEP_1) | instskip(NEXT) | instid1(VALU_DEP_1)
	v_div_fixup_f64 v[28:29], v[28:29], v[20:21], v[0:1]
	v_fma_f64 v[30:31], -v[28:29], v[22:23], v[2:3]
	ds_load_2addr_b64 v[0:3], v40 offset0:13 offset1:14
	ds_load_b128 v[20:23], v40 offset:208
	s_wait_dscnt 0x2
	v_fma_f64 v[11:12], -v[28:29], v[24:25], v[11:12]
	v_fma_f64 v[5:6], -v[28:29], v[26:27], v[5:6]
	s_wait_dscnt 0x1
	v_div_scale_f64 v[32:33], null, v[0:1], v[0:1], v[30:31]
	v_div_scale_f64 v[38:39], vcc_lo, v[30:31], v[0:1], v[30:31]
	s_delay_alu instid0(VALU_DEP_2) | instskip(NEXT) | instid1(TRANS32_DEP_1)
	v_rcp_f64_e32 v[34:35], v[32:33]
	v_fma_f64 v[36:37], -v[32:33], v[34:35], 1.0
	s_delay_alu instid0(VALU_DEP_1) | instskip(NEXT) | instid1(VALU_DEP_1)
	v_fma_f64 v[34:35], v[34:35], v[36:37], v[34:35]
	v_fma_f64 v[36:37], -v[32:33], v[34:35], 1.0
	s_delay_alu instid0(VALU_DEP_1) | instskip(NEXT) | instid1(VALU_DEP_1)
	v_fma_f64 v[34:35], v[34:35], v[36:37], v[34:35]
	v_mul_f64_e32 v[36:37], v[38:39], v[34:35]
	s_delay_alu instid0(VALU_DEP_1) | instskip(SKIP_1) | instid1(VALU_DEP_1)
	v_fma_f64 v[32:33], -v[32:33], v[36:37], v[38:39]
	s_wait_alu 0xfffd
	v_div_fmas_f64 v[32:33], v[32:33], v[34:35], v[36:37]
	s_delay_alu instid0(VALU_DEP_1) | instskip(NEXT) | instid1(VALU_DEP_1)
	v_div_fixup_f64 v[0:1], v[32:33], v[0:1], v[30:31]
	v_fma_f64 v[2:3], -v[0:1], v[2:3], v[11:12]
	s_wait_dscnt 0x0
	s_delay_alu instid0(VALU_DEP_1) | instskip(SKIP_1) | instid1(VALU_DEP_2)
	v_div_scale_f64 v[11:12], null, v[20:21], v[20:21], v[2:3]
	v_div_scale_f64 v[32:33], vcc_lo, v[2:3], v[20:21], v[2:3]
	v_rcp_f64_e32 v[24:25], v[11:12]
	s_delay_alu instid0(TRANS32_DEP_1) | instskip(NEXT) | instid1(VALU_DEP_1)
	v_fma_f64 v[30:31], -v[11:12], v[24:25], 1.0
	v_fma_f64 v[24:25], v[24:25], v[30:31], v[24:25]
	s_delay_alu instid0(VALU_DEP_1) | instskip(NEXT) | instid1(VALU_DEP_1)
	v_fma_f64 v[30:31], -v[11:12], v[24:25], 1.0
	v_fma_f64 v[24:25], v[24:25], v[30:31], v[24:25]
	s_delay_alu instid0(VALU_DEP_1) | instskip(NEXT) | instid1(VALU_DEP_1)
	v_mul_f64_e32 v[30:31], v[32:33], v[24:25]
	v_fma_f64 v[11:12], -v[11:12], v[30:31], v[32:33]
	s_wait_alu 0xfffd
	s_delay_alu instid0(VALU_DEP_1)
	v_div_fmas_f64 v[11:12], v[11:12], v[24:25], v[30:31]
	s_wait_alu 0xfffe
	v_mov_b32_e32 v24, s37
	s_add_co_i32 s37, s21, 4
	s_add_co_i32 s21, s21, 7
	ds_load_b64 v[24:25], v24 offset:24
	ds_load_b64 v[26:27], v40 offset:312
	s_wait_alu 0xfffe
	s_cmp_ge_i32 s21, s1
	ds_store_2addr_b64 v4, v[28:29], v[0:1] offset1:12
	s_wait_dscnt 0x2
	v_fma_f64 v[5:6], -v[0:1], v[24:25], v[5:6]
	v_div_fixup_f64 v[2:3], v[11:12], v[20:21], v[2:3]
	s_delay_alu instid0(VALU_DEP_1) | instskip(SKIP_1) | instid1(VALU_DEP_1)
	v_fma_f64 v[5:6], -v[2:3], v[22:23], v[5:6]
	s_wait_dscnt 0x1
	v_div_scale_f64 v[11:12], null, v[26:27], v[26:27], v[5:6]
	s_delay_alu instid0(VALU_DEP_1) | instskip(NEXT) | instid1(TRANS32_DEP_1)
	v_rcp_f64_e32 v[20:21], v[11:12]
	v_fma_f64 v[22:23], -v[11:12], v[20:21], 1.0
	s_delay_alu instid0(VALU_DEP_1) | instskip(NEXT) | instid1(VALU_DEP_1)
	v_fma_f64 v[20:21], v[20:21], v[22:23], v[20:21]
	v_fma_f64 v[22:23], -v[11:12], v[20:21], 1.0
	s_delay_alu instid0(VALU_DEP_1) | instskip(SKIP_1) | instid1(VALU_DEP_1)
	v_fma_f64 v[20:21], v[20:21], v[22:23], v[20:21]
	v_div_scale_f64 v[22:23], vcc_lo, v[5:6], v[26:27], v[5:6]
	v_mul_f64_e32 v[24:25], v[22:23], v[20:21]
	s_delay_alu instid0(VALU_DEP_1) | instskip(SKIP_1) | instid1(VALU_DEP_1)
	v_fma_f64 v[11:12], -v[11:12], v[24:25], v[22:23]
	s_wait_alu 0xfffd
	v_div_fmas_f64 v[11:12], v[11:12], v[20:21], v[24:25]
	s_delay_alu instid0(VALU_DEP_1)
	v_div_fixup_f64 v[5:6], v[11:12], v[26:27], v[5:6]
	ds_store_b64 v4, v[2:3] offset:192
	ds_store_b64 v7, v[5:6]
	s_cbranch_scc1 .LBB81_20
; %bb.19:                               ;   in Loop: Header=BB81_16 Depth=2
	s_mov_b32 s21, s37
	s_branch .LBB81_16
.LBB81_20:                              ;   in Loop: Header=BB81_3 Depth=1
	s_cmp_ge_i32 s37, s1
	s_cbranch_scc1 .LBB81_25
; %bb.21:                               ;   in Loop: Header=BB81_3 Depth=1
	s_lshl_b32 s20, s37, 3
	s_branch .LBB81_23
.LBB81_22:                              ;   in Loop: Header=BB81_23 Depth=2
	s_lshl_b32 s38, s37, 3
	s_add_co_i32 s37, s37, 1
	s_wait_alu 0xfffe
	s_add_co_i32 s21, s38, s21
	s_add_co_i32 s20, s20, 8
	s_wait_alu 0xfffe
	v_mov_b32_e32 v3, s21
	s_cmp_ge_i32 s37, s1
	ds_load_b64 v[3:4], v3
	s_wait_dscnt 0x0
	v_div_scale_f64 v[5:6], null, v[3:4], v[3:4], v[0:1]
	s_delay_alu instid0(VALU_DEP_1) | instskip(NEXT) | instid1(TRANS32_DEP_1)
	v_rcp_f64_e32 v[11:12], v[5:6]
	v_fma_f64 v[20:21], -v[5:6], v[11:12], 1.0
	s_delay_alu instid0(VALU_DEP_1) | instskip(NEXT) | instid1(VALU_DEP_1)
	v_fma_f64 v[11:12], v[11:12], v[20:21], v[11:12]
	v_fma_f64 v[20:21], -v[5:6], v[11:12], 1.0
	s_delay_alu instid0(VALU_DEP_1) | instskip(SKIP_1) | instid1(VALU_DEP_1)
	v_fma_f64 v[11:12], v[11:12], v[20:21], v[11:12]
	v_div_scale_f64 v[20:21], vcc_lo, v[0:1], v[3:4], v[0:1]
	v_mul_f64_e32 v[22:23], v[20:21], v[11:12]
	s_delay_alu instid0(VALU_DEP_1) | instskip(SKIP_1) | instid1(VALU_DEP_1)
	v_fma_f64 v[5:6], -v[5:6], v[22:23], v[20:21]
	s_wait_alu 0xfffd
	v_div_fmas_f64 v[5:6], v[5:6], v[11:12], v[22:23]
	s_delay_alu instid0(VALU_DEP_1)
	v_div_fixup_f64 v[0:1], v[5:6], v[3:4], v[0:1]
	ds_store_b64 v2, v[0:1]
	s_cbranch_scc1 .LBB81_25
.LBB81_23:                              ;   Parent Loop BB81_3 Depth=1
                                        ; =>  This Loop Header: Depth=2
                                        ;       Child Loop BB81_24 Depth 3
	s_mul_i32 s21, s37, 0x60
	s_cmp_eq_u32 s37, 0
	s_wait_alu 0xfffe
	v_dual_mov_b32 v3, v10 :: v_dual_add_nc_u32 v2, s21, v10
	s_mov_b32 s38, s20
	s_mov_b32 s39, s37
	ds_load_b64 v[0:1], v2
	s_cbranch_scc1 .LBB81_22
.LBB81_24:                              ;   Parent Loop BB81_3 Depth=1
                                        ;     Parent Loop BB81_23 Depth=2
                                        ; =>    This Inner Loop Header: Depth=3
	s_wait_alu 0xfffe
	v_mov_b32_e32 v6, s38
	s_add_co_i32 s39, s39, -1
	s_addk_co_i32 s38, 0x60
	s_wait_alu 0xfffe
	s_cmp_eq_u32 s39, 0
	ds_load_b64 v[4:5], v3
	ds_load_b64 v[6:7], v6
	v_add_nc_u32_e32 v3, 0x60, v3
	s_wait_dscnt 0x0
	v_fma_f64 v[0:1], -v[4:5], v[6:7], v[0:1]
	s_cbranch_scc0 .LBB81_24
	s_branch .LBB81_22
.LBB81_25:                              ;   in Loop: Header=BB81_3 Depth=1
	s_mov_b32 s20, 0
.LBB81_26:                              ;   in Loop: Header=BB81_3 Depth=1
	s_wait_alu 0xfffe
	s_and_b32 vcc_lo, exec_lo, s20
	s_wait_alu 0xfffe
	s_cbranch_vccz .LBB81_46
; %bb.27:                               ;   in Loop: Header=BB81_3 Depth=1
	s_mov_b32 s37, s24
	s_and_not1_b32 vcc_lo, exec_lo, s28
	s_mov_b32 s20, s30
	s_mov_b32 s21, s24
	s_wait_alu 0xfffe
	s_cbranch_vccnz .LBB81_33
.LBB81_28:                              ;   Parent Loop BB81_3 Depth=1
                                        ; =>  This Loop Header: Depth=2
                                        ;       Child Loop BB81_29 Depth 3
	s_wait_alu 0xfffe
	s_mul_i32 s38, s21, 0x60
	s_mov_b32 s39, s20
	s_wait_alu 0xfffe
	v_dual_mov_b32 v22, v15 :: v_dual_add_nc_u32 v11, s38, v10
	s_add_co_i32 s37, s38, 0xfffffee0
	s_cmp_le_i32 s24, s21
	s_wait_alu 0xfffe
	v_add_nc_u32_e32 v21, s37, v10
	v_add_nc_u32_e32 v12, 0xffffffa0, v11
	;; [unrolled: 1-line block ×3, first 2 shown]
	s_mov_b32 s40, s24
	ds_load_b64 v[6:7], v11
	ds_load_b64 v[4:5], v12
	;; [unrolled: 1-line block ×4, first 2 shown]
	s_cbranch_scc1 .LBB81_30
.LBB81_29:                              ;   Parent Loop BB81_3 Depth=1
                                        ;     Parent Loop BB81_28 Depth=2
                                        ; =>    This Inner Loop Header: Depth=3
	s_wait_alu 0xfffe
	v_mov_b32_e32 v27, s39
	s_add_co_i32 s40, s40, -1
	s_addk_co_i32 s39, 0xffa0
	s_wait_alu 0xfffe
	s_cmp_le_i32 s40, s21
	ds_load_b64 v[31:32], v22
	ds_load_2addr_b64 v[23:26], v27 offset0:2 offset1:3
	ds_load_2addr_b64 v[27:30], v27 offset1:1
	v_add_nc_u32_e32 v22, 0xffffffa0, v22
	s_wait_dscnt 0x1
	v_fma_f64 v[6:7], -v[31:32], v[25:26], v[6:7]
	v_fma_f64 v[4:5], -v[31:32], v[23:24], v[4:5]
	s_wait_dscnt 0x0
	v_fma_f64 v[2:3], -v[31:32], v[29:30], v[2:3]
	v_fma_f64 v[0:1], -v[31:32], v[27:28], v[0:1]
	s_cbranch_scc0 .LBB81_29
.LBB81_30:                              ;   in Loop: Header=BB81_28 Depth=2
	s_add_co_i32 s39, s21, -3
; %bb.31:                               ;   in Loop: Header=BB81_28 Depth=2
	s_lshl_b32 s40, s21, 3
	s_wait_alu 0xfffe
	s_lshl_b32 s39, s39, 3
	s_add_co_i32 s41, s40, s38
	s_wait_alu 0xfffe
	s_add_co_i32 s38, s38, s39
	s_add_co_i32 s42, s41, -8
	s_wait_alu 0xfffe
	s_add_co_i32 s39, s38, 0xffffffa0
	v_mov_b32_e32 v22, s42
	s_add_co_i32 s42, s41, 0xffffff98
	s_sub_co_i32 s41, s41, 24
	s_wait_alu 0xfffe
	v_mov_b32_e32 v26, s42
	s_addk_co_i32 s38, 0xff40
	ds_load_2addr_b64 v[22:25], v22 offset1:1
	s_add_co_i32 s40, s40, s37
	s_sub_co_i32 s20, s20, 32
	ds_load_b64 v[26:27], v26
	s_wait_alu 0xfffe
	s_sub_co_i32 s37, s40, 24
	s_wait_dscnt 0x1
	v_div_scale_f64 v[28:29], null, v[24:25], v[24:25], v[6:7]
	v_div_scale_f64 v[34:35], vcc_lo, v[6:7], v[24:25], v[6:7]
	s_delay_alu instid0(VALU_DEP_2) | instskip(NEXT) | instid1(TRANS32_DEP_1)
	v_rcp_f64_e32 v[30:31], v[28:29]
	v_fma_f64 v[32:33], -v[28:29], v[30:31], 1.0
	s_delay_alu instid0(VALU_DEP_1) | instskip(NEXT) | instid1(VALU_DEP_1)
	v_fma_f64 v[30:31], v[30:31], v[32:33], v[30:31]
	v_fma_f64 v[32:33], -v[28:29], v[30:31], 1.0
	s_delay_alu instid0(VALU_DEP_1) | instskip(NEXT) | instid1(VALU_DEP_1)
	v_fma_f64 v[30:31], v[30:31], v[32:33], v[30:31]
	v_mul_f64_e32 v[32:33], v[34:35], v[30:31]
	s_delay_alu instid0(VALU_DEP_1) | instskip(SKIP_1) | instid1(VALU_DEP_1)
	v_fma_f64 v[28:29], -v[28:29], v[32:33], v[34:35]
	s_wait_alu 0xfffd
	v_div_fmas_f64 v[28:29], v[28:29], v[30:31], v[32:33]
	s_delay_alu instid0(VALU_DEP_1) | instskip(NEXT) | instid1(VALU_DEP_1)
	v_div_fixup_f64 v[28:29], v[28:29], v[24:25], v[6:7]
	v_fma_f64 v[30:31], -v[28:29], v[22:23], v[4:5]
	s_wait_dscnt 0x0
	s_delay_alu instid0(VALU_DEP_1) | instskip(SKIP_1) | instid1(VALU_DEP_2)
	v_div_scale_f64 v[4:5], null, v[26:27], v[26:27], v[30:31]
	v_div_scale_f64 v[24:25], vcc_lo, v[30:31], v[26:27], v[30:31]
	v_rcp_f64_e32 v[6:7], v[4:5]
	s_delay_alu instid0(TRANS32_DEP_1) | instskip(NEXT) | instid1(VALU_DEP_1)
	v_fma_f64 v[22:23], -v[4:5], v[6:7], 1.0
	v_fma_f64 v[6:7], v[6:7], v[22:23], v[6:7]
	s_delay_alu instid0(VALU_DEP_1) | instskip(NEXT) | instid1(VALU_DEP_1)
	v_fma_f64 v[22:23], -v[4:5], v[6:7], 1.0
	v_fma_f64 v[6:7], v[6:7], v[22:23], v[6:7]
	s_delay_alu instid0(VALU_DEP_1) | instskip(NEXT) | instid1(VALU_DEP_1)
	v_mul_f64_e32 v[22:23], v[24:25], v[6:7]
	v_fma_f64 v[4:5], -v[4:5], v[22:23], v[24:25]
	s_wait_alu 0xfffd
	s_delay_alu instid0(VALU_DEP_1)
	v_div_fmas_f64 v[32:33], v[4:5], v[6:7], v[22:23]
	v_mov_b32_e32 v4, s41
	v_mov_b32_e32 v22, s39
	ds_load_2addr_b64 v[4:7], v4 offset1:1
	ds_load_2addr_b64 v[22:25], v22 offset1:1
	s_wait_dscnt 0x1
	v_fma_f64 v[2:3], -v[28:29], v[6:7], v[2:3]
	v_fma_f64 v[0:1], -v[28:29], v[4:5], v[0:1]
	v_div_fixup_f64 v[6:7], v[32:33], v[26:27], v[30:31]
	s_wait_alu 0xfffe
	v_mov_b32_e32 v30, s37
	s_add_co_i32 s37, s21, -4
	s_cmp_lt_i32 s21, 7
	ds_load_b64 v[30:31], v30
	s_wait_dscnt 0x1
	v_fma_f64 v[2:3], -v[6:7], v[24:25], v[2:3]
	v_mov_b32_e32 v24, s38
	v_fma_f64 v[0:1], -v[6:7], v[22:23], v[0:1]
	ds_load_2addr_b64 v[24:27], v24 offset1:1
	s_wait_dscnt 0x0
	v_div_scale_f64 v[32:33], null, v[26:27], v[26:27], v[2:3]
	v_div_scale_f64 v[38:39], vcc_lo, v[2:3], v[26:27], v[2:3]
	s_delay_alu instid0(VALU_DEP_2) | instskip(NEXT) | instid1(TRANS32_DEP_1)
	v_rcp_f64_e32 v[34:35], v[32:33]
	v_fma_f64 v[36:37], -v[32:33], v[34:35], 1.0
	s_delay_alu instid0(VALU_DEP_1) | instskip(NEXT) | instid1(VALU_DEP_1)
	v_fma_f64 v[34:35], v[34:35], v[36:37], v[34:35]
	v_fma_f64 v[36:37], -v[32:33], v[34:35], 1.0
	s_delay_alu instid0(VALU_DEP_1) | instskip(NEXT) | instid1(VALU_DEP_1)
	v_fma_f64 v[34:35], v[34:35], v[36:37], v[34:35]
	v_mul_f64_e32 v[36:37], v[38:39], v[34:35]
	s_delay_alu instid0(VALU_DEP_1) | instskip(SKIP_1) | instid1(VALU_DEP_1)
	v_fma_f64 v[32:33], -v[32:33], v[36:37], v[38:39]
	s_wait_alu 0xfffd
	v_div_fmas_f64 v[4:5], v[32:33], v[34:35], v[36:37]
	s_delay_alu instid0(VALU_DEP_1) | instskip(NEXT) | instid1(VALU_DEP_1)
	v_div_fixup_f64 v[2:3], v[4:5], v[26:27], v[2:3]
	v_fma_f64 v[0:1], -v[2:3], v[24:25], v[0:1]
	s_delay_alu instid0(VALU_DEP_1) | instskip(NEXT) | instid1(VALU_DEP_1)
	v_div_scale_f64 v[4:5], null, v[30:31], v[30:31], v[0:1]
	v_rcp_f64_e32 v[22:23], v[4:5]
	s_delay_alu instid0(TRANS32_DEP_1) | instskip(NEXT) | instid1(VALU_DEP_1)
	v_fma_f64 v[24:25], -v[4:5], v[22:23], 1.0
	v_fma_f64 v[22:23], v[22:23], v[24:25], v[22:23]
	s_delay_alu instid0(VALU_DEP_1) | instskip(NEXT) | instid1(VALU_DEP_1)
	v_fma_f64 v[24:25], -v[4:5], v[22:23], 1.0
	v_fma_f64 v[22:23], v[22:23], v[24:25], v[22:23]
	v_div_scale_f64 v[24:25], vcc_lo, v[0:1], v[30:31], v[0:1]
	s_delay_alu instid0(VALU_DEP_1) | instskip(NEXT) | instid1(VALU_DEP_1)
	v_mul_f64_e32 v[26:27], v[24:25], v[22:23]
	v_fma_f64 v[4:5], -v[4:5], v[26:27], v[24:25]
	s_wait_alu 0xfffd
	s_delay_alu instid0(VALU_DEP_1) | instskip(NEXT) | instid1(VALU_DEP_1)
	v_div_fmas_f64 v[4:5], v[4:5], v[22:23], v[26:27]
	v_div_fixup_f64 v[0:1], v[4:5], v[30:31], v[0:1]
	ds_store_b64 v11, v[28:29]
	ds_store_b64 v12, v[6:7]
	;; [unrolled: 1-line block ×4, first 2 shown]
	s_cbranch_scc1 .LBB81_33
; %bb.32:                               ;   in Loop: Header=BB81_28 Depth=2
	s_wait_alu 0xfffe
	s_mov_b32 s21, s37
	s_branch .LBB81_28
.LBB81_33:                              ;   in Loop: Header=BB81_3 Depth=1
	s_wait_alu 0xfffe
	s_cmp_lt_i32 s37, 0
	s_cbranch_scc1 .LBB81_46
; %bb.34:                               ;   in Loop: Header=BB81_3 Depth=1
	s_bitcmp1_b32 s37, 0
	s_cselect_b32 s20, -1, 0
	s_wait_alu 0xfffe
	s_and_b32 vcc_lo, exec_lo, s20
	s_mov_b32 s20, s37
	s_wait_alu 0xfffe
	s_cbranch_vccnz .LBB81_39
; %bb.35:                               ;   in Loop: Header=BB81_3 Depth=1
	s_mul_i32 s20, s37, 0x60
	s_cmp_le_i32 s24, s37
	s_wait_alu 0xfffe
	v_add_nc_u32_e32 v2, s20, v10
	ds_load_b64 v[0:1], v2
	s_cbranch_scc1 .LBB81_38
; %bb.36:                               ;   in Loop: Header=BB81_3 Depth=1
	v_mov_b32_e32 v3, v15
	s_lshl_b32 s21, s37, 3
	s_mov_b32 s38, s24
	s_wait_alu 0xfffe
	s_add_co_i32 s21, s31, s21
.LBB81_37:                              ;   Parent Loop BB81_3 Depth=1
                                        ; =>  This Inner Loop Header: Depth=2
	s_wait_alu 0xfffe
	v_mov_b32_e32 v6, s21
	s_add_co_i32 s38, s38, -1
	s_addk_co_i32 s21, 0xffa0
	s_wait_alu 0xfffe
	s_cmp_gt_i32 s38, s37
	ds_load_b64 v[4:5], v3
	ds_load_b64 v[6:7], v6
	v_add_nc_u32_e32 v3, 0xffffffa0, v3
	s_wait_dscnt 0x0
	v_fma_f64 v[0:1], -v[4:5], v[6:7], v[0:1]
	s_cbranch_scc1 .LBB81_37
.LBB81_38:                              ;   in Loop: Header=BB81_3 Depth=1
	s_lshl_b32 s21, s37, 3
	s_wait_alu 0xfffe
	s_add_co_i32 s20, s21, s20
	s_wait_alu 0xfffe
	v_mov_b32_e32 v3, s20
	s_add_co_i32 s20, s37, -1
	ds_load_b64 v[3:4], v3
	s_wait_dscnt 0x0
	v_div_scale_f64 v[5:6], null, v[3:4], v[3:4], v[0:1]
	s_delay_alu instid0(VALU_DEP_1) | instskip(NEXT) | instid1(TRANS32_DEP_1)
	v_rcp_f64_e32 v[11:12], v[5:6]
	v_fma_f64 v[20:21], -v[5:6], v[11:12], 1.0
	s_delay_alu instid0(VALU_DEP_1) | instskip(NEXT) | instid1(VALU_DEP_1)
	v_fma_f64 v[11:12], v[11:12], v[20:21], v[11:12]
	v_fma_f64 v[20:21], -v[5:6], v[11:12], 1.0
	s_delay_alu instid0(VALU_DEP_1) | instskip(SKIP_1) | instid1(VALU_DEP_1)
	v_fma_f64 v[11:12], v[11:12], v[20:21], v[11:12]
	v_div_scale_f64 v[20:21], vcc_lo, v[0:1], v[3:4], v[0:1]
	v_mul_f64_e32 v[22:23], v[20:21], v[11:12]
	s_delay_alu instid0(VALU_DEP_1) | instskip(SKIP_1) | instid1(VALU_DEP_1)
	v_fma_f64 v[5:6], -v[5:6], v[22:23], v[20:21]
	s_wait_alu 0xfffd
	v_div_fmas_f64 v[5:6], v[5:6], v[11:12], v[22:23]
	s_delay_alu instid0(VALU_DEP_1)
	v_div_fixup_f64 v[0:1], v[5:6], v[3:4], v[0:1]
	ds_store_b64 v2, v[0:1]
.LBB81_39:                              ;   in Loop: Header=BB81_3 Depth=1
	s_cmp_eq_u32 s37, 0
	s_cbranch_scc1 .LBB81_46
; %bb.40:                               ;   in Loop: Header=BB81_3 Depth=1
	s_wait_alu 0xfffe
	s_lshl_b32 s37, s20, 3
	s_wait_alu 0xfffe
	s_add_co_i32 s21, s31, s37
	s_add_co_i32 s37, s33, s37
	s_branch .LBB81_42
.LBB81_41:                              ;   in Loop: Header=BB81_42 Depth=2
	s_addk_co_i32 s38, 0xff98
	s_add_co_i32 s21, s21, -16
	s_wait_alu 0xfffe
	v_mov_b32_e32 v0, s38
	s_add_co_i32 s38, s20, -2
	s_add_co_i32 s37, s37, -16
	s_cmp_lt_i32 s20, 2
	s_wait_alu 0xfffe
	s_mov_b32 s20, s38
	ds_load_b64 v[0:1], v0
	s_wait_dscnt 0x0
	v_div_scale_f64 v[6:7], null, v[0:1], v[0:1], v[2:3]
	s_delay_alu instid0(VALU_DEP_1) | instskip(NEXT) | instid1(TRANS32_DEP_1)
	v_rcp_f64_e32 v[11:12], v[6:7]
	v_fma_f64 v[20:21], -v[6:7], v[11:12], 1.0
	s_delay_alu instid0(VALU_DEP_1) | instskip(NEXT) | instid1(VALU_DEP_1)
	v_fma_f64 v[11:12], v[11:12], v[20:21], v[11:12]
	v_fma_f64 v[20:21], -v[6:7], v[11:12], 1.0
	s_delay_alu instid0(VALU_DEP_1) | instskip(SKIP_1) | instid1(VALU_DEP_1)
	v_fma_f64 v[11:12], v[11:12], v[20:21], v[11:12]
	v_div_scale_f64 v[20:21], vcc_lo, v[2:3], v[0:1], v[2:3]
	v_mul_f64_e32 v[22:23], v[20:21], v[11:12]
	s_delay_alu instid0(VALU_DEP_1) | instskip(SKIP_1) | instid1(VALU_DEP_1)
	v_fma_f64 v[6:7], -v[6:7], v[22:23], v[20:21]
	s_wait_alu 0xfffd
	v_div_fmas_f64 v[6:7], v[6:7], v[11:12], v[22:23]
	s_delay_alu instid0(VALU_DEP_1)
	v_div_fixup_f64 v[0:1], v[6:7], v[0:1], v[2:3]
	ds_store_b64 v5, v[0:1]
	s_cbranch_scc1 .LBB81_46
.LBB81_42:                              ;   Parent Loop BB81_3 Depth=1
                                        ; =>  This Loop Header: Depth=2
                                        ;       Child Loop BB81_43 Depth 3
                                        ;       Child Loop BB81_45 Depth 3
	s_wait_alu 0xfffe
	s_mul_i32 s39, s20, 0x60
	v_mov_b32_e32 v2, v15
	s_wait_alu 0xfffe
	v_add_nc_u32_e32 v4, s39, v10
	s_cmp_le_i32 s24, s20
	s_mov_b32 s38, s21
	s_mov_b32 s40, s24
	ds_load_b64 v[0:1], v4
	s_cbranch_scc1 .LBB81_44
.LBB81_43:                              ;   Parent Loop BB81_3 Depth=1
                                        ;     Parent Loop BB81_42 Depth=2
                                        ; =>    This Inner Loop Header: Depth=3
	s_wait_alu 0xfffe
	v_mov_b32_e32 v3, s38
	s_add_co_i32 s40, s40, -1
	s_addk_co_i32 s38, 0xffa0
	s_wait_alu 0xfffe
	s_cmp_le_i32 s40, s20
	ds_load_b64 v[5:6], v2
	ds_load_b64 v[11:12], v3
	v_add_nc_u32_e32 v2, 0xffffffa0, v2
	s_wait_dscnt 0x0
	v_fma_f64 v[0:1], -v[5:6], v[11:12], v[0:1]
	s_cbranch_scc0 .LBB81_43
.LBB81_44:                              ;   in Loop: Header=BB81_42 Depth=2
	s_lshl_b32 s38, s20, 3
	s_mov_b32 s40, s1
	s_wait_alu 0xfffe
	s_add_co_i32 s38, s38, s39
	s_addk_co_i32 s39, 0xffa0
	s_wait_alu 0xfffe
	v_dual_mov_b32 v2, s38 :: v_dual_add_nc_u32 v5, s39, v10
	s_cmp_le_i32 s1, s20
	s_mov_b32 s39, s37
	ds_load_b64 v[6:7], v2
	ds_load_b64 v[2:3], v5
	s_wait_dscnt 0x1
	v_div_scale_f64 v[11:12], null, v[6:7], v[6:7], v[0:1]
	s_delay_alu instid0(VALU_DEP_1) | instskip(NEXT) | instid1(TRANS32_DEP_1)
	v_rcp_f64_e32 v[20:21], v[11:12]
	v_fma_f64 v[22:23], -v[11:12], v[20:21], 1.0
	s_delay_alu instid0(VALU_DEP_1) | instskip(NEXT) | instid1(VALU_DEP_1)
	v_fma_f64 v[20:21], v[20:21], v[22:23], v[20:21]
	v_fma_f64 v[22:23], -v[11:12], v[20:21], 1.0
	s_delay_alu instid0(VALU_DEP_1) | instskip(SKIP_1) | instid1(VALU_DEP_1)
	v_fma_f64 v[20:21], v[20:21], v[22:23], v[20:21]
	v_div_scale_f64 v[22:23], vcc_lo, v[0:1], v[6:7], v[0:1]
	v_mul_f64_e32 v[24:25], v[22:23], v[20:21]
	s_delay_alu instid0(VALU_DEP_1) | instskip(SKIP_1) | instid1(VALU_DEP_1)
	v_fma_f64 v[11:12], -v[11:12], v[24:25], v[22:23]
	s_wait_alu 0xfffd
	v_div_fmas_f64 v[11:12], v[11:12], v[20:21], v[24:25]
	s_delay_alu instid0(VALU_DEP_1)
	v_div_fixup_f64 v[6:7], v[11:12], v[6:7], v[0:1]
	v_mov_b32_e32 v0, v15
	ds_store_b64 v4, v[6:7]
	s_cbranch_scc1 .LBB81_41
.LBB81_45:                              ;   Parent Loop BB81_3 Depth=1
                                        ;     Parent Loop BB81_42 Depth=2
                                        ; =>    This Inner Loop Header: Depth=3
	s_wait_alu 0xfffe
	v_mov_b32_e32 v1, s39
	s_add_co_i32 s40, s40, -1
	s_addk_co_i32 s39, 0xffa0
	s_wait_alu 0xfffe
	s_cmp_gt_i32 s40, s20
	ds_load_b64 v[6:7], v0
	ds_load_b64 v[11:12], v1
	v_add_nc_u32_e32 v0, 0xffffffa0, v0
	s_wait_dscnt 0x0
	v_fma_f64 v[2:3], -v[6:7], v[11:12], v[2:3]
	s_cbranch_scc1 .LBB81_45
	s_branch .LBB81_41
.LBB81_46:                              ;   in Loop: Header=BB81_3 Depth=1
	s_mov_b32 s20, 0
.LBB81_47:                              ;   in Loop: Header=BB81_3 Depth=1
	s_wait_alu 0xfffe
	s_and_not1_b32 vcc_lo, exec_lo, s20
	s_wait_alu 0xfffe
	s_cbranch_vccnz .LBB81_66
; %bb.48:                               ;   in Loop: Header=BB81_3 Depth=1
	s_mov_b32 s37, s24
	s_and_not1_b32 vcc_lo, exec_lo, s28
	s_mov_b32 s20, s34
	s_mov_b32 s21, s24
	s_wait_alu 0xfffe
	s_cbranch_vccnz .LBB81_53
.LBB81_49:                              ;   Parent Loop BB81_3 Depth=1
                                        ; =>  This Loop Header: Depth=2
                                        ;       Child Loop BB81_50 Depth 3
	s_wait_alu 0xfffe
	s_mul_i32 s37, s21, 12
	s_cmp_le_i32 s24, s21
	s_wait_alu 0xfffe
	v_lshl_add_u32 v11, s37, 3, v10
	s_mov_b32 s38, s20
	s_mov_b32 s39, s24
	s_delay_alu instid0(VALU_DEP_1)
	v_dual_mov_b32 v22, v15 :: v_dual_add_nc_u32 v21, 0xfffffee0, v11
	v_add_nc_u32_e32 v12, 0xffffffa0, v11
	v_add_nc_u32_e32 v20, 0xffffff40, v11
	ds_load_b64 v[6:7], v11
	ds_load_b64 v[4:5], v12
	;; [unrolled: 1-line block ×4, first 2 shown]
	s_cbranch_scc1 .LBB81_51
.LBB81_50:                              ;   Parent Loop BB81_3 Depth=1
                                        ;     Parent Loop BB81_49 Depth=2
                                        ; =>    This Inner Loop Header: Depth=3
	s_wait_alu 0xfffe
	v_mov_b32_e32 v27, s38
	s_add_co_i32 s39, s39, -1
	s_add_co_i32 s38, s38, -8
	s_wait_alu 0xfffe
	s_cmp_le_i32 s39, s21
	ds_load_b64 v[31:32], v22
	ds_load_2addr_b64 v[23:26], v27 offset0:24 offset1:36
	ds_load_2addr_b64 v[27:30], v27 offset1:12
	v_add_nc_u32_e32 v22, 0xffffffa0, v22
	s_wait_dscnt 0x1
	v_fma_f64 v[6:7], -v[31:32], v[25:26], v[6:7]
	v_fma_f64 v[4:5], -v[31:32], v[23:24], v[4:5]
	s_wait_dscnt 0x0
	v_fma_f64 v[2:3], -v[31:32], v[29:30], v[2:3]
	v_fma_f64 v[0:1], -v[31:32], v[27:28], v[0:1]
	s_cbranch_scc0 .LBB81_50
.LBB81_51:                              ;   in Loop: Header=BB81_49 Depth=2
	s_mul_i32 s38, s21, 0x68
	s_lshl_b32 s37, s37, 3
	s_wait_alu 0xfffe
	v_mov_b32_e32 v22, s38
	s_lshl_b32 s38, s21, 3
	s_addk_co_i32 s20, 0xfe80
	s_wait_alu 0xfffe
	s_add_co_i32 s37, s37, s38
	s_wait_alu 0xfffe
	s_add_co_i32 s38, s37, 0xffffff98
	ds_load_b64 v[26:27], v22
	s_wait_alu 0xfffe
	v_mov_b32_e32 v22, s38
	s_add_co_i32 s38, s37, 0xffffff40
	ds_load_2addr_b64 v[22:25], v22 offset1:1
	s_wait_dscnt 0x1
	v_div_scale_f64 v[28:29], null, v[26:27], v[26:27], v[6:7]
	v_div_scale_f64 v[34:35], vcc_lo, v[6:7], v[26:27], v[6:7]
	s_delay_alu instid0(VALU_DEP_2) | instskip(NEXT) | instid1(TRANS32_DEP_1)
	v_rcp_f64_e32 v[30:31], v[28:29]
	v_fma_f64 v[32:33], -v[28:29], v[30:31], 1.0
	s_delay_alu instid0(VALU_DEP_1) | instskip(NEXT) | instid1(VALU_DEP_1)
	v_fma_f64 v[30:31], v[30:31], v[32:33], v[30:31]
	v_fma_f64 v[32:33], -v[28:29], v[30:31], 1.0
	s_delay_alu instid0(VALU_DEP_1) | instskip(NEXT) | instid1(VALU_DEP_1)
	v_fma_f64 v[30:31], v[30:31], v[32:33], v[30:31]
	v_mul_f64_e32 v[32:33], v[34:35], v[30:31]
	s_delay_alu instid0(VALU_DEP_1) | instskip(SKIP_1) | instid1(VALU_DEP_1)
	v_fma_f64 v[28:29], -v[28:29], v[32:33], v[34:35]
	s_wait_alu 0xfffd
	v_div_fmas_f64 v[28:29], v[28:29], v[30:31], v[32:33]
	s_delay_alu instid0(VALU_DEP_1) | instskip(SKIP_1) | instid1(VALU_DEP_1)
	v_div_fixup_f64 v[30:31], v[28:29], v[26:27], v[6:7]
	s_wait_dscnt 0x0
	v_fma_f64 v[24:25], -v[30:31], v[24:25], v[4:5]
	s_delay_alu instid0(VALU_DEP_1) | instskip(SKIP_1) | instid1(VALU_DEP_2)
	v_div_scale_f64 v[4:5], null, v[22:23], v[22:23], v[24:25]
	v_div_scale_f64 v[28:29], vcc_lo, v[24:25], v[22:23], v[24:25]
	v_rcp_f64_e32 v[6:7], v[4:5]
	s_delay_alu instid0(TRANS32_DEP_1) | instskip(NEXT) | instid1(VALU_DEP_1)
	v_fma_f64 v[26:27], -v[4:5], v[6:7], 1.0
	v_fma_f64 v[6:7], v[6:7], v[26:27], v[6:7]
	s_delay_alu instid0(VALU_DEP_1) | instskip(NEXT) | instid1(VALU_DEP_1)
	v_fma_f64 v[26:27], -v[4:5], v[6:7], 1.0
	v_fma_f64 v[6:7], v[6:7], v[26:27], v[6:7]
	s_delay_alu instid0(VALU_DEP_1) | instskip(NEXT) | instid1(VALU_DEP_1)
	v_mul_f64_e32 v[26:27], v[28:29], v[6:7]
	v_fma_f64 v[4:5], -v[4:5], v[26:27], v[28:29]
	s_wait_alu 0xfffd
	s_delay_alu instid0(VALU_DEP_1)
	v_div_fmas_f64 v[26:27], v[4:5], v[6:7], v[26:27]
	s_wait_alu 0xfffe
	v_mov_b32_e32 v4, s38
	s_add_co_i32 s38, s37, 0xffffff30
	ds_load_b64 v[28:29], v4
	s_wait_alu 0xfffe
	v_mov_b32_e32 v4, s38
	s_add_co_i32 s38, s37, 0xfffffed8
	s_addk_co_i32 s37, 0xfec8
	ds_load_2addr_b64 v[4:7], v4 offset1:1
	s_wait_dscnt 0x1
	v_fma_f64 v[2:3], -v[30:31], v[28:29], v[2:3]
	v_div_fixup_f64 v[32:33], v[26:27], v[22:23], v[24:25]
	s_wait_dscnt 0x0
	s_delay_alu instid0(VALU_DEP_1) | instskip(NEXT) | instid1(VALU_DEP_1)
	v_fma_f64 v[2:3], -v[32:33], v[6:7], v[2:3]
	v_div_scale_f64 v[6:7], null, v[4:5], v[4:5], v[2:3]
	v_div_scale_f64 v[26:27], vcc_lo, v[2:3], v[4:5], v[2:3]
	s_delay_alu instid0(VALU_DEP_2) | instskip(NEXT) | instid1(TRANS32_DEP_1)
	v_rcp_f64_e32 v[22:23], v[6:7]
	v_fma_f64 v[24:25], -v[6:7], v[22:23], 1.0
	s_delay_alu instid0(VALU_DEP_1) | instskip(NEXT) | instid1(VALU_DEP_1)
	v_fma_f64 v[22:23], v[22:23], v[24:25], v[22:23]
	v_fma_f64 v[24:25], -v[6:7], v[22:23], 1.0
	s_delay_alu instid0(VALU_DEP_1) | instskip(SKIP_4) | instid1(VALU_DEP_1)
	v_fma_f64 v[34:35], v[22:23], v[24:25], v[22:23]
	s_wait_alu 0xfffe
	v_mov_b32_e32 v22, s38
	ds_load_2addr_b64 v[22:25], v22 offset1:1
	v_mul_f64_e32 v[36:37], v[26:27], v[34:35]
	v_fma_f64 v[6:7], -v[6:7], v[36:37], v[26:27]
	v_mov_b32_e32 v26, s37
	s_add_co_i32 s37, s21, -4
	s_cmp_lt_i32 s21, 7
	ds_load_2addr_b64 v[26:29], v26 offset1:1
	s_wait_dscnt 0x1
	v_fma_f64 v[0:1], -v[30:31], v[24:25], v[0:1]
	s_wait_alu 0xfffd
	v_div_fmas_f64 v[6:7], v[6:7], v[34:35], v[36:37]
	s_delay_alu instid0(VALU_DEP_2) | instskip(NEXT) | instid1(VALU_DEP_2)
	v_fma_f64 v[0:1], -v[32:33], v[22:23], v[0:1]
	v_div_fixup_f64 v[2:3], v[6:7], v[4:5], v[2:3]
	s_wait_dscnt 0x0
	s_delay_alu instid0(VALU_DEP_1) | instskip(NEXT) | instid1(VALU_DEP_1)
	v_fma_f64 v[0:1], -v[2:3], v[28:29], v[0:1]
	v_div_scale_f64 v[4:5], null, v[26:27], v[26:27], v[0:1]
	s_delay_alu instid0(VALU_DEP_1) | instskip(NEXT) | instid1(TRANS32_DEP_1)
	v_rcp_f64_e32 v[6:7], v[4:5]
	v_fma_f64 v[22:23], -v[4:5], v[6:7], 1.0
	s_delay_alu instid0(VALU_DEP_1) | instskip(NEXT) | instid1(VALU_DEP_1)
	v_fma_f64 v[6:7], v[6:7], v[22:23], v[6:7]
	v_fma_f64 v[22:23], -v[4:5], v[6:7], 1.0
	s_delay_alu instid0(VALU_DEP_1) | instskip(SKIP_1) | instid1(VALU_DEP_1)
	v_fma_f64 v[6:7], v[6:7], v[22:23], v[6:7]
	v_div_scale_f64 v[22:23], vcc_lo, v[0:1], v[26:27], v[0:1]
	v_mul_f64_e32 v[24:25], v[22:23], v[6:7]
	s_delay_alu instid0(VALU_DEP_1) | instskip(SKIP_1) | instid1(VALU_DEP_1)
	v_fma_f64 v[4:5], -v[4:5], v[24:25], v[22:23]
	s_wait_alu 0xfffd
	v_div_fmas_f64 v[4:5], v[4:5], v[6:7], v[24:25]
	s_delay_alu instid0(VALU_DEP_1)
	v_div_fixup_f64 v[0:1], v[4:5], v[26:27], v[0:1]
	ds_store_b64 v11, v[30:31]
	ds_store_b64 v12, v[32:33]
	;; [unrolled: 1-line block ×4, first 2 shown]
	s_cbranch_scc1 .LBB81_53
; %bb.52:                               ;   in Loop: Header=BB81_49 Depth=2
	s_wait_alu 0xfffe
	s_mov_b32 s21, s37
	s_branch .LBB81_49
.LBB81_53:                              ;   in Loop: Header=BB81_3 Depth=1
	s_wait_alu 0xfffe
	s_cmp_lt_i32 s37, 0
	s_cbranch_scc1 .LBB81_66
; %bb.54:                               ;   in Loop: Header=BB81_3 Depth=1
	s_bitcmp1_b32 s37, 0
	s_cselect_b32 s20, -1, 0
	s_wait_alu 0xfffe
	s_and_b32 vcc_lo, exec_lo, s20
	s_mov_b32 s20, s37
	s_wait_alu 0xfffe
	s_cbranch_vccnz .LBB81_59
; %bb.55:                               ;   in Loop: Header=BB81_3 Depth=1
	v_mad_co_u64_u32 v[0:1], null, 0x60, s37, v[10:11]
	s_cmp_le_i32 s24, s37
	ds_load_b64 v[1:2], v0
	s_cbranch_scc1 .LBB81_58
; %bb.56:                               ;   in Loop: Header=BB81_3 Depth=1
	v_mov_b32_e32 v3, v15
	s_mul_i32 s20, s37, 0x60
	s_mov_b32 s21, s24
	s_wait_alu 0xfffe
	s_add_co_i32 s20, s35, s20
.LBB81_57:                              ;   Parent Loop BB81_3 Depth=1
                                        ; =>  This Inner Loop Header: Depth=2
	s_wait_alu 0xfffe
	v_mov_b32_e32 v6, s20
	s_add_co_i32 s21, s21, -1
	s_add_co_i32 s20, s20, -8
	s_wait_alu 0xfffe
	s_cmp_gt_u32 s21, s37
	ds_load_b64 v[4:5], v3
	ds_load_b64 v[6:7], v6
	v_add_nc_u32_e32 v3, 0xffffffa0, v3
	s_wait_dscnt 0x0
	v_fma_f64 v[1:2], -v[4:5], v[6:7], v[1:2]
	s_cbranch_scc1 .LBB81_57
.LBB81_58:                              ;   in Loop: Header=BB81_3 Depth=1
	s_mul_i32 s20, s37, 0x68
	s_wait_alu 0xfffe
	v_mov_b32_e32 v3, s20
	s_add_co_i32 s20, s37, -1
	ds_load_b64 v[3:4], v3
	s_wait_dscnt 0x0
	v_div_scale_f64 v[5:6], null, v[3:4], v[3:4], v[1:2]
	s_delay_alu instid0(VALU_DEP_1) | instskip(NEXT) | instid1(TRANS32_DEP_1)
	v_rcp_f64_e32 v[11:12], v[5:6]
	v_fma_f64 v[20:21], -v[5:6], v[11:12], 1.0
	s_delay_alu instid0(VALU_DEP_1) | instskip(NEXT) | instid1(VALU_DEP_1)
	v_fma_f64 v[11:12], v[11:12], v[20:21], v[11:12]
	v_fma_f64 v[20:21], -v[5:6], v[11:12], 1.0
	s_delay_alu instid0(VALU_DEP_1) | instskip(SKIP_1) | instid1(VALU_DEP_1)
	v_fma_f64 v[11:12], v[11:12], v[20:21], v[11:12]
	v_div_scale_f64 v[20:21], vcc_lo, v[1:2], v[3:4], v[1:2]
	v_mul_f64_e32 v[22:23], v[20:21], v[11:12]
	s_delay_alu instid0(VALU_DEP_1) | instskip(SKIP_1) | instid1(VALU_DEP_1)
	v_fma_f64 v[5:6], -v[5:6], v[22:23], v[20:21]
	s_wait_alu 0xfffd
	v_div_fmas_f64 v[5:6], v[5:6], v[11:12], v[22:23]
	s_delay_alu instid0(VALU_DEP_1)
	v_div_fixup_f64 v[1:2], v[5:6], v[3:4], v[1:2]
	ds_store_b64 v0, v[1:2]
.LBB81_59:                              ;   in Loop: Header=BB81_3 Depth=1
	s_cmp_eq_u32 s37, 0
	s_cbranch_scc1 .LBB81_66
; %bb.60:                               ;   in Loop: Header=BB81_3 Depth=1
	s_wait_alu 0xfffe
	s_mul_i32 s37, s20, 0x60
	s_wait_alu 0xfffe
	s_add_co_i32 s21, s35, s37
	s_add_co_i32 s37, s36, s37
	s_branch .LBB81_62
.LBB81_61:                              ;   in Loop: Header=BB81_62 Depth=2
	s_addk_co_i32 s38, 0xff98
	s_add_co_i32 s20, s20, -2
	s_wait_alu 0xfffe
	v_mov_b32_e32 v0, s38
	s_addk_co_i32 s21, 0xff40
	s_addk_co_i32 s37, 0xff40
	s_cmp_eq_u32 s39, 0
	ds_load_b64 v[0:1], v0
	s_wait_dscnt 0x0
	v_div_scale_f64 v[6:7], null, v[0:1], v[0:1], v[3:4]
	s_delay_alu instid0(VALU_DEP_1) | instskip(NEXT) | instid1(TRANS32_DEP_1)
	v_rcp_f64_e32 v[11:12], v[6:7]
	v_fma_f64 v[20:21], -v[6:7], v[11:12], 1.0
	s_delay_alu instid0(VALU_DEP_1) | instskip(NEXT) | instid1(VALU_DEP_1)
	v_fma_f64 v[11:12], v[11:12], v[20:21], v[11:12]
	v_fma_f64 v[20:21], -v[6:7], v[11:12], 1.0
	s_delay_alu instid0(VALU_DEP_1) | instskip(SKIP_1) | instid1(VALU_DEP_1)
	v_fma_f64 v[11:12], v[11:12], v[20:21], v[11:12]
	v_div_scale_f64 v[20:21], vcc_lo, v[3:4], v[0:1], v[3:4]
	v_mul_f64_e32 v[22:23], v[20:21], v[11:12]
	s_delay_alu instid0(VALU_DEP_1) | instskip(SKIP_1) | instid1(VALU_DEP_1)
	v_fma_f64 v[6:7], -v[6:7], v[22:23], v[20:21]
	s_wait_alu 0xfffd
	v_div_fmas_f64 v[6:7], v[6:7], v[11:12], v[22:23]
	s_delay_alu instid0(VALU_DEP_1)
	v_div_fixup_f64 v[0:1], v[6:7], v[0:1], v[3:4]
	ds_store_b64 v5, v[0:1]
	s_cbranch_scc1 .LBB81_66
.LBB81_62:                              ;   Parent Loop BB81_3 Depth=1
                                        ; =>  This Loop Header: Depth=2
                                        ;       Child Loop BB81_63 Depth 3
                                        ;       Child Loop BB81_65 Depth 3
	v_mad_co_u64_u32 v[0:1], null, 0x60, s20, v[10:11]
	v_mov_b32_e32 v3, v15
	s_cmp_le_i32 s24, s20
	s_wait_alu 0xfffe
	s_mov_b32 s38, s21
	s_mov_b32 s39, s24
	ds_load_b64 v[1:2], v0
	s_cbranch_scc1 .LBB81_64
.LBB81_63:                              ;   Parent Loop BB81_3 Depth=1
                                        ;     Parent Loop BB81_62 Depth=2
                                        ; =>    This Inner Loop Header: Depth=3
	s_wait_alu 0xfffe
	v_mov_b32_e32 v6, s38
	s_add_co_i32 s39, s39, -1
	s_add_co_i32 s38, s38, -8
	s_wait_alu 0xfffe
	s_cmp_le_u32 s39, s20
	ds_load_b64 v[4:5], v3
	ds_load_b64 v[6:7], v6
	v_add_nc_u32_e32 v3, 0xffffffa0, v3
	s_wait_dscnt 0x0
	v_fma_f64 v[1:2], -v[4:5], v[6:7], v[1:2]
	s_cbranch_scc0 .LBB81_63
.LBB81_64:                              ;   in Loop: Header=BB81_62 Depth=2
	s_mul_i32 s38, s20, 0x68
	v_add_nc_u32_e32 v5, 0xffffffa0, v0
	s_wait_alu 0xfffe
	v_mov_b32_e32 v3, s38
	s_add_co_i32 s39, s20, -1
	s_cmp_le_i32 s1, s20
	s_mov_b32 s40, s37
	s_mov_b32 s41, s24
	ds_load_b64 v[6:7], v3
	ds_load_b64 v[3:4], v5
	s_wait_dscnt 0x1
	v_div_scale_f64 v[11:12], null, v[6:7], v[6:7], v[1:2]
	s_delay_alu instid0(VALU_DEP_1) | instskip(NEXT) | instid1(TRANS32_DEP_1)
	v_rcp_f64_e32 v[20:21], v[11:12]
	v_fma_f64 v[22:23], -v[11:12], v[20:21], 1.0
	s_delay_alu instid0(VALU_DEP_1) | instskip(NEXT) | instid1(VALU_DEP_1)
	v_fma_f64 v[20:21], v[20:21], v[22:23], v[20:21]
	v_fma_f64 v[22:23], -v[11:12], v[20:21], 1.0
	s_delay_alu instid0(VALU_DEP_1) | instskip(SKIP_1) | instid1(VALU_DEP_1)
	v_fma_f64 v[20:21], v[20:21], v[22:23], v[20:21]
	v_div_scale_f64 v[22:23], vcc_lo, v[1:2], v[6:7], v[1:2]
	v_mul_f64_e32 v[24:25], v[22:23], v[20:21]
	s_delay_alu instid0(VALU_DEP_1) | instskip(SKIP_1) | instid1(VALU_DEP_1)
	v_fma_f64 v[11:12], -v[11:12], v[24:25], v[22:23]
	s_wait_alu 0xfffd
	v_div_fmas_f64 v[11:12], v[11:12], v[20:21], v[24:25]
	s_delay_alu instid0(VALU_DEP_1)
	v_div_fixup_f64 v[6:7], v[11:12], v[6:7], v[1:2]
	v_mov_b32_e32 v1, v15
	ds_store_b64 v0, v[6:7]
	s_cbranch_scc1 .LBB81_61
.LBB81_65:                              ;   Parent Loop BB81_3 Depth=1
                                        ;     Parent Loop BB81_62 Depth=2
                                        ; =>    This Inner Loop Header: Depth=3
	s_wait_alu 0xfffe
	v_mov_b32_e32 v0, s40
	s_add_co_i32 s41, s41, -1
	s_add_co_i32 s40, s40, -8
	s_wait_alu 0xfffe
	s_cmp_gt_u32 s41, s39
	ds_load_b64 v[6:7], v1
	ds_load_b64 v[11:12], v0
	v_add_nc_u32_e32 v1, 0xffffffa0, v1
	s_wait_dscnt 0x0
	v_fma_f64 v[3:4], -v[6:7], v[11:12], v[3:4]
	s_cbranch_scc1 .LBB81_65
	s_branch .LBB81_61
.LBB81_66:                              ;   in Loop: Header=BB81_3 Depth=1
	s_mov_b32 s20, 0
.LBB81_67:                              ;   in Loop: Header=BB81_3 Depth=1
	s_wait_alu 0xfffe
	s_and_not1_b32 vcc_lo, exec_lo, s20
	s_wait_alu 0xfffe
	s_cbranch_vccnz .LBB81_79
; %bb.68:                               ;   in Loop: Header=BB81_3 Depth=1
	s_and_not1_b32 vcc_lo, exec_lo, s28
	s_mov_b32 s37, 0
	s_wait_alu 0xfffe
	s_cbranch_vccnz .LBB81_74
; %bb.69:                               ;   in Loop: Header=BB81_3 Depth=1
	s_mov_b32 s20, 0
	s_mov_b32 s21, 0
.LBB81_70:                              ;   Parent Loop BB81_3 Depth=1
                                        ; =>  This Loop Header: Depth=2
                                        ;       Child Loop BB81_71 Depth 3
	s_wait_alu 0xfffe
	s_mul_i32 s37, s21, 12
	v_mov_b32_e32 v12, v10
	s_wait_alu 0xfffe
	v_lshl_add_u32 v11, s37, 3, v10
	s_cmp_eq_u32 s21, 0
	s_mov_b32 s38, s20
	s_mov_b32 s39, s21
	ds_load_2addr_b64 v[4:7], v11 offset1:12
	ds_load_2addr_b64 v[0:3], v11 offset0:24 offset1:36
	s_cbranch_scc1 .LBB81_72
.LBB81_71:                              ;   Parent Loop BB81_3 Depth=1
                                        ;     Parent Loop BB81_70 Depth=2
                                        ; =>    This Inner Loop Header: Depth=3
	s_wait_alu 0xfffe
	v_mov_b32_e32 v24, s38
	s_add_co_i32 s39, s39, -1
	s_add_co_i32 s38, s38, 8
	s_wait_alu 0xfffe
	s_cmp_eq_u32 s39, 0
	ds_load_b64 v[28:29], v12
	ds_load_2addr_b64 v[20:23], v24 offset1:12
	ds_load_2addr_b64 v[24:27], v24 offset0:24 offset1:36
	v_add_nc_u32_e32 v12, 0x60, v12
	s_wait_dscnt 0x1
	v_fma_f64 v[4:5], -v[28:29], v[20:21], v[4:5]
	v_fma_f64 v[6:7], -v[28:29], v[22:23], v[6:7]
	s_wait_dscnt 0x0
	v_fma_f64 v[0:1], -v[28:29], v[24:25], v[0:1]
	v_fma_f64 v[2:3], -v[28:29], v[26:27], v[2:3]
	s_cbranch_scc0 .LBB81_71
.LBB81_72:                              ;   in Loop: Header=BB81_70 Depth=2
	s_mul_i32 s38, s21, 0x68
	s_lshl_b32 s37, s37, 3
	s_wait_alu 0xfffe
	v_mov_b32_e32 v12, s38
	s_lshl_b32 s38, s21, 3
	s_addk_co_i32 s20, 0x180
	s_wait_alu 0xfffe
	s_add_co_i32 s37, s37, s38
	ds_load_b64 v[24:25], v12
	s_wait_alu 0xfffe
	v_mov_b32_e32 v12, s37
	s_add_co_i32 s37, s21, 4
	s_add_co_i32 s21, s21, 7
	s_wait_alu 0xfffe
	s_cmp_ge_i32 s21, s1
	ds_load_b128 v[20:23], v12 offset:96
	s_wait_dscnt 0x1
	v_div_scale_f64 v[26:27], null, v[24:25], v[24:25], v[4:5]
	v_div_scale_f64 v[32:33], vcc_lo, v[4:5], v[24:25], v[4:5]
	s_delay_alu instid0(VALU_DEP_2) | instskip(NEXT) | instid1(TRANS32_DEP_1)
	v_rcp_f64_e32 v[28:29], v[26:27]
	v_fma_f64 v[30:31], -v[26:27], v[28:29], 1.0
	s_delay_alu instid0(VALU_DEP_1) | instskip(NEXT) | instid1(VALU_DEP_1)
	v_fma_f64 v[28:29], v[28:29], v[30:31], v[28:29]
	v_fma_f64 v[30:31], -v[26:27], v[28:29], 1.0
	s_delay_alu instid0(VALU_DEP_1) | instskip(NEXT) | instid1(VALU_DEP_1)
	v_fma_f64 v[28:29], v[28:29], v[30:31], v[28:29]
	v_mul_f64_e32 v[30:31], v[32:33], v[28:29]
	s_delay_alu instid0(VALU_DEP_1) | instskip(SKIP_1) | instid1(VALU_DEP_1)
	v_fma_f64 v[26:27], -v[26:27], v[30:31], v[32:33]
	s_wait_alu 0xfffd
	v_div_fmas_f64 v[26:27], v[26:27], v[28:29], v[30:31]
	s_delay_alu instid0(VALU_DEP_1) | instskip(SKIP_1) | instid1(VALU_DEP_1)
	v_div_fixup_f64 v[24:25], v[26:27], v[24:25], v[4:5]
	s_wait_dscnt 0x0
	v_fma_f64 v[20:21], -v[24:25], v[20:21], v[6:7]
	s_delay_alu instid0(VALU_DEP_1) | instskip(SKIP_1) | instid1(VALU_DEP_2)
	v_div_scale_f64 v[4:5], null, v[22:23], v[22:23], v[20:21]
	v_div_scale_f64 v[28:29], vcc_lo, v[20:21], v[22:23], v[20:21]
	v_rcp_f64_e32 v[6:7], v[4:5]
	s_delay_alu instid0(TRANS32_DEP_1) | instskip(NEXT) | instid1(VALU_DEP_1)
	v_fma_f64 v[26:27], -v[4:5], v[6:7], 1.0
	v_fma_f64 v[6:7], v[6:7], v[26:27], v[6:7]
	s_delay_alu instid0(VALU_DEP_1) | instskip(NEXT) | instid1(VALU_DEP_1)
	v_fma_f64 v[26:27], -v[4:5], v[6:7], 1.0
	v_fma_f64 v[6:7], v[6:7], v[26:27], v[6:7]
	s_delay_alu instid0(VALU_DEP_1) | instskip(NEXT) | instid1(VALU_DEP_1)
	v_mul_f64_e32 v[26:27], v[28:29], v[6:7]
	v_fma_f64 v[4:5], -v[4:5], v[26:27], v[28:29]
	s_wait_alu 0xfffd
	s_delay_alu instid0(VALU_DEP_1)
	v_div_fmas_f64 v[26:27], v[4:5], v[6:7], v[26:27]
	ds_load_b128 v[4:7], v12 offset:192
	ds_load_b64 v[28:29], v12 offset:208
	s_wait_dscnt 0x1
	v_fma_f64 v[0:1], -v[24:25], v[4:5], v[0:1]
	v_div_fixup_f64 v[26:27], v[26:27], v[22:23], v[20:21]
	s_delay_alu instid0(VALU_DEP_1) | instskip(SKIP_1) | instid1(VALU_DEP_1)
	v_fma_f64 v[0:1], -v[26:27], v[6:7], v[0:1]
	s_wait_dscnt 0x0
	v_div_scale_f64 v[4:5], null, v[28:29], v[28:29], v[0:1]
	v_div_scale_f64 v[22:23], vcc_lo, v[0:1], v[28:29], v[0:1]
	s_delay_alu instid0(VALU_DEP_2) | instskip(NEXT) | instid1(TRANS32_DEP_1)
	v_rcp_f64_e32 v[6:7], v[4:5]
	v_fma_f64 v[20:21], -v[4:5], v[6:7], 1.0
	s_delay_alu instid0(VALU_DEP_1) | instskip(NEXT) | instid1(VALU_DEP_1)
	v_fma_f64 v[6:7], v[6:7], v[20:21], v[6:7]
	v_fma_f64 v[20:21], -v[4:5], v[6:7], 1.0
	s_delay_alu instid0(VALU_DEP_1) | instskip(NEXT) | instid1(VALU_DEP_1)
	v_fma_f64 v[30:31], v[6:7], v[20:21], v[6:7]
	v_mul_f64_e32 v[32:33], v[22:23], v[30:31]
	s_delay_alu instid0(VALU_DEP_1)
	v_fma_f64 v[34:35], -v[4:5], v[32:33], v[22:23]
	ds_load_b128 v[4:7], v12 offset:288
	ds_load_b128 v[20:23], v12 offset:304
	s_wait_dscnt 0x1
	v_fma_f64 v[2:3], -v[24:25], v[4:5], v[2:3]
	s_wait_alu 0xfffd
	v_div_fmas_f64 v[4:5], v[34:35], v[30:31], v[32:33]
	s_delay_alu instid0(VALU_DEP_2) | instskip(NEXT) | instid1(VALU_DEP_2)
	v_fma_f64 v[2:3], -v[26:27], v[6:7], v[2:3]
	v_div_fixup_f64 v[0:1], v[4:5], v[28:29], v[0:1]
	s_wait_dscnt 0x0
	s_delay_alu instid0(VALU_DEP_1) | instskip(NEXT) | instid1(VALU_DEP_1)
	v_fma_f64 v[2:3], -v[0:1], v[20:21], v[2:3]
	v_div_scale_f64 v[4:5], null, v[22:23], v[22:23], v[2:3]
	s_delay_alu instid0(VALU_DEP_1) | instskip(NEXT) | instid1(TRANS32_DEP_1)
	v_rcp_f64_e32 v[6:7], v[4:5]
	v_fma_f64 v[20:21], -v[4:5], v[6:7], 1.0
	s_delay_alu instid0(VALU_DEP_1) | instskip(NEXT) | instid1(VALU_DEP_1)
	v_fma_f64 v[6:7], v[6:7], v[20:21], v[6:7]
	v_fma_f64 v[20:21], -v[4:5], v[6:7], 1.0
	s_delay_alu instid0(VALU_DEP_1) | instskip(SKIP_1) | instid1(VALU_DEP_1)
	v_fma_f64 v[6:7], v[6:7], v[20:21], v[6:7]
	v_div_scale_f64 v[20:21], vcc_lo, v[2:3], v[22:23], v[2:3]
	v_mul_f64_e32 v[28:29], v[20:21], v[6:7]
	s_delay_alu instid0(VALU_DEP_1) | instskip(SKIP_1) | instid1(VALU_DEP_1)
	v_fma_f64 v[4:5], -v[4:5], v[28:29], v[20:21]
	s_wait_alu 0xfffd
	v_div_fmas_f64 v[4:5], v[4:5], v[6:7], v[28:29]
	s_delay_alu instid0(VALU_DEP_1)
	v_div_fixup_f64 v[2:3], v[4:5], v[22:23], v[2:3]
	ds_store_2addr_b64 v11, v[24:25], v[26:27] offset1:12
	ds_store_2addr_b64 v11, v[0:1], v[2:3] offset0:24 offset1:36
	s_cbranch_scc1 .LBB81_74
; %bb.73:                               ;   in Loop: Header=BB81_70 Depth=2
	s_mov_b32 s21, s37
	s_branch .LBB81_70
.LBB81_74:                              ;   in Loop: Header=BB81_3 Depth=1
	s_cmp_ge_i32 s37, s1
	s_cbranch_scc1 .LBB81_79
; %bb.75:                               ;   in Loop: Header=BB81_3 Depth=1
	s_mul_i32 s20, s37, 0x60
	s_branch .LBB81_77
.LBB81_76:                              ;   in Loop: Header=BB81_77 Depth=2
	s_mul_i32 s21, s37, 0x68
	s_add_co_i32 s37, s37, 1
	s_wait_alu 0xfffe
	v_mov_b32_e32 v3, s21
	s_addk_co_i32 s20, 0x60
	s_cmp_ge_i32 s37, s1
	ds_load_b64 v[3:4], v3
	s_wait_dscnt 0x0
	v_div_scale_f64 v[5:6], null, v[3:4], v[3:4], v[1:2]
	s_delay_alu instid0(VALU_DEP_1) | instskip(NEXT) | instid1(TRANS32_DEP_1)
	v_rcp_f64_e32 v[11:12], v[5:6]
	v_fma_f64 v[20:21], -v[5:6], v[11:12], 1.0
	s_delay_alu instid0(VALU_DEP_1) | instskip(NEXT) | instid1(VALU_DEP_1)
	v_fma_f64 v[11:12], v[11:12], v[20:21], v[11:12]
	v_fma_f64 v[20:21], -v[5:6], v[11:12], 1.0
	s_delay_alu instid0(VALU_DEP_1) | instskip(SKIP_1) | instid1(VALU_DEP_1)
	v_fma_f64 v[11:12], v[11:12], v[20:21], v[11:12]
	v_div_scale_f64 v[20:21], vcc_lo, v[1:2], v[3:4], v[1:2]
	v_mul_f64_e32 v[22:23], v[20:21], v[11:12]
	s_delay_alu instid0(VALU_DEP_1) | instskip(SKIP_1) | instid1(VALU_DEP_1)
	v_fma_f64 v[5:6], -v[5:6], v[22:23], v[20:21]
	s_wait_alu 0xfffd
	v_div_fmas_f64 v[5:6], v[5:6], v[11:12], v[22:23]
	s_delay_alu instid0(VALU_DEP_1)
	v_div_fixup_f64 v[1:2], v[5:6], v[3:4], v[1:2]
	ds_store_b64 v0, v[1:2]
	s_cbranch_scc1 .LBB81_79
.LBB81_77:                              ;   Parent Loop BB81_3 Depth=1
                                        ; =>  This Loop Header: Depth=2
                                        ;       Child Loop BB81_78 Depth 3
	v_mad_co_u64_u32 v[0:1], null, 0x60, s37, v[10:11]
	v_mov_b32_e32 v3, v10
	s_cmp_eq_u32 s37, 0
	s_wait_alu 0xfffe
	s_mov_b32 s21, s20
	s_mov_b32 s38, s37
	ds_load_b64 v[1:2], v0
	s_cbranch_scc1 .LBB81_76
.LBB81_78:                              ;   Parent Loop BB81_3 Depth=1
                                        ;     Parent Loop BB81_77 Depth=2
                                        ; =>    This Inner Loop Header: Depth=3
	s_wait_alu 0xfffe
	v_mov_b32_e32 v6, s21
	s_add_co_i32 s38, s38, -1
	s_add_co_i32 s21, s21, 8
	s_wait_alu 0xfffe
	s_cmp_eq_u32 s38, 0
	ds_load_b64 v[4:5], v3
	ds_load_b64 v[6:7], v6
	v_add_nc_u32_e32 v3, 0x60, v3
	s_wait_dscnt 0x0
	v_fma_f64 v[1:2], -v[4:5], v[6:7], v[1:2]
	s_cbranch_scc0 .LBB81_78
	s_branch .LBB81_76
.LBB81_79:                              ;   in Loop: Header=BB81_3 Depth=1
	s_and_saveexec_b32 s20, s29
	s_cbranch_execz .LBB81_2
; %bb.80:                               ;   in Loop: Header=BB81_3 Depth=1
	v_add_co_u32 v0, vcc_lo, v18, v17
	s_wait_alu 0xfffd
	v_add_co_ci_u32_e64 v1, null, 0, v19, vcc_lo
	v_mov_b32_e32 v2, v10
	s_mov_b32 s21, s23
.LBB81_81:                              ;   Parent Loop BB81_3 Depth=1
                                        ; =>  This Inner Loop Header: Depth=2
	ds_load_b64 v[3:4], v2
	v_add_nc_u32_e32 v2, 0x60, v2
	s_wait_alu 0xfffe
	s_add_co_i32 s21, s21, -1
	s_wait_alu 0xfffe
	s_cmp_lg_u32 s21, 0
	s_wait_dscnt 0x0
	flat_store_b64 v[0:1], v[3:4]
	v_add_co_u32 v0, vcc_lo, v0, s18
	s_wait_alu 0xfffd
	v_add_co_ci_u32_e64 v1, null, s19, v1, vcc_lo
	s_cbranch_scc1 .LBB81_81
	s_branch .LBB81_2
.LBB81_82:
	s_endpgm
	.section	.rodata,"a",@progbits
	.p2align	6, 0x0
	.amdhsa_kernel _ZL31rocblas_trsm_small_right_deviceIddPKPKdPKPdLi12EEv13rocblas_fill_18rocblas_operation_17rocblas_diagonal_iiT0_T1_lilT2_lili
		.amdhsa_group_segment_fixed_size 2304
		.amdhsa_private_segment_fixed_size 0
		.amdhsa_kernarg_size 360
		.amdhsa_user_sgpr_count 2
		.amdhsa_user_sgpr_dispatch_ptr 0
		.amdhsa_user_sgpr_queue_ptr 0
		.amdhsa_user_sgpr_kernarg_segment_ptr 1
		.amdhsa_user_sgpr_dispatch_id 0
		.amdhsa_user_sgpr_private_segment_size 0
		.amdhsa_wavefront_size32 1
		.amdhsa_uses_dynamic_stack 0
		.amdhsa_enable_private_segment 0
		.amdhsa_system_sgpr_workgroup_id_x 1
		.amdhsa_system_sgpr_workgroup_id_y 0
		.amdhsa_system_sgpr_workgroup_id_z 1
		.amdhsa_system_sgpr_workgroup_info 0
		.amdhsa_system_vgpr_workitem_id 0
		.amdhsa_next_free_vgpr 41
		.amdhsa_next_free_sgpr 43
		.amdhsa_reserve_vcc 1
		.amdhsa_float_round_mode_32 0
		.amdhsa_float_round_mode_16_64 0
		.amdhsa_float_denorm_mode_32 3
		.amdhsa_float_denorm_mode_16_64 3
		.amdhsa_fp16_overflow 0
		.amdhsa_workgroup_processor_mode 1
		.amdhsa_memory_ordered 1
		.amdhsa_forward_progress 1
		.amdhsa_inst_pref_size 54
		.amdhsa_round_robin_scheduling 0
		.amdhsa_exception_fp_ieee_invalid_op 0
		.amdhsa_exception_fp_denorm_src 0
		.amdhsa_exception_fp_ieee_div_zero 0
		.amdhsa_exception_fp_ieee_overflow 0
		.amdhsa_exception_fp_ieee_underflow 0
		.amdhsa_exception_fp_ieee_inexact 0
		.amdhsa_exception_int_div_zero 0
	.end_amdhsa_kernel
	.section	.text._ZL31rocblas_trsm_small_right_deviceIddPKPKdPKPdLi12EEv13rocblas_fill_18rocblas_operation_17rocblas_diagonal_iiT0_T1_lilT2_lili,"axG",@progbits,_ZL31rocblas_trsm_small_right_deviceIddPKPKdPKPdLi12EEv13rocblas_fill_18rocblas_operation_17rocblas_diagonal_iiT0_T1_lilT2_lili,comdat
.Lfunc_end81:
	.size	_ZL31rocblas_trsm_small_right_deviceIddPKPKdPKPdLi12EEv13rocblas_fill_18rocblas_operation_17rocblas_diagonal_iiT0_T1_lilT2_lili, .Lfunc_end81-_ZL31rocblas_trsm_small_right_deviceIddPKPKdPKPdLi12EEv13rocblas_fill_18rocblas_operation_17rocblas_diagonal_iiT0_T1_lilT2_lili
                                        ; -- End function
	.set _ZL31rocblas_trsm_small_right_deviceIddPKPKdPKPdLi12EEv13rocblas_fill_18rocblas_operation_17rocblas_diagonal_iiT0_T1_lilT2_lili.num_vgpr, 41
	.set _ZL31rocblas_trsm_small_right_deviceIddPKPKdPKPdLi12EEv13rocblas_fill_18rocblas_operation_17rocblas_diagonal_iiT0_T1_lilT2_lili.num_agpr, 0
	.set _ZL31rocblas_trsm_small_right_deviceIddPKPKdPKPdLi12EEv13rocblas_fill_18rocblas_operation_17rocblas_diagonal_iiT0_T1_lilT2_lili.numbered_sgpr, 43
	.set _ZL31rocblas_trsm_small_right_deviceIddPKPKdPKPdLi12EEv13rocblas_fill_18rocblas_operation_17rocblas_diagonal_iiT0_T1_lilT2_lili.num_named_barrier, 0
	.set _ZL31rocblas_trsm_small_right_deviceIddPKPKdPKPdLi12EEv13rocblas_fill_18rocblas_operation_17rocblas_diagonal_iiT0_T1_lilT2_lili.private_seg_size, 0
	.set _ZL31rocblas_trsm_small_right_deviceIddPKPKdPKPdLi12EEv13rocblas_fill_18rocblas_operation_17rocblas_diagonal_iiT0_T1_lilT2_lili.uses_vcc, 1
	.set _ZL31rocblas_trsm_small_right_deviceIddPKPKdPKPdLi12EEv13rocblas_fill_18rocblas_operation_17rocblas_diagonal_iiT0_T1_lilT2_lili.uses_flat_scratch, 0
	.set _ZL31rocblas_trsm_small_right_deviceIddPKPKdPKPdLi12EEv13rocblas_fill_18rocblas_operation_17rocblas_diagonal_iiT0_T1_lilT2_lili.has_dyn_sized_stack, 0
	.set _ZL31rocblas_trsm_small_right_deviceIddPKPKdPKPdLi12EEv13rocblas_fill_18rocblas_operation_17rocblas_diagonal_iiT0_T1_lilT2_lili.has_recursion, 0
	.set _ZL31rocblas_trsm_small_right_deviceIddPKPKdPKPdLi12EEv13rocblas_fill_18rocblas_operation_17rocblas_diagonal_iiT0_T1_lilT2_lili.has_indirect_call, 0
	.section	.AMDGPU.csdata,"",@progbits
; Kernel info:
; codeLenInByte = 6816
; TotalNumSgprs: 45
; NumVgprs: 41
; ScratchSize: 0
; MemoryBound: 0
; FloatMode: 240
; IeeeMode: 1
; LDSByteSize: 2304 bytes/workgroup (compile time only)
; SGPRBlocks: 0
; VGPRBlocks: 5
; NumSGPRsForWavesPerEU: 45
; NumVGPRsForWavesPerEU: 41
; Occupancy: 14
; WaveLimiterHint : 0
; COMPUTE_PGM_RSRC2:SCRATCH_EN: 0
; COMPUTE_PGM_RSRC2:USER_SGPR: 2
; COMPUTE_PGM_RSRC2:TRAP_HANDLER: 0
; COMPUTE_PGM_RSRC2:TGID_X_EN: 1
; COMPUTE_PGM_RSRC2:TGID_Y_EN: 0
; COMPUTE_PGM_RSRC2:TGID_Z_EN: 1
; COMPUTE_PGM_RSRC2:TIDIG_COMP_CNT: 0
	.section	.text._ZL38rocblas_trsm_small_left_device_sharedBILi16ELi16ELb0EddPKPKdPKPdEv13rocblas_fill_18rocblas_operation_17rocblas_diagonal_iiT3_T4_lilT5_lili,"axG",@progbits,_ZL38rocblas_trsm_small_left_device_sharedBILi16ELi16ELb0EddPKPKdPKPdEv13rocblas_fill_18rocblas_operation_17rocblas_diagonal_iiT3_T4_lilT5_lili,comdat
	.globl	_ZL38rocblas_trsm_small_left_device_sharedBILi16ELi16ELb0EddPKPKdPKPdEv13rocblas_fill_18rocblas_operation_17rocblas_diagonal_iiT3_T4_lilT5_lili ; -- Begin function _ZL38rocblas_trsm_small_left_device_sharedBILi16ELi16ELb0EddPKPKdPKPdEv13rocblas_fill_18rocblas_operation_17rocblas_diagonal_iiT3_T4_lilT5_lili
	.p2align	8
	.type	_ZL38rocblas_trsm_small_left_device_sharedBILi16ELi16ELb0EddPKPKdPKPdEv13rocblas_fill_18rocblas_operation_17rocblas_diagonal_iiT3_T4_lilT5_lili,@function
_ZL38rocblas_trsm_small_left_device_sharedBILi16ELi16ELb0EddPKPKdPKPdEv13rocblas_fill_18rocblas_operation_17rocblas_diagonal_iiT3_T4_lilT5_lili: ; @_ZL38rocblas_trsm_small_left_device_sharedBILi16ELi16ELb0EddPKPKdPKPdEv13rocblas_fill_18rocblas_operation_17rocblas_diagonal_iiT3_T4_lilT5_lili
; %bb.0:
	s_load_b32 s26, s[0:1], 0x60
	s_lshr_b32 s2, ttmp7, 16
	s_wait_kmcnt 0x0
	s_cmp_ge_u32 s2, s26
	s_cbranch_scc1 .LBB82_56
; %bb.1:
	s_clause 0x5
	s_load_b96 s[16:18], s[0:1], 0x28
	s_load_b32 s20, s[0:1], 0x50
	s_load_b128 s[12:15], s[0:1], 0x4
	s_load_b32 s3, s[0:1], 0x68
	s_load_b128 s[4:7], s[0:1], 0x18
	s_load_b128 s[8:11], s[0:1], 0x40
	v_dual_mov_b32 v1, 0 :: v_dual_lshlrev_b32 v70, 3, v0
	s_lshl_b32 s22, ttmp9, 4
	v_lshlrev_b32_e32 v35, 7, v0
	s_mov_b32 s19, 0
	s_delay_alu instid0(VALU_DEP_2)
	v_or_b32_e32 v71, 0x800, v70
	v_dual_mov_b32 v31, v1 :: v_dual_mov_b32 v32, v1
	v_dual_mov_b32 v2, v1 :: v_dual_mov_b32 v3, v1
	;; [unrolled: 1-line block ×4, first 2 shown]
	v_mov_b32_e32 v8, v1
	s_wait_kmcnt 0x0
	s_ashr_i32 s25, s18, 31
	s_min_i32 s1, s14, 16
	s_add_co_i32 s3, s3, -1
	s_ashr_i32 s21, s20, 31
	s_sub_co_i32 s0, s15, s22
	s_add_co_i32 s27, s1, -1
	v_mad_co_i64_i32 v[33:34], null, s20, v0, 0
	s_cmp_ge_u32 ttmp9, s3
	v_dual_mov_b32 v9, v1 :: v_dual_mov_b32 v10, v1
	s_cselect_b32 s3, s0, 16
	s_ashr_i32 s23, s22, 31
	s_cmp_lg_u32 s13, 0x84
	v_cmp_gt_i32_e32 vcc_lo, s3, v0
	s_cselect_b32 s28, -1, 0
	s_cmp_gt_i32 s14, 0
	v_dual_mov_b32 v11, v1 :: v_dual_mov_b32 v12, v1
	v_dual_mov_b32 v13, v1 :: v_dual_mov_b32 v14, v1
	;; [unrolled: 1-line block ×10, first 2 shown]
	v_cmp_gt_i32_e64 s0, s1, v0
	s_cselect_b32 s3, -1, 0
	s_cmp_lg_u32 s12, 0x6f
	v_lshlrev_b32_e32 v0, 3, v0
	v_lshlrev_b64_e32 v[66:67], 3, v[33:34]
	v_mov_b32_e32 v33, v32
	v_mov_b32_e32 v32, v31
	;; [unrolled: 1-line block ×4, first 2 shown]
	v_dual_mov_b32 v29, v28 :: v_dual_add_nc_u32 v72, v70, v35
	v_mov_b32_e32 v28, v27
	v_mov_b32_e32 v27, v26
	;; [unrolled: 1-line block ×27, first 2 shown]
	s_mov_b32 s24, s18
	s_mul_u64 s[20:21], s[20:21], s[22:23]
	s_cselect_b32 s29, -1, 0
	s_lshl_b32 s31, s1, 7
	s_wait_alu 0xfffe
	s_and_b32 s30, vcc_lo, s3
	s_lshl_b64 s[12:13], s[24:25], 3
	s_addk_co_i32 s31, 0xff80
	s_lshl_b64 s[14:15], s[16:17], 3
	s_lshl_b64 s[10:11], s[10:11], 3
	;; [unrolled: 1-line block ×3, first 2 shown]
	s_branch .LBB82_3
.LBB82_2:                               ;   in Loop: Header=BB82_3 Depth=1
	s_wait_alu 0xfffe
	s_or_b32 exec_lo, exec_lo, s3
	v_dual_mov_b32 v2, v34 :: v_dual_mov_b32 v3, v35
	v_dual_mov_b32 v4, v36 :: v_dual_mov_b32 v5, v37
	;; [unrolled: 1-line block ×16, first 2 shown]
	s_add_co_i32 s2, s2, 0x10000
	s_wait_alu 0xfffe
	s_cmp_lt_u32 s2, s26
	s_cbranch_scc0 .LBB82_56
.LBB82_3:                               ; =>This Loop Header: Depth=1
                                        ;     Child Loop BB82_5 Depth 2
                                        ;     Child Loop BB82_11 Depth 2
	;; [unrolled: 1-line block ×3, first 2 shown]
                                        ;       Child Loop BB82_17 Depth 3
                                        ;         Child Loop BB82_18 Depth 4
                                        ;         Child Loop BB82_21 Depth 4
                                        ;           Child Loop BB82_22 Depth 5
                                        ;         Child Loop BB82_27 Depth 4
                                        ;           Child Loop BB82_29 Depth 5
                                        ;     Child Loop BB82_35 Depth 2
                                        ;       Child Loop BB82_38 Depth 3
                                        ;         Child Loop BB82_39 Depth 4
                                        ;         Child Loop BB82_41 Depth 4
                                        ;           Child Loop BB82_42 Depth 5
                                        ;         Child Loop BB82_47 Depth 4
                                        ;           Child Loop BB82_49 Depth 5
                                        ;     Child Loop BB82_55 Depth 2
	s_mov_b32 s3, s19
	s_wait_alu 0xfffe
	s_lshl_b64 s[20:21], s[2:3], 3
	s_wait_alu 0xfffe
	s_add_nc_u64 s[22:23], s[8:9], s[20:21]
	global_load_b64 v[34:35], v1, s[22:23]
	s_and_saveexec_b32 s3, s0
	s_cbranch_execz .LBB82_9
; %bb.4:                                ;   in Loop: Header=BB82_3 Depth=1
	s_add_nc_u64 s[20:21], s[6:7], s[20:21]
	v_mov_b32_e32 v38, v70
	global_load_b64 v[36:37], v1, s[20:21]
	s_mov_b32 s18, s1
	s_wait_loadcnt 0x0
	v_add_co_u32 v36, vcc_lo, v36, s14
	s_wait_alu 0xfffd
	v_add_co_ci_u32_e64 v37, null, s15, v37, vcc_lo
	s_delay_alu instid0(VALU_DEP_2) | instskip(SKIP_1) | instid1(VALU_DEP_2)
	v_add_co_u32 v36, vcc_lo, v36, v0
	s_wait_alu 0xfffd
	v_add_co_ci_u32_e64 v37, null, 0, v37, vcc_lo
.LBB82_5:                               ;   Parent Loop BB82_3 Depth=1
                                        ; =>  This Inner Loop Header: Depth=2
	flat_load_b64 v[39:40], v[36:37]
	v_add_co_u32 v36, vcc_lo, v36, s12
	s_wait_alu 0xfffd
	v_add_co_ci_u32_e64 v37, null, s13, v37, vcc_lo
	s_add_co_i32 s18, s18, -1
	s_delay_alu instid0(SALU_CYCLE_1)
	s_cmp_eq_u32 s18, 0
	s_wait_loadcnt_dscnt 0x0
	ds_store_b64 v38, v[39:40]
	v_add_nc_u32_e32 v38, 0x80, v38
	s_cbranch_scc0 .LBB82_5
; %bb.6:                                ;   in Loop: Header=BB82_3 Depth=1
	v_mov_b32_e32 v36, 0
	v_mov_b32_e32 v37, 0x3ff00000
	s_and_b32 vcc_lo, exec_lo, s28
	s_wait_alu 0xfffe
	s_cbranch_vccz .LBB82_8
; %bb.7:                                ;   in Loop: Header=BB82_3 Depth=1
	ds_load_b64 v[36:37], v72
	s_wait_dscnt 0x0
	v_div_scale_f64 v[38:39], null, v[36:37], v[36:37], 1.0
	s_delay_alu instid0(VALU_DEP_1) | instskip(NEXT) | instid1(TRANS32_DEP_1)
	v_rcp_f64_e32 v[40:41], v[38:39]
	v_fma_f64 v[42:43], -v[38:39], v[40:41], 1.0
	s_delay_alu instid0(VALU_DEP_1) | instskip(NEXT) | instid1(VALU_DEP_1)
	v_fma_f64 v[40:41], v[40:41], v[42:43], v[40:41]
	v_fma_f64 v[42:43], -v[38:39], v[40:41], 1.0
	s_delay_alu instid0(VALU_DEP_1) | instskip(SKIP_1) | instid1(VALU_DEP_1)
	v_fma_f64 v[40:41], v[40:41], v[42:43], v[40:41]
	v_div_scale_f64 v[42:43], vcc_lo, 1.0, v[36:37], 1.0
	v_mul_f64_e32 v[44:45], v[42:43], v[40:41]
	s_delay_alu instid0(VALU_DEP_1) | instskip(SKIP_1) | instid1(VALU_DEP_1)
	v_fma_f64 v[38:39], -v[38:39], v[44:45], v[42:43]
	s_wait_alu 0xfffd
	v_div_fmas_f64 v[38:39], v[38:39], v[40:41], v[44:45]
	s_delay_alu instid0(VALU_DEP_1)
	v_div_fixup_f64 v[36:37], v[38:39], v[36:37], 1.0
.LBB82_8:                               ;   in Loop: Header=BB82_3 Depth=1
	ds_store_b64 v72, v[36:37]
.LBB82_9:                               ;   in Loop: Header=BB82_3 Depth=1
	s_wait_alu 0xfffe
	s_or_b32 exec_lo, exec_lo, s3
	s_wait_loadcnt 0x0
	v_add_co_u32 v34, vcc_lo, v34, s10
	s_wait_alu 0xfffd
	v_add_co_ci_u32_e64 v35, null, s11, v35, vcc_lo
	s_delay_alu instid0(VALU_DEP_2) | instskip(SKIP_1) | instid1(VALU_DEP_2)
	v_add_co_u32 v73, vcc_lo, v34, s16
	s_wait_alu 0xfffd
	v_add_co_ci_u32_e64 v74, null, s17, v35, vcc_lo
	s_and_saveexec_b32 s3, s30
	s_cbranch_execz .LBB82_12
; %bb.10:                               ;   in Loop: Header=BB82_3 Depth=1
	v_add_co_u32 v34, vcc_lo, v73, v66
	s_wait_alu 0xfffd
	v_add_co_ci_u32_e64 v35, null, v74, v67, vcc_lo
	v_mov_b32_e32 v36, v71
	s_mov_b32 s18, s1
.LBB82_11:                              ;   Parent Loop BB82_3 Depth=1
                                        ; =>  This Inner Loop Header: Depth=2
	flat_load_b64 v[37:38], v[34:35]
	v_add_co_u32 v34, vcc_lo, v34, 8
	s_wait_alu 0xfffd
	v_add_co_ci_u32_e64 v35, null, 0, v35, vcc_lo
	s_add_co_i32 s18, s18, -1
	s_delay_alu instid0(SALU_CYCLE_1)
	s_cmp_lg_u32 s18, 0
	s_wait_loadcnt_dscnt 0x0
	v_mul_f64_e32 v[37:38], s[4:5], v[37:38]
	ds_store_b64 v36, v[37:38]
	v_add_nc_u32_e32 v36, 0x80, v36
	s_cbranch_scc1 .LBB82_11
.LBB82_12:                              ;   in Loop: Header=BB82_3 Depth=1
	s_wait_alu 0xfffe
	s_or_b32 exec_lo, exec_lo, s3
	s_delay_alu instid0(SALU_CYCLE_1)
	s_and_not1_b32 vcc_lo, exec_lo, s29
	s_mov_b32 s3, -1
	s_wait_dscnt 0x0
	; wave barrier
	global_inv scope:SCOPE_SE
                                        ; implicit-def: $vgpr34_vgpr35_vgpr36_vgpr37_vgpr38_vgpr39_vgpr40_vgpr41_vgpr42_vgpr43_vgpr44_vgpr45_vgpr46_vgpr47_vgpr48_vgpr49_vgpr50_vgpr51_vgpr52_vgpr53_vgpr54_vgpr55_vgpr56_vgpr57_vgpr58_vgpr59_vgpr60_vgpr61_vgpr62_vgpr63_vgpr64_vgpr65
	s_wait_alu 0xfffe
	s_cbranch_vccnz .LBB82_33
; %bb.13:                               ;   in Loop: Header=BB82_3 Depth=1
	v_dual_mov_b32 v65, v33 :: v_dual_mov_b32 v64, v32
	v_dual_mov_b32 v63, v31 :: v_dual_mov_b32 v62, v30
	;; [unrolled: 1-line block ×16, first 2 shown]
	s_mov_b32 s18, 0
	s_delay_alu instid0(SALU_CYCLE_1)
	s_mov_b32 s3, s18
.LBB82_14:                              ;   Parent Loop BB82_3 Depth=1
                                        ; =>  This Loop Header: Depth=2
                                        ;       Child Loop BB82_17 Depth 3
                                        ;         Child Loop BB82_18 Depth 4
                                        ;         Child Loop BB82_21 Depth 4
                                        ;           Child Loop BB82_22 Depth 5
                                        ;         Child Loop BB82_27 Depth 4
                                        ;           Child Loop BB82_29 Depth 5
	s_getpc_b64 s[20:21]
	s_wait_alu 0xfffe
	s_sext_i32_i16 s21, s21
	s_add_co_u32 s20, s20, __const._ZL38rocblas_trsm_small_left_device_sharedBILi16ELi16ELb0EddPKPKdPKPdEv13rocblas_fill_18rocblas_operation_17rocblas_diagonal_iiT3_T4_lilT5_lili.step_sizes@rel32@lo+12
	s_wait_alu 0xfffe
	s_add_co_ci_u32 s21, s21, __const._ZL38rocblas_trsm_small_left_device_sharedBILi16ELi16ELb0EddPKPKdPKPdEv13rocblas_fill_18rocblas_operation_17rocblas_diagonal_iiT3_T4_lilT5_lili.step_sizes@rel32@hi+24
	s_lshl_b64 s[22:23], s[18:19], 2
	s_wait_alu 0xfffe
	s_add_nc_u64 s[20:21], s[20:21], s[22:23]
	s_load_b32 s33, s[20:21], 0x0
	s_wait_kmcnt 0x0
	s_add_co_i32 s34, s33, -1
	s_wait_alu 0xfffe
	s_add_co_i32 s20, s34, s3
	s_wait_alu 0xfffe
	s_cmp_ge_i32 s20, s1
	s_cbranch_scc1 .LBB82_30
; %bb.15:                               ;   in Loop: Header=BB82_14 Depth=2
	s_lshl_b32 s35, s3, 7
	s_max_i32 s36, s33, 1
	s_wait_alu 0xfffe
	v_add_nc_u32_e32 v75, s35, v71
	s_lshl_b32 s37, s33, 7
	s_mul_i32 s38, s3, 0x88
	s_mul_i32 s39, s33, 0x88
	s_branch .LBB82_17
.LBB82_16:                              ;   in Loop: Header=BB82_17 Depth=3
	s_add_co_i32 s3, s3, s33
	v_add_nc_u32_e32 v75, s37, v75
	s_wait_alu 0xfffe
	s_add_co_i32 s20, s34, s3
	s_add_co_i32 s35, s35, s37
	;; [unrolled: 1-line block ×3, first 2 shown]
	s_wait_alu 0xfffe
	s_cmp_ge_i32 s20, s1
	s_cbranch_scc1 .LBB82_30
.LBB82_17:                              ;   Parent Loop BB82_3 Depth=1
                                        ;     Parent Loop BB82_14 Depth=2
                                        ; =>    This Loop Header: Depth=3
                                        ;         Child Loop BB82_18 Depth 4
                                        ;         Child Loop BB82_21 Depth 4
                                        ;           Child Loop BB82_22 Depth 5
                                        ;         Child Loop BB82_27 Depth 4
                                        ;           Child Loop BB82_29 Depth 5
	v_mov_b32_e32 v68, v75
	s_mov_b64 s[20:21], 0
.LBB82_18:                              ;   Parent Loop BB82_3 Depth=1
                                        ;     Parent Loop BB82_14 Depth=2
                                        ;       Parent Loop BB82_17 Depth=3
                                        ; =>      This Inner Loop Header: Depth=4
	ds_load_b64 v[76:77], v68
	v_add_nc_u32_e32 v68, 0x80, v68
	s_wait_alu 0xfffe
	s_lshl_b32 m0, s20, 1
	s_add_nc_u64 s[20:21], s[20:21], 1
	s_wait_alu 0xfffe
	s_cmp_eq_u32 s36, s20
	s_wait_dscnt 0x0
	v_movreld_b32_e32 v34, v76
	v_movreld_b32_e32 v35, v77
	s_cbranch_scc0 .LBB82_18
; %bb.19:                               ;   in Loop: Header=BB82_17 Depth=3
	s_cmp_lt_i32 s3, 1
	s_cbranch_scc1 .LBB82_24
; %bb.20:                               ;   in Loop: Header=BB82_17 Depth=3
	s_mov_b32 s22, 0
	s_mov_b32 s23, s35
.LBB82_21:                              ;   Parent Loop BB82_3 Depth=1
                                        ;     Parent Loop BB82_14 Depth=2
                                        ;       Parent Loop BB82_17 Depth=3
                                        ; =>      This Loop Header: Depth=4
                                        ;           Child Loop BB82_22 Depth 5
	s_wait_alu 0xfffe
	v_lshl_add_u32 v68, s22, 7, v71
	s_mov_b64 s[20:21], 0
	s_mov_b32 s24, s23
	ds_load_b64 v[68:69], v68
.LBB82_22:                              ;   Parent Loop BB82_3 Depth=1
                                        ;     Parent Loop BB82_14 Depth=2
                                        ;       Parent Loop BB82_17 Depth=3
                                        ;         Parent Loop BB82_21 Depth=4
                                        ; =>        This Inner Loop Header: Depth=5
	s_wait_alu 0xfffe
	v_mov_b32_e32 v76, s24
	s_lshl_b32 m0, s20, 1
	s_add_nc_u64 s[20:21], s[20:21], 1
	v_movrels_b32_e32 v79, v35
	v_movrels_b32_e32 v78, v34
	ds_load_b64 v[76:77], v76
	s_addk_co_i32 s24, 0x80
	s_wait_alu 0xfffe
	s_cmp_eq_u32 s36, s20
	s_wait_dscnt 0x0
	v_fma_f64 v[76:77], -v[68:69], v[76:77], v[78:79]
	s_delay_alu instid0(VALU_DEP_1) | instskip(NEXT) | instid1(VALU_DEP_2)
	v_movreld_b32_e32 v34, v76
	v_movreld_b32_e32 v35, v77
	s_cbranch_scc0 .LBB82_22
; %bb.23:                               ;   in Loop: Header=BB82_21 Depth=4
	s_add_co_i32 s22, s22, 1
	s_add_co_i32 s23, s23, 8
	s_wait_alu 0xfffe
	s_cmp_eq_u32 s22, s3
	s_cbranch_scc0 .LBB82_21
.LBB82_24:                              ;   in Loop: Header=BB82_17 Depth=3
	s_lshl_b32 s40, s3, 7
	s_mov_b64 s[20:21], 0
	s_mov_b32 s41, s38
	s_branch .LBB82_27
.LBB82_25:                              ;   in Loop: Header=BB82_27 Depth=4
	s_mov_b32 s43, s3
	s_mov_b64 s[22:23], 0
	s_mov_b32 s42, s40
.LBB82_26:                              ;   in Loop: Header=BB82_27 Depth=4
	s_wait_alu 0xfffe
	s_mul_i32 s23, s43, 0x88
	s_lshl_b32 m0, s22, 1
	s_wait_alu 0xfffe
	v_mov_b32_e32 v68, s23
	v_movrels_b32_e32 v77, v35
	v_movrels_b32_e32 v76, v34
	s_add_nc_u64 s[20:21], s[20:21], 1
	s_addk_co_i32 s41, 0x80
	ds_load_b64 v[68:69], v68
	s_wait_alu 0xfffe
	s_cmp_eq_u32 s20, s36
	s_wait_dscnt 0x0
	v_mul_f64_e32 v[68:69], v[76:77], v[68:69]
	v_add_nc_u32_e32 v76, s42, v71
	s_delay_alu instid0(VALU_DEP_2) | instskip(NEXT) | instid1(VALU_DEP_3)
	v_movreld_b32_e32 v34, v68
	v_movreld_b32_e32 v35, v69
	ds_store_b64 v76, v[68:69]
	s_cbranch_scc1 .LBB82_16
.LBB82_27:                              ;   Parent Loop BB82_3 Depth=1
                                        ;     Parent Loop BB82_14 Depth=2
                                        ;       Parent Loop BB82_17 Depth=3
                                        ; =>      This Loop Header: Depth=4
                                        ;           Child Loop BB82_29 Depth 5
	s_wait_alu 0xfffe
	s_cmp_eq_u32 s20, 0
	s_cbranch_scc1 .LBB82_25
; %bb.28:                               ;   in Loop: Header=BB82_27 Depth=4
	s_add_co_i32 s43, s20, s3
	s_mov_b64 s[22:23], s[20:21]
	s_mov_b64 s[24:25], 0
	s_wait_alu 0xfffe
	s_lshl_b32 s42, s43, 7
	s_lshl_b32 s23, s20, 1
	s_mov_b32 s44, s41
.LBB82_29:                              ;   Parent Loop BB82_3 Depth=1
                                        ;     Parent Loop BB82_14 Depth=2
                                        ;       Parent Loop BB82_17 Depth=3
                                        ;         Parent Loop BB82_27 Depth=4
                                        ; =>        This Inner Loop Header: Depth=5
	s_wait_alu 0xfffe
	v_mov_b32_e32 v68, s44
	s_lshl_b32 m0, s24, 1
	s_add_nc_u64 s[24:25], s[24:25], 1
	v_movrels_b32_e32 v77, v35
	v_movrels_b32_e32 v76, v34
	ds_load_b64 v[68:69], v68
	s_mov_b32 m0, s23
	s_add_co_i32 s44, s44, 8
	v_movrels_b32_e32 v79, v35
	v_movrels_b32_e32 v78, v34
	s_wait_alu 0xfffe
	s_cmp_eq_u32 s20, s24
	s_wait_dscnt 0x0
	s_delay_alu instid0(VALU_DEP_1) | instskip(NEXT) | instid1(VALU_DEP_1)
	v_fma_f64 v[68:69], -v[76:77], v[68:69], v[78:79]
	v_movreld_b32_e32 v34, v68
	s_delay_alu instid0(VALU_DEP_2)
	v_movreld_b32_e32 v35, v69
	s_cbranch_scc0 .LBB82_29
	s_branch .LBB82_26
.LBB82_30:                              ;   in Loop: Header=BB82_14 Depth=2
	s_cmp_lt_i32 s3, s1
	s_cselect_b32 s21, -1, 0
	s_add_co_i32 s20, s18, 1
	s_cmp_lt_u32 s18, 2
	s_cselect_b32 s18, -1, 0
	s_wait_alu 0xfffe
	s_and_b32 s18, s21, s18
	s_delay_alu instid0(SALU_CYCLE_1)
	s_and_b32 vcc_lo, exec_lo, s18
	s_wait_alu 0xfffe
	s_cbranch_vccz .LBB82_32
; %bb.31:                               ;   in Loop: Header=BB82_14 Depth=2
	s_mov_b32 s18, s20
	s_branch .LBB82_14
.LBB82_32:                              ;   in Loop: Header=BB82_3 Depth=1
	s_mov_b32 s3, 0
.LBB82_33:                              ;   in Loop: Header=BB82_3 Depth=1
	s_wait_alu 0xfffe
	s_and_b32 vcc_lo, exec_lo, s3
	s_wait_alu 0xfffe
	s_cbranch_vccz .LBB82_53
; %bb.34:                               ;   in Loop: Header=BB82_3 Depth=1
	s_mov_b32 s18, 0
	s_mov_b32 s3, s27
.LBB82_35:                              ;   Parent Loop BB82_3 Depth=1
                                        ; =>  This Loop Header: Depth=2
                                        ;       Child Loop BB82_38 Depth 3
                                        ;         Child Loop BB82_39 Depth 4
                                        ;         Child Loop BB82_41 Depth 4
                                        ;           Child Loop BB82_42 Depth 5
                                        ;         Child Loop BB82_47 Depth 4
                                        ;           Child Loop BB82_49 Depth 5
	s_getpc_b64 s[20:21]
	s_wait_alu 0xfffe
	s_sext_i32_i16 s21, s21
	s_add_co_u32 s20, s20, __const._ZL38rocblas_trsm_small_left_device_sharedBILi16ELi16ELb0EddPKPKdPKPdEv13rocblas_fill_18rocblas_operation_17rocblas_diagonal_iiT3_T4_lilT5_lili.step_sizes@rel32@lo+12
	s_wait_alu 0xfffe
	s_add_co_ci_u32 s21, s21, __const._ZL38rocblas_trsm_small_left_device_sharedBILi16ELi16ELb0EddPKPKdPKPdEv13rocblas_fill_18rocblas_operation_17rocblas_diagonal_iiT3_T4_lilT5_lili.step_sizes@rel32@hi+24
	s_lshl_b64 s[22:23], s[18:19], 2
	s_wait_alu 0xfffe
	s_add_nc_u64 s[20:21], s[20:21], s[22:23]
	s_load_b32 s33, s[20:21], 0x0
	s_wait_kmcnt 0x0
	s_add_co_i32 s34, s33, -1
	s_wait_alu 0xfffe
	s_cmp_lt_i32 s3, s34
	s_cbranch_scc1 .LBB82_50
; %bb.36:                               ;   in Loop: Header=BB82_35 Depth=2
	s_lshl_b32 s20, s33, 7
	v_lshl_add_u32 v36, s3, 7, v71
	s_wait_alu 0xfffe
	s_sub_co_i32 s36, 0, s20
	s_lshl_b32 s20, s3, 3
	s_lshl_b32 s21, s33, 3
	s_max_i32 s35, s33, 1
	s_wait_alu 0xfffe
	s_add_co_i32 s37, s31, s20
	s_sub_co_i32 s38, 0, s21
	s_mul_i32 s39, s3, 0x88
	s_mul_i32 s40, s33, 0xffffff78
	s_branch .LBB82_38
.LBB82_37:                              ;   in Loop: Header=BB82_38 Depth=3
	v_add_nc_u32_e32 v36, s36, v36
	s_sub_co_i32 s3, s3, s33
	s_add_co_i32 s37, s37, s38
	s_add_co_i32 s39, s39, s40
	s_wait_alu 0xfffe
	s_cmp_lt_i32 s3, s34
	s_cbranch_scc1 .LBB82_50
.LBB82_38:                              ;   Parent Loop BB82_3 Depth=1
                                        ;     Parent Loop BB82_35 Depth=2
                                        ; =>    This Loop Header: Depth=3
                                        ;         Child Loop BB82_39 Depth 4
                                        ;         Child Loop BB82_41 Depth 4
                                        ;           Child Loop BB82_42 Depth 5
                                        ;         Child Loop BB82_47 Depth 4
                                        ;           Child Loop BB82_49 Depth 5
	v_mov_b32_e32 v34, v36
	s_mov_b64 s[20:21], 0
.LBB82_39:                              ;   Parent Loop BB82_3 Depth=1
                                        ;     Parent Loop BB82_35 Depth=2
                                        ;       Parent Loop BB82_38 Depth=3
                                        ; =>      This Inner Loop Header: Depth=4
	ds_load_b64 v[37:38], v34
	v_add_nc_u32_e32 v34, 0xffffff80, v34
	s_wait_alu 0xfffe
	s_lshl_b32 m0, s20, 1
	s_add_nc_u64 s[20:21], s[20:21], 1
	s_wait_alu 0xfffe
	s_cmp_eq_u32 s35, s20
	s_wait_dscnt 0x0
	v_movreld_b32_e32 v2, v37
	v_movreld_b32_e32 v3, v38
	s_cbranch_scc0 .LBB82_39
; %bb.40:                               ;   in Loop: Header=BB82_38 Depth=3
	s_cmp_le_i32 s27, s3
	s_mov_b32 s22, s37
	s_mov_b32 s23, s27
	s_cbranch_scc1 .LBB82_44
.LBB82_41:                              ;   Parent Loop BB82_3 Depth=1
                                        ;     Parent Loop BB82_35 Depth=2
                                        ;       Parent Loop BB82_38 Depth=3
                                        ; =>      This Loop Header: Depth=4
                                        ;           Child Loop BB82_42 Depth 5
	s_wait_alu 0xfffe
	v_lshl_add_u32 v34, s23, 7, v71
	s_mov_b64 s[20:21], 0
	s_mov_b32 s24, s22
	ds_load_b64 v[34:35], v34
.LBB82_42:                              ;   Parent Loop BB82_3 Depth=1
                                        ;     Parent Loop BB82_35 Depth=2
                                        ;       Parent Loop BB82_38 Depth=3
                                        ;         Parent Loop BB82_41 Depth=4
                                        ; =>        This Inner Loop Header: Depth=5
	s_wait_alu 0xfffe
	v_mov_b32_e32 v37, s24
	s_lshl_b32 m0, s20, 1
	s_add_nc_u64 s[20:21], s[20:21], 1
	v_movrels_b32_e32 v40, v3
	v_movrels_b32_e32 v39, v2
	ds_load_b64 v[37:38], v37
	s_add_co_i32 s24, s24, -8
	s_wait_alu 0xfffe
	s_cmp_eq_u32 s35, s20
	s_wait_dscnt 0x0
	v_fma_f64 v[37:38], -v[34:35], v[37:38], v[39:40]
	s_delay_alu instid0(VALU_DEP_1) | instskip(NEXT) | instid1(VALU_DEP_2)
	v_movreld_b32_e32 v2, v37
	v_movreld_b32_e32 v3, v38
	s_cbranch_scc0 .LBB82_42
; %bb.43:                               ;   in Loop: Header=BB82_41 Depth=4
	s_add_co_i32 s23, s23, -1
	s_addk_co_i32 s22, 0xff80
	s_wait_alu 0xfffe
	s_cmp_le_i32 s23, s3
	s_cbranch_scc0 .LBB82_41
.LBB82_44:                              ;   in Loop: Header=BB82_38 Depth=3
	s_mov_b64 s[20:21], 0
	s_mov_b32 s41, s39
	s_branch .LBB82_47
.LBB82_45:                              ;   in Loop: Header=BB82_47 Depth=4
	s_mov_b32 s42, s3
	s_mov_b64 s[22:23], 0
.LBB82_46:                              ;   in Loop: Header=BB82_47 Depth=4
	s_wait_alu 0xfffe
	s_mul_i32 s23, s42, 0x88
	s_lshl_b32 m0, s22, 1
	s_wait_alu 0xfffe
	v_mov_b32_e32 v34, s23
	v_movrels_b32_e32 v38, v3
	v_movrels_b32_e32 v37, v2
	s_add_nc_u64 s[20:21], s[20:21], 1
	s_add_co_i32 s41, s41, -8
	ds_load_b64 v[34:35], v34
	s_wait_alu 0xfffe
	s_cmp_eq_u32 s20, s35
	s_wait_dscnt 0x0
	v_mul_f64_e32 v[34:35], v[37:38], v[34:35]
	v_lshl_add_u32 v37, s42, 7, v71
	s_delay_alu instid0(VALU_DEP_2) | instskip(NEXT) | instid1(VALU_DEP_3)
	v_movreld_b32_e32 v2, v34
	v_movreld_b32_e32 v3, v35
	ds_store_b64 v37, v[34:35]
	s_cbranch_scc1 .LBB82_37
.LBB82_47:                              ;   Parent Loop BB82_3 Depth=1
                                        ;     Parent Loop BB82_35 Depth=2
                                        ;       Parent Loop BB82_38 Depth=3
                                        ; =>      This Loop Header: Depth=4
                                        ;           Child Loop BB82_49 Depth 5
	s_wait_alu 0xfffe
	s_cmp_eq_u32 s20, 0
	s_cbranch_scc1 .LBB82_45
; %bb.48:                               ;   in Loop: Header=BB82_47 Depth=4
	s_mov_b64 s[22:23], s[20:21]
	s_sub_co_i32 s42, s3, s20
	s_mov_b64 s[24:25], 0
	s_lshl_b32 s23, s20, 1
	s_mov_b32 s43, s41
.LBB82_49:                              ;   Parent Loop BB82_3 Depth=1
                                        ;     Parent Loop BB82_35 Depth=2
                                        ;       Parent Loop BB82_38 Depth=3
                                        ;         Parent Loop BB82_47 Depth=4
                                        ; =>        This Inner Loop Header: Depth=5
	s_wait_alu 0xfffe
	v_mov_b32_e32 v34, s43
	s_lshl_b32 m0, s24, 1
	s_add_nc_u64 s[24:25], s[24:25], 1
	v_movrels_b32_e32 v38, v3
	v_movrels_b32_e32 v37, v2
	ds_load_b64 v[34:35], v34
	s_mov_b32 m0, s23
	s_addk_co_i32 s43, 0xff80
	v_movrels_b32_e32 v40, v3
	v_movrels_b32_e32 v39, v2
	s_wait_alu 0xfffe
	s_cmp_eq_u32 s20, s24
	s_wait_dscnt 0x0
	s_delay_alu instid0(VALU_DEP_1) | instskip(NEXT) | instid1(VALU_DEP_1)
	v_fma_f64 v[34:35], -v[37:38], v[34:35], v[39:40]
	v_movreld_b32_e32 v2, v34
	s_delay_alu instid0(VALU_DEP_2)
	v_movreld_b32_e32 v3, v35
	s_cbranch_scc0 .LBB82_49
	s_branch .LBB82_46
.LBB82_50:                              ;   in Loop: Header=BB82_35 Depth=2
	s_cmp_gt_i32 s3, -1
	s_cselect_b32 s21, -1, 0
	s_add_co_i32 s20, s18, 1
	s_cmp_lt_u32 s18, 2
	s_cselect_b32 s18, -1, 0
	s_wait_alu 0xfffe
	s_and_b32 s18, s21, s18
	s_delay_alu instid0(SALU_CYCLE_1)
	s_and_not1_b32 vcc_lo, exec_lo, s18
	s_wait_alu 0xfffe
	s_cbranch_vccnz .LBB82_52
; %bb.51:                               ;   in Loop: Header=BB82_35 Depth=2
	s_mov_b32 s18, s20
	s_branch .LBB82_35
.LBB82_52:                              ;   in Loop: Header=BB82_3 Depth=1
	v_dual_mov_b32 v65, v33 :: v_dual_mov_b32 v64, v32
	v_dual_mov_b32 v63, v31 :: v_dual_mov_b32 v62, v30
	;; [unrolled: 1-line block ×16, first 2 shown]
.LBB82_53:                              ;   in Loop: Header=BB82_3 Depth=1
	; wave barrier
	s_wait_loadcnt_dscnt 0x0
	global_inv scope:SCOPE_SE
	s_and_saveexec_b32 s3, s30
	s_cbranch_execz .LBB82_2
; %bb.54:                               ;   in Loop: Header=BB82_3 Depth=1
	v_add_co_u32 v2, vcc_lo, v73, v66
	s_wait_alu 0xfffd
	v_add_co_ci_u32_e64 v3, null, v74, v67, vcc_lo
	v_mov_b32_e32 v4, v71
	s_mov_b32 s18, s1
.LBB82_55:                              ;   Parent Loop BB82_3 Depth=1
                                        ; =>  This Inner Loop Header: Depth=2
	ds_load_b64 v[5:6], v4
	v_add_nc_u32_e32 v4, 0x80, v4
	s_add_co_i32 s18, s18, -1
	s_delay_alu instid0(SALU_CYCLE_1)
	s_cmp_lg_u32 s18, 0
	s_wait_dscnt 0x0
	flat_store_b64 v[2:3], v[5:6]
	v_add_co_u32 v2, vcc_lo, v2, 8
	s_wait_alu 0xfffd
	v_add_co_ci_u32_e64 v3, null, 0, v3, vcc_lo
	s_cbranch_scc1 .LBB82_55
	s_branch .LBB82_2
.LBB82_56:
	s_endpgm
	.section	.rodata,"a",@progbits
	.p2align	6, 0x0
	.amdhsa_kernel _ZL38rocblas_trsm_small_left_device_sharedBILi16ELi16ELb0EddPKPKdPKPdEv13rocblas_fill_18rocblas_operation_17rocblas_diagonal_iiT3_T4_lilT5_lili
		.amdhsa_group_segment_fixed_size 4096
		.amdhsa_private_segment_fixed_size 0
		.amdhsa_kernarg_size 360
		.amdhsa_user_sgpr_count 2
		.amdhsa_user_sgpr_dispatch_ptr 0
		.amdhsa_user_sgpr_queue_ptr 0
		.amdhsa_user_sgpr_kernarg_segment_ptr 1
		.amdhsa_user_sgpr_dispatch_id 0
		.amdhsa_user_sgpr_private_segment_size 0
		.amdhsa_wavefront_size32 1
		.amdhsa_uses_dynamic_stack 0
		.amdhsa_enable_private_segment 0
		.amdhsa_system_sgpr_workgroup_id_x 1
		.amdhsa_system_sgpr_workgroup_id_y 0
		.amdhsa_system_sgpr_workgroup_id_z 1
		.amdhsa_system_sgpr_workgroup_info 0
		.amdhsa_system_vgpr_workitem_id 0
		.amdhsa_next_free_vgpr 169
		.amdhsa_next_free_sgpr 45
		.amdhsa_reserve_vcc 1
		.amdhsa_float_round_mode_32 0
		.amdhsa_float_round_mode_16_64 0
		.amdhsa_float_denorm_mode_32 3
		.amdhsa_float_denorm_mode_16_64 3
		.amdhsa_fp16_overflow 0
		.amdhsa_workgroup_processor_mode 1
		.amdhsa_memory_ordered 1
		.amdhsa_forward_progress 1
		.amdhsa_inst_pref_size 23
		.amdhsa_round_robin_scheduling 0
		.amdhsa_exception_fp_ieee_invalid_op 0
		.amdhsa_exception_fp_denorm_src 0
		.amdhsa_exception_fp_ieee_div_zero 0
		.amdhsa_exception_fp_ieee_overflow 0
		.amdhsa_exception_fp_ieee_underflow 0
		.amdhsa_exception_fp_ieee_inexact 0
		.amdhsa_exception_int_div_zero 0
	.end_amdhsa_kernel
	.section	.text._ZL38rocblas_trsm_small_left_device_sharedBILi16ELi16ELb0EddPKPKdPKPdEv13rocblas_fill_18rocblas_operation_17rocblas_diagonal_iiT3_T4_lilT5_lili,"axG",@progbits,_ZL38rocblas_trsm_small_left_device_sharedBILi16ELi16ELb0EddPKPKdPKPdEv13rocblas_fill_18rocblas_operation_17rocblas_diagonal_iiT3_T4_lilT5_lili,comdat
.Lfunc_end82:
	.size	_ZL38rocblas_trsm_small_left_device_sharedBILi16ELi16ELb0EddPKPKdPKPdEv13rocblas_fill_18rocblas_operation_17rocblas_diagonal_iiT3_T4_lilT5_lili, .Lfunc_end82-_ZL38rocblas_trsm_small_left_device_sharedBILi16ELi16ELb0EddPKPKdPKPdEv13rocblas_fill_18rocblas_operation_17rocblas_diagonal_iiT3_T4_lilT5_lili
                                        ; -- End function
	.set _ZL38rocblas_trsm_small_left_device_sharedBILi16ELi16ELb0EddPKPKdPKPdEv13rocblas_fill_18rocblas_operation_17rocblas_diagonal_iiT3_T4_lilT5_lili.num_vgpr, 80
	.set _ZL38rocblas_trsm_small_left_device_sharedBILi16ELi16ELb0EddPKPKdPKPdEv13rocblas_fill_18rocblas_operation_17rocblas_diagonal_iiT3_T4_lilT5_lili.num_agpr, 0
	.set _ZL38rocblas_trsm_small_left_device_sharedBILi16ELi16ELb0EddPKPKdPKPdEv13rocblas_fill_18rocblas_operation_17rocblas_diagonal_iiT3_T4_lilT5_lili.numbered_sgpr, 45
	.set _ZL38rocblas_trsm_small_left_device_sharedBILi16ELi16ELb0EddPKPKdPKPdEv13rocblas_fill_18rocblas_operation_17rocblas_diagonal_iiT3_T4_lilT5_lili.num_named_barrier, 0
	.set _ZL38rocblas_trsm_small_left_device_sharedBILi16ELi16ELb0EddPKPKdPKPdEv13rocblas_fill_18rocblas_operation_17rocblas_diagonal_iiT3_T4_lilT5_lili.private_seg_size, 0
	.set _ZL38rocblas_trsm_small_left_device_sharedBILi16ELi16ELb0EddPKPKdPKPdEv13rocblas_fill_18rocblas_operation_17rocblas_diagonal_iiT3_T4_lilT5_lili.uses_vcc, 1
	.set _ZL38rocblas_trsm_small_left_device_sharedBILi16ELi16ELb0EddPKPKdPKPdEv13rocblas_fill_18rocblas_operation_17rocblas_diagonal_iiT3_T4_lilT5_lili.uses_flat_scratch, 0
	.set _ZL38rocblas_trsm_small_left_device_sharedBILi16ELi16ELb0EddPKPKdPKPdEv13rocblas_fill_18rocblas_operation_17rocblas_diagonal_iiT3_T4_lilT5_lili.has_dyn_sized_stack, 0
	.set _ZL38rocblas_trsm_small_left_device_sharedBILi16ELi16ELb0EddPKPKdPKPdEv13rocblas_fill_18rocblas_operation_17rocblas_diagonal_iiT3_T4_lilT5_lili.has_recursion, 0
	.set _ZL38rocblas_trsm_small_left_device_sharedBILi16ELi16ELb0EddPKPKdPKPdEv13rocblas_fill_18rocblas_operation_17rocblas_diagonal_iiT3_T4_lilT5_lili.has_indirect_call, 0
	.section	.AMDGPU.csdata,"",@progbits
; Kernel info:
; codeLenInByte = 2932
; TotalNumSgprs: 47
; NumVgprs: 80
; ScratchSize: 0
; MemoryBound: 0
; FloatMode: 240
; IeeeMode: 1
; LDSByteSize: 4096 bytes/workgroup (compile time only)
; SGPRBlocks: 0
; VGPRBlocks: 21
; NumSGPRsForWavesPerEU: 47
; NumVGPRsForWavesPerEU: 169
; Occupancy: 8
; WaveLimiterHint : 0
; COMPUTE_PGM_RSRC2:SCRATCH_EN: 0
; COMPUTE_PGM_RSRC2:USER_SGPR: 2
; COMPUTE_PGM_RSRC2:TRAP_HANDLER: 0
; COMPUTE_PGM_RSRC2:TGID_X_EN: 1
; COMPUTE_PGM_RSRC2:TGID_Y_EN: 0
; COMPUTE_PGM_RSRC2:TGID_Z_EN: 1
; COMPUTE_PGM_RSRC2:TIDIG_COMP_CNT: 0
	.section	.text._ZL30rocblas_trsm_small_left_deviceILi16ELi16ELb0EddPKPKdPKPdEv13rocblas_fill_18rocblas_operation_17rocblas_diagonal_iiT3_T4_lilT5_lili,"axG",@progbits,_ZL30rocblas_trsm_small_left_deviceILi16ELi16ELb0EddPKPKdPKPdEv13rocblas_fill_18rocblas_operation_17rocblas_diagonal_iiT3_T4_lilT5_lili,comdat
	.globl	_ZL30rocblas_trsm_small_left_deviceILi16ELi16ELb0EddPKPKdPKPdEv13rocblas_fill_18rocblas_operation_17rocblas_diagonal_iiT3_T4_lilT5_lili ; -- Begin function _ZL30rocblas_trsm_small_left_deviceILi16ELi16ELb0EddPKPKdPKPdEv13rocblas_fill_18rocblas_operation_17rocblas_diagonal_iiT3_T4_lilT5_lili
	.p2align	8
	.type	_ZL30rocblas_trsm_small_left_deviceILi16ELi16ELb0EddPKPKdPKPdEv13rocblas_fill_18rocblas_operation_17rocblas_diagonal_iiT3_T4_lilT5_lili,@function
_ZL30rocblas_trsm_small_left_deviceILi16ELi16ELb0EddPKPKdPKPdEv13rocblas_fill_18rocblas_operation_17rocblas_diagonal_iiT3_T4_lilT5_lili: ; @_ZL30rocblas_trsm_small_left_deviceILi16ELi16ELb0EddPKPKdPKPdEv13rocblas_fill_18rocblas_operation_17rocblas_diagonal_iiT3_T4_lilT5_lili
; %bb.0:
	s_load_b32 s33, s[0:1], 0x60
	s_lshr_b32 s2, ttmp7, 16
	s_wait_kmcnt 0x0
	s_cmp_ge_u32 s2, s33
	s_cbranch_scc1 .LBB83_53
; %bb.1:
	s_clause 0x5
	s_load_b96 s[16:18], s[0:1], 0x28
	s_load_b128 s[12:15], s[0:1], 0x4
	s_load_b32 s3, s[0:1], 0x68
	s_load_b32 s20, s[0:1], 0x50
	s_load_b128 s[4:7], s[0:1], 0x18
	s_load_b128 s[8:11], s[0:1], 0x40
	s_lshl_b32 s0, ttmp9, 4
	v_dual_mov_b32 v1, 0 :: v_dual_lshlrev_b32 v74, 3, v0
	v_or_b32_e32 v2, s0, v0
	v_lshlrev_b32_e32 v34, 7, v0
	s_mov_b32 s41, 0
	s_delay_alu instid0(VALU_DEP_3)
	v_mov_b32_e32 v32, v1
	v_dual_mov_b32 v4, v1 :: v_dual_mov_b32 v7, v1
	v_dual_mov_b32 v6, v1 :: v_dual_mov_b32 v9, v1
	v_dual_mov_b32 v8, v1 :: v_dual_mov_b32 v11, v1
	s_wait_kmcnt 0x0
	s_ashr_i32 s19, s18, 31
	s_min_i32 s36, s14, 16
	s_add_co_i32 s3, s3, -1
	v_mad_co_i64_i32 v[2:3], null, s20, v2, 0
	s_sub_co_i32 s0, s15, s0
	s_add_co_i32 s37, s36, -1
	s_wait_alu 0xfffe
	s_cmp_ge_u32 ttmp9, s3
	v_dual_mov_b32 v10, v1 :: v_dual_mov_b32 v13, v1
	s_cselect_b32 s1, s0, 16
	s_cmp_lg_u32 s13, 0x84
	v_lshlrev_b64_e32 v[66:67], 3, v[2:3]
	s_cselect_b32 s38, -1, 0
	s_cmp_lg_u32 s12, 0x6f
	v_dual_mov_b32 v2, v1 :: v_dual_mov_b32 v5, v1
	s_cselect_b32 s39, -1, 0
	s_lshl_b64 s[10:11], s[10:11], 3
	v_dual_mov_b32 v3, v1 :: v_dual_mov_b32 v12, v1
	v_dual_mov_b32 v15, v1 :: v_dual_mov_b32 v14, v1
	;; [unrolled: 1-line block ×10, first 2 shown]
	v_add_nc_u32_e32 v77, v74, v34
	v_add_co_u32 v75, vcc_lo, v66, s10
	v_cmp_gt_i32_e64 s0, s36, v0
	s_wait_alu 0xfffe
	v_cmp_gt_i32_e64 s1, s1, v0
	v_dual_mov_b32 v33, v32 :: v_dual_lshlrev_b32 v0, 3, v0
	v_add_co_ci_u32_e64 v76, null, s11, v67, vcc_lo
	v_mov_b32_e32 v32, v31
	v_mov_b32_e32 v31, v30
	;; [unrolled: 1-line block ×31, first 2 shown]
	s_lshl_b32 s40, s36, 7
	s_lshl_b64 s[12:13], s[18:19], 3
	s_addk_co_i32 s40, 0xff80
	s_mov_b32 s15, 0
	s_lshl_b64 s[16:17], s[16:17], 3
	s_branch .LBB83_5
.LBB83_2:                               ;   in Loop: Header=BB83_5 Depth=1
	v_dual_mov_b32 v65, v33 :: v_dual_mov_b32 v64, v32
	v_dual_mov_b32 v63, v31 :: v_dual_mov_b32 v62, v30
	;; [unrolled: 1-line block ×16, first 2 shown]
.LBB83_3:                               ;   in Loop: Header=BB83_5 Depth=1
	s_add_co_i32 s2, s2, 0x10000
	s_delay_alu instid0(SALU_CYCLE_1) | instskip(SKIP_1) | instid1(SALU_CYCLE_1)
	s_cmp_ge_u32 s2, s33
	s_cselect_b32 s14, -1, 0
	s_or_not1_b32 s14, s14, exec_lo
.LBB83_4:                               ;   in Loop: Header=BB83_5 Depth=1
	s_or_b32 exec_lo, exec_lo, s3
	v_dual_mov_b32 v2, v34 :: v_dual_mov_b32 v3, v35
	v_dual_mov_b32 v4, v36 :: v_dual_mov_b32 v5, v37
	;; [unrolled: 1-line block ×16, first 2 shown]
	s_and_b32 s3, exec_lo, s14
	s_delay_alu instid0(SALU_CYCLE_1) | instskip(NEXT) | instid1(SALU_CYCLE_1)
	s_or_b32 s41, s3, s41
	s_and_not1_b32 exec_lo, exec_lo, s41
	s_cbranch_execz .LBB83_53
.LBB83_5:                               ; =>This Loop Header: Depth=1
                                        ;     Child Loop BB83_7 Depth 2
                                        ;     Child Loop BB83_14 Depth 2
                                        ;       Child Loop BB83_17 Depth 3
                                        ;         Child Loop BB83_18 Depth 4
                                        ;         Child Loop BB83_21 Depth 4
                                        ;           Child Loop BB83_22 Depth 5
                                        ;         Child Loop BB83_27 Depth 4
                                        ;           Child Loop BB83_29 Depth 5
                                        ;     Child Loop BB83_35 Depth 2
                                        ;       Child Loop BB83_38 Depth 3
                                        ;         Child Loop BB83_39 Depth 4
                                        ;         Child Loop BB83_41 Depth 4
                                        ;           Child Loop BB83_42 Depth 5
                                        ;         Child Loop BB83_47 Depth 4
                                        ;           Child Loop BB83_49 Depth 5
	s_mov_b32 s3, s15
	s_delay_alu instid0(SALU_CYCLE_1) | instskip(NEXT) | instid1(SALU_CYCLE_1)
	s_lshl_b64 s[18:19], s[2:3], 3
	s_add_nc_u64 s[20:21], s[8:9], s[18:19]
	global_load_b64 v[68:69], v1, s[20:21]
	s_and_saveexec_b32 s3, s0
	s_cbranch_execz .LBB83_11
; %bb.6:                                ;   in Loop: Header=BB83_5 Depth=1
	s_add_nc_u64 s[18:19], s[6:7], s[18:19]
	v_mov_b32_e32 v36, v74
	global_load_b64 v[34:35], v1, s[18:19]
	s_mov_b32 s14, s36
	s_wait_loadcnt 0x0
	v_add_co_u32 v34, vcc_lo, v34, s16
	s_wait_alu 0xfffd
	v_add_co_ci_u32_e64 v35, null, s17, v35, vcc_lo
	s_delay_alu instid0(VALU_DEP_2) | instskip(SKIP_1) | instid1(VALU_DEP_2)
	v_add_co_u32 v34, vcc_lo, v34, v0
	s_wait_alu 0xfffd
	v_add_co_ci_u32_e64 v35, null, 0, v35, vcc_lo
.LBB83_7:                               ;   Parent Loop BB83_5 Depth=1
                                        ; =>  This Inner Loop Header: Depth=2
	flat_load_b64 v[37:38], v[34:35]
	v_add_co_u32 v34, vcc_lo, v34, s12
	s_wait_alu 0xfffd
	v_add_co_ci_u32_e64 v35, null, s13, v35, vcc_lo
	s_add_co_i32 s14, s14, -1
	s_delay_alu instid0(SALU_CYCLE_1)
	s_cmp_eq_u32 s14, 0
	s_wait_loadcnt_dscnt 0x0
	ds_store_b64 v36, v[37:38]
	v_add_nc_u32_e32 v36, 0x80, v36
	s_cbranch_scc0 .LBB83_7
; %bb.8:                                ;   in Loop: Header=BB83_5 Depth=1
	v_mov_b32_e32 v34, 0
	v_mov_b32_e32 v35, 0x3ff00000
	s_and_b32 vcc_lo, exec_lo, s38
	s_wait_alu 0xfffe
	s_cbranch_vccz .LBB83_10
; %bb.9:                                ;   in Loop: Header=BB83_5 Depth=1
	ds_load_b64 v[34:35], v77
	s_wait_dscnt 0x0
	v_div_scale_f64 v[36:37], null, v[34:35], v[34:35], 1.0
	s_delay_alu instid0(VALU_DEP_1) | instskip(NEXT) | instid1(TRANS32_DEP_1)
	v_rcp_f64_e32 v[38:39], v[36:37]
	v_fma_f64 v[40:41], -v[36:37], v[38:39], 1.0
	s_delay_alu instid0(VALU_DEP_1) | instskip(NEXT) | instid1(VALU_DEP_1)
	v_fma_f64 v[38:39], v[38:39], v[40:41], v[38:39]
	v_fma_f64 v[40:41], -v[36:37], v[38:39], 1.0
	s_delay_alu instid0(VALU_DEP_1) | instskip(SKIP_1) | instid1(VALU_DEP_1)
	v_fma_f64 v[38:39], v[38:39], v[40:41], v[38:39]
	v_div_scale_f64 v[40:41], vcc_lo, 1.0, v[34:35], 1.0
	v_mul_f64_e32 v[42:43], v[40:41], v[38:39]
	s_delay_alu instid0(VALU_DEP_1) | instskip(SKIP_1) | instid1(VALU_DEP_1)
	v_fma_f64 v[36:37], -v[36:37], v[42:43], v[40:41]
	s_wait_alu 0xfffd
	v_div_fmas_f64 v[36:37], v[36:37], v[38:39], v[42:43]
	s_delay_alu instid0(VALU_DEP_1)
	v_div_fixup_f64 v[34:35], v[36:37], v[34:35], 1.0
.LBB83_10:                              ;   in Loop: Header=BB83_5 Depth=1
	ds_store_b64 v77, v[34:35]
.LBB83_11:                              ;   in Loop: Header=BB83_5 Depth=1
	s_or_b32 exec_lo, exec_lo, s3
	s_mov_b32 s14, -1
	; wave barrier
	s_wait_loadcnt_dscnt 0x0
	global_inv scope:SCOPE_SE
                                        ; implicit-def: $vgpr34_vgpr35_vgpr36_vgpr37_vgpr38_vgpr39_vgpr40_vgpr41_vgpr42_vgpr43_vgpr44_vgpr45_vgpr46_vgpr47_vgpr48_vgpr49_vgpr50_vgpr51_vgpr52_vgpr53_vgpr54_vgpr55_vgpr56_vgpr57_vgpr58_vgpr59_vgpr60_vgpr61_vgpr62_vgpr63_vgpr64_vgpr65
	s_and_saveexec_b32 s3, s1
	s_cbranch_execz .LBB83_4
; %bb.12:                               ;   in Loop: Header=BB83_5 Depth=1
	v_add_co_u32 v34, vcc_lo, v68, s10
	s_wait_alu 0xfffd
	v_add_co_ci_u32_e64 v35, null, s11, v69, vcc_lo
	s_delay_alu instid0(VALU_DEP_2) | instskip(SKIP_1) | instid1(VALU_DEP_2)
	v_add_co_u32 v78, vcc_lo, v34, v66
	s_wait_alu 0xfffd
	v_add_co_ci_u32_e64 v79, null, v35, v67, vcc_lo
	s_and_not1_b32 vcc_lo, exec_lo, s39
                                        ; implicit-def: $vgpr34_vgpr35_vgpr36_vgpr37_vgpr38_vgpr39_vgpr40_vgpr41_vgpr42_vgpr43_vgpr44_vgpr45_vgpr46_vgpr47_vgpr48_vgpr49_vgpr50_vgpr51_vgpr52_vgpr53_vgpr54_vgpr55_vgpr56_vgpr57_vgpr58_vgpr59_vgpr60_vgpr61_vgpr62_vgpr63_vgpr64_vgpr65
	s_wait_alu 0xfffe
	s_cbranch_vccnz .LBB83_33
; %bb.13:                               ;   in Loop: Header=BB83_5 Depth=1
	v_add_co_u32 v80, vcc_lo, v68, v75
	v_dual_mov_b32 v65, v33 :: v_dual_mov_b32 v64, v32
	v_dual_mov_b32 v63, v31 :: v_dual_mov_b32 v62, v30
	v_dual_mov_b32 v61, v29 :: v_dual_mov_b32 v60, v28
	v_dual_mov_b32 v59, v27 :: v_dual_mov_b32 v58, v26
	v_dual_mov_b32 v57, v25 :: v_dual_mov_b32 v56, v24
	v_dual_mov_b32 v55, v23 :: v_dual_mov_b32 v54, v22
	v_dual_mov_b32 v53, v21 :: v_dual_mov_b32 v52, v20
	v_dual_mov_b32 v51, v19 :: v_dual_mov_b32 v50, v18
	v_dual_mov_b32 v49, v17 :: v_dual_mov_b32 v48, v16
	v_dual_mov_b32 v47, v15 :: v_dual_mov_b32 v46, v14
	v_dual_mov_b32 v45, v13 :: v_dual_mov_b32 v44, v12
	v_dual_mov_b32 v43, v11 :: v_dual_mov_b32 v42, v10
	v_dual_mov_b32 v41, v9 :: v_dual_mov_b32 v40, v8
	v_dual_mov_b32 v39, v7 :: v_dual_mov_b32 v38, v6
	v_dual_mov_b32 v37, v5 :: v_dual_mov_b32 v36, v4
	v_dual_mov_b32 v35, v3 :: v_dual_mov_b32 v34, v2
	s_wait_alu 0xfffd
	v_add_co_ci_u32_e64 v81, null, v69, v76, vcc_lo
	s_mov_b32 s20, 0
	s_mov_b32 s18, 0
.LBB83_14:                              ;   Parent Loop BB83_5 Depth=1
                                        ; =>  This Loop Header: Depth=2
                                        ;       Child Loop BB83_17 Depth 3
                                        ;         Child Loop BB83_18 Depth 4
                                        ;         Child Loop BB83_21 Depth 4
                                        ;           Child Loop BB83_22 Depth 5
                                        ;         Child Loop BB83_27 Depth 4
                                        ;           Child Loop BB83_29 Depth 5
	s_mov_b32 s21, s15
	s_getpc_b64 s[22:23]
	s_wait_alu 0xfffe
	s_sext_i32_i16 s23, s23
	s_add_co_u32 s22, s22, __const._ZL30rocblas_trsm_small_left_deviceILi16ELi16ELb0EddPKPKdPKPdEv13rocblas_fill_18rocblas_operation_17rocblas_diagonal_iiT3_T4_lilT5_lili.step_sizes@rel32@lo+12
	s_wait_alu 0xfffe
	s_add_co_ci_u32 s23, s23, __const._ZL30rocblas_trsm_small_left_deviceILi16ELi16ELb0EddPKPKdPKPdEv13rocblas_fill_18rocblas_operation_17rocblas_diagonal_iiT3_T4_lilT5_lili.step_sizes@rel32@hi+24
	s_lshl_b64 s[24:25], s[20:21], 2
	s_wait_alu 0xfffe
	s_add_nc_u64 s[22:23], s[22:23], s[24:25]
	s_load_b32 s22, s[22:23], 0x0
	s_wait_kmcnt 0x0
	s_add_co_i32 s21, s22, -1
	s_wait_alu 0xfffe
	s_add_co_i32 s14, s21, s18
	s_delay_alu instid0(SALU_CYCLE_1)
	s_cmp_ge_i32 s14, s36
	s_cbranch_scc1 .LBB83_30
; %bb.15:                               ;   in Loop: Header=BB83_14 Depth=2
	s_ashr_i32 s19, s18, 31
	s_ashr_i32 s23, s22, 31
	s_lshl_b64 s[24:25], s[18:19], 3
	s_max_i32 s42, s22, 1
	s_wait_alu 0xfffe
	v_add_co_u32 v70, vcc_lo, v80, s24
	s_wait_alu 0xfffd
	v_add_co_ci_u32_e64 v71, null, s25, v81, vcc_lo
	s_lshl_b64 s[24:25], s[22:23], 3
	s_lshl_b32 s19, s18, 7
	s_lshl_b32 s23, s22, 7
	s_mul_i32 s43, s18, 0x88
	s_mul_i32 s44, s22, 0x88
	s_branch .LBB83_17
.LBB83_16:                              ;   in Loop: Header=BB83_17 Depth=3
	v_add_co_u32 v70, vcc_lo, v70, s24
	s_add_co_i32 s18, s18, s22
	s_wait_alu 0xfffd
	v_add_co_ci_u32_e64 v71, null, s25, v71, vcc_lo
	s_add_co_i32 s14, s21, s18
	s_add_co_i32 s19, s19, s23
	;; [unrolled: 1-line block ×3, first 2 shown]
	s_cmp_ge_i32 s14, s36
	s_cbranch_scc1 .LBB83_30
.LBB83_17:                              ;   Parent Loop BB83_5 Depth=1
                                        ;     Parent Loop BB83_14 Depth=2
                                        ; =>    This Loop Header: Depth=3
                                        ;         Child Loop BB83_18 Depth 4
                                        ;         Child Loop BB83_21 Depth 4
                                        ;           Child Loop BB83_22 Depth 5
                                        ;         Child Loop BB83_27 Depth 4
                                        ;           Child Loop BB83_29 Depth 5
	v_dual_mov_b32 v73, v71 :: v_dual_mov_b32 v72, v70
	s_mov_b64 s[26:27], 0
.LBB83_18:                              ;   Parent Loop BB83_5 Depth=1
                                        ;     Parent Loop BB83_14 Depth=2
                                        ;       Parent Loop BB83_17 Depth=3
                                        ; =>      This Inner Loop Header: Depth=4
	flat_load_b64 v[82:83], v[72:73]
	v_add_co_u32 v72, vcc_lo, v72, 8
	s_wait_alu 0xfffd
	v_add_co_ci_u32_e64 v73, null, 0, v73, vcc_lo
	s_wait_alu 0xfffe
	s_lshl_b32 m0, s26, 1
	s_add_nc_u64 s[26:27], s[26:27], 1
	s_wait_alu 0xfffe
	s_cmp_eq_u32 s42, s26
	s_wait_loadcnt_dscnt 0x0
	v_mul_f64_e32 v[82:83], s[4:5], v[82:83]
	s_delay_alu instid0(VALU_DEP_1) | instskip(NEXT) | instid1(VALU_DEP_2)
	v_movreld_b32_e32 v34, v82
	v_movreld_b32_e32 v35, v83
	s_cbranch_scc0 .LBB83_18
; %bb.19:                               ;   in Loop: Header=BB83_17 Depth=3
	s_cmp_lt_i32 s18, 1
	s_cbranch_scc1 .LBB83_24
; %bb.20:                               ;   in Loop: Header=BB83_17 Depth=3
	s_mov_b32 s14, 0
	s_mov_b32 s28, s19
.LBB83_21:                              ;   Parent Loop BB83_5 Depth=1
                                        ;     Parent Loop BB83_14 Depth=2
                                        ;       Parent Loop BB83_17 Depth=3
                                        ; =>      This Loop Header: Depth=4
                                        ;           Child Loop BB83_22 Depth 5
	s_lshl_b64 s[26:27], s[14:15], 3
	s_wait_alu 0xfffe
	s_mov_b32 s29, s28
	v_add_co_u32 v72, vcc_lo, v78, s26
	s_wait_alu 0xfffd
	v_add_co_ci_u32_e64 v73, null, s27, v79, vcc_lo
	s_mov_b64 s[26:27], 0
	flat_load_b64 v[72:73], v[72:73]
.LBB83_22:                              ;   Parent Loop BB83_5 Depth=1
                                        ;     Parent Loop BB83_14 Depth=2
                                        ;       Parent Loop BB83_17 Depth=3
                                        ;         Parent Loop BB83_21 Depth=4
                                        ; =>        This Inner Loop Header: Depth=5
	s_wait_alu 0xfffe
	v_mov_b32_e32 v82, s29
	s_lshl_b32 m0, s26, 1
	s_add_nc_u64 s[26:27], s[26:27], 1
	v_movrels_b32_e32 v85, v35
	v_movrels_b32_e32 v84, v34
	ds_load_b64 v[82:83], v82
	s_addk_co_i32 s29, 0x80
	s_wait_alu 0xfffe
	s_cmp_eq_u32 s42, s26
	s_wait_loadcnt_dscnt 0x0
	v_fma_f64 v[82:83], -v[72:73], v[82:83], v[84:85]
	s_delay_alu instid0(VALU_DEP_1) | instskip(NEXT) | instid1(VALU_DEP_2)
	v_movreld_b32_e32 v34, v82
	v_movreld_b32_e32 v35, v83
	s_cbranch_scc0 .LBB83_22
; %bb.23:                               ;   in Loop: Header=BB83_21 Depth=4
	s_add_co_i32 s14, s14, 1
	s_add_co_i32 s28, s28, 8
	s_cmp_eq_u32 s14, s18
	s_cbranch_scc0 .LBB83_21
.LBB83_24:                              ;   in Loop: Header=BB83_17 Depth=3
	s_mov_b64 s[26:27], 0
	s_mov_b32 s14, s43
	s_branch .LBB83_27
.LBB83_25:                              ;   in Loop: Header=BB83_27 Depth=4
	s_mov_b32 s28, s18
	s_mov_b64 s[30:31], 0
.LBB83_26:                              ;   in Loop: Header=BB83_27 Depth=4
	s_wait_alu 0xfffe
	s_mul_i32 s29, s28, 0x88
	s_lshl_b32 m0, s30, 1
	s_wait_alu 0xfffe
	v_mov_b32_e32 v72, s29
	v_movrels_b32_e32 v83, v35
	v_movrels_b32_e32 v82, v34
	s_ashr_i32 s29, s28, 31
	s_add_nc_u64 s[26:27], s[26:27], 1
	ds_load_b64 v[72:73], v72
	s_wait_alu 0xfffe
	s_lshl_b64 s[28:29], s[28:29], 3
	s_addk_co_i32 s14, 0x80
	s_cmp_eq_u32 s26, s42
	s_wait_dscnt 0x0
	v_mul_f64_e32 v[72:73], v[82:83], v[72:73]
	s_wait_alu 0xfffe
	v_add_co_u32 v82, vcc_lo, v78, s28
	s_wait_alu 0xfffd
	v_add_co_ci_u32_e64 v83, null, s29, v79, vcc_lo
	s_delay_alu instid0(VALU_DEP_3) | instskip(NEXT) | instid1(VALU_DEP_4)
	v_movreld_b32_e32 v34, v72
	v_movreld_b32_e32 v35, v73
	flat_store_b64 v[82:83], v[72:73]
	s_cbranch_scc1 .LBB83_16
.LBB83_27:                              ;   Parent Loop BB83_5 Depth=1
                                        ;     Parent Loop BB83_14 Depth=2
                                        ;       Parent Loop BB83_17 Depth=3
                                        ; =>      This Loop Header: Depth=4
                                        ;           Child Loop BB83_29 Depth 5
	s_wait_alu 0xfffe
	s_cmp_eq_u32 s26, 0
	s_cbranch_scc1 .LBB83_25
; %bb.28:                               ;   in Loop: Header=BB83_27 Depth=4
	s_mov_b64 s[30:31], s[26:27]
	s_add_co_i32 s28, s26, s18
	s_mov_b64 s[34:35], 0
	s_lshl_b32 s29, s26, 1
	s_mov_b32 s31, s14
.LBB83_29:                              ;   Parent Loop BB83_5 Depth=1
                                        ;     Parent Loop BB83_14 Depth=2
                                        ;       Parent Loop BB83_17 Depth=3
                                        ;         Parent Loop BB83_27 Depth=4
                                        ; =>        This Inner Loop Header: Depth=5
	s_wait_alu 0xfffe
	v_mov_b32_e32 v72, s31
	s_lshl_b32 m0, s34, 1
	s_add_nc_u64 s[34:35], s[34:35], 1
	v_movrels_b32_e32 v83, v35
	v_movrels_b32_e32 v82, v34
	ds_load_b64 v[72:73], v72
	s_mov_b32 m0, s29
	s_add_co_i32 s31, s31, 8
	v_movrels_b32_e32 v85, v35
	v_movrels_b32_e32 v84, v34
	s_cmp_eq_u32 s26, s34
	s_wait_dscnt 0x0
	s_delay_alu instid0(VALU_DEP_1) | instskip(NEXT) | instid1(VALU_DEP_1)
	v_fma_f64 v[72:73], -v[82:83], v[72:73], v[84:85]
	v_movreld_b32_e32 v34, v72
	s_delay_alu instid0(VALU_DEP_2)
	v_movreld_b32_e32 v35, v73
	s_cbranch_scc0 .LBB83_29
	s_branch .LBB83_26
.LBB83_30:                              ;   in Loop: Header=BB83_14 Depth=2
	s_cmp_lt_i32 s18, s36
	s_cselect_b32 s19, -1, 0
	s_add_co_i32 s14, s20, 1
	s_cmp_lt_u32 s20, 2
	s_cselect_b32 s20, -1, 0
	s_wait_alu 0xfffe
	s_and_b32 s19, s19, s20
	s_delay_alu instid0(SALU_CYCLE_1)
	s_and_b32 vcc_lo, exec_lo, s19
	s_wait_alu 0xfffe
	s_cbranch_vccz .LBB83_32
; %bb.31:                               ;   in Loop: Header=BB83_14 Depth=2
	s_mov_b32 s20, s14
	s_branch .LBB83_14
.LBB83_32:                              ;   in Loop: Header=BB83_5 Depth=1
	s_mov_b32 s14, 0
.LBB83_33:                              ;   in Loop: Header=BB83_5 Depth=1
	s_delay_alu instid0(SALU_CYCLE_1)
	s_and_b32 vcc_lo, exec_lo, s14
	s_wait_alu 0xfffe
	s_cbranch_vccz .LBB83_3
; %bb.34:                               ;   in Loop: Header=BB83_5 Depth=1
	v_add_co_u32 v36, vcc_lo, v68, v75
	s_wait_alu 0xfffd
	v_add_co_ci_u32_e64 v37, null, v69, v76, vcc_lo
	s_mov_b32 s14, 0
	s_mov_b32 s18, s37
.LBB83_35:                              ;   Parent Loop BB83_5 Depth=1
                                        ; =>  This Loop Header: Depth=2
                                        ;       Child Loop BB83_38 Depth 3
                                        ;         Child Loop BB83_39 Depth 4
                                        ;         Child Loop BB83_41 Depth 4
                                        ;           Child Loop BB83_42 Depth 5
                                        ;         Child Loop BB83_47 Depth 4
                                        ;           Child Loop BB83_49 Depth 5
	s_getpc_b64 s[20:21]
	s_wait_alu 0xfffe
	s_sext_i32_i16 s21, s21
	s_add_co_u32 s20, s20, __const._ZL30rocblas_trsm_small_left_deviceILi16ELi16ELb0EddPKPKdPKPdEv13rocblas_fill_18rocblas_operation_17rocblas_diagonal_iiT3_T4_lilT5_lili.step_sizes@rel32@lo+12
	s_wait_alu 0xfffe
	s_add_co_ci_u32 s21, s21, __const._ZL30rocblas_trsm_small_left_deviceILi16ELi16ELb0EddPKPKdPKPdEv13rocblas_fill_18rocblas_operation_17rocblas_diagonal_iiT3_T4_lilT5_lili.step_sizes@rel32@hi+24
	s_lshl_b64 s[22:23], s[14:15], 2
	s_wait_alu 0xfffe
	s_add_nc_u64 s[20:21], s[20:21], s[22:23]
	s_load_b32 s28, s[20:21], 0x0
	s_wait_kmcnt 0x0
	s_add_co_i32 s29, s28, -1
	s_wait_alu 0xfffe
	s_cmp_lt_i32 s18, s29
	s_cbranch_scc1 .LBB83_51
; %bb.36:                               ;   in Loop: Header=BB83_35 Depth=2
	s_lshl_b32 s19, s18, 3
	s_lshl_b32 s20, s28, 3
	s_max_i32 s30, s28, 1
	s_add_co_i32 s31, s40, s19
	s_wait_alu 0xfffe
	s_sub_co_i32 s34, 0, s20
	s_mul_i32 s35, s18, 0x88
	s_mul_i32 s42, s28, 0xffffff78
	s_branch .LBB83_38
.LBB83_37:                              ;   in Loop: Header=BB83_38 Depth=3
	s_sub_co_i32 s18, s18, s28
	s_add_co_i32 s31, s31, s34
	s_add_co_i32 s35, s35, s42
	s_cmp_lt_i32 s18, s29
	s_cbranch_scc1 .LBB83_51
.LBB83_38:                              ;   Parent Loop BB83_5 Depth=1
                                        ;     Parent Loop BB83_35 Depth=2
                                        ; =>    This Loop Header: Depth=3
                                        ;         Child Loop BB83_39 Depth 4
                                        ;         Child Loop BB83_41 Depth 4
                                        ;           Child Loop BB83_42 Depth 5
                                        ;         Child Loop BB83_47 Depth 4
                                        ;           Child Loop BB83_49 Depth 5
	s_ashr_i32 s19, s18, 31
	s_delay_alu instid0(SALU_CYCLE_1)
	s_lshl_b64 s[20:21], s[18:19], 3
	s_wait_alu 0xfffe
	v_add_co_u32 v34, vcc_lo, v36, s20
	s_wait_alu 0xfffd
	v_add_co_ci_u32_e64 v35, null, s21, v37, vcc_lo
	s_mov_b64 s[20:21], 0
.LBB83_39:                              ;   Parent Loop BB83_5 Depth=1
                                        ;     Parent Loop BB83_35 Depth=2
                                        ;       Parent Loop BB83_38 Depth=3
                                        ; =>      This Inner Loop Header: Depth=4
	flat_load_b64 v[38:39], v[34:35]
	v_add_co_u32 v34, vcc_lo, v34, -8
	s_wait_alu 0xfffd
	v_add_co_ci_u32_e64 v35, null, -1, v35, vcc_lo
	s_wait_alu 0xfffe
	s_lshl_b32 m0, s20, 1
	s_add_nc_u64 s[20:21], s[20:21], 1
	s_wait_alu 0xfffe
	s_cmp_eq_u32 s30, s20
	s_wait_loadcnt_dscnt 0x0
	v_mul_f64_e32 v[38:39], s[4:5], v[38:39]
	s_delay_alu instid0(VALU_DEP_1) | instskip(NEXT) | instid1(VALU_DEP_2)
	v_movreld_b32_e32 v2, v38
	v_movreld_b32_e32 v3, v39
	s_cbranch_scc0 .LBB83_39
; %bb.40:                               ;   in Loop: Header=BB83_38 Depth=3
	s_cmp_le_i32 s37, s18
	s_mov_b32 s24, s31
	s_mov_b32 s20, s37
	s_cbranch_scc1 .LBB83_44
.LBB83_41:                              ;   Parent Loop BB83_5 Depth=1
                                        ;     Parent Loop BB83_35 Depth=2
                                        ;       Parent Loop BB83_38 Depth=3
                                        ; =>      This Loop Header: Depth=4
                                        ;           Child Loop BB83_42 Depth 5
	s_wait_alu 0xfffe
	s_ashr_i32 s21, s20, 31
	s_wait_alu 0xfffe
	s_lshl_b64 s[22:23], s[20:21], 3
	s_mov_b32 s21, s24
	s_wait_alu 0xfffe
	v_add_co_u32 v34, vcc_lo, v78, s22
	s_wait_alu 0xfffd
	v_add_co_ci_u32_e64 v35, null, s23, v79, vcc_lo
	s_mov_b64 s[22:23], 0
	flat_load_b64 v[34:35], v[34:35]
.LBB83_42:                              ;   Parent Loop BB83_5 Depth=1
                                        ;     Parent Loop BB83_35 Depth=2
                                        ;       Parent Loop BB83_38 Depth=3
                                        ;         Parent Loop BB83_41 Depth=4
                                        ; =>        This Inner Loop Header: Depth=5
	s_wait_alu 0xfffe
	v_mov_b32_e32 v38, s21
	s_lshl_b32 m0, s22, 1
	s_add_nc_u64 s[22:23], s[22:23], 1
	v_movrels_b32_e32 v41, v3
	v_movrels_b32_e32 v40, v2
	ds_load_b64 v[38:39], v38
	s_add_co_i32 s21, s21, -8
	s_wait_alu 0xfffe
	s_cmp_eq_u32 s30, s22
	s_wait_loadcnt_dscnt 0x0
	v_fma_f64 v[38:39], -v[34:35], v[38:39], v[40:41]
	s_delay_alu instid0(VALU_DEP_1) | instskip(NEXT) | instid1(VALU_DEP_2)
	v_movreld_b32_e32 v2, v38
	v_movreld_b32_e32 v3, v39
	s_cbranch_scc0 .LBB83_42
; %bb.43:                               ;   in Loop: Header=BB83_41 Depth=4
	s_add_co_i32 s20, s20, -1
	s_addk_co_i32 s24, 0xff80
	s_wait_alu 0xfffe
	s_cmp_le_i32 s20, s18
	s_cbranch_scc0 .LBB83_41
.LBB83_44:                              ;   in Loop: Header=BB83_38 Depth=3
	s_mov_b64 s[20:21], 0
	s_mov_b32 s43, s35
	s_branch .LBB83_47
.LBB83_45:                              ;   in Loop: Header=BB83_47 Depth=4
	s_mov_b32 s26, s18
	s_mov_b64 s[22:23], 0
	s_mov_b64 s[24:25], s[18:19]
.LBB83_46:                              ;   in Loop: Header=BB83_47 Depth=4
	s_wait_alu 0xfffe
	s_mul_i32 s23, s26, 0x88
	s_lshl_b32 m0, s22, 1
	s_wait_alu 0xfffe
	v_mov_b32_e32 v34, s23
	v_movrels_b32_e32 v39, v3
	v_movrels_b32_e32 v38, v2
	s_lshl_b64 s[22:23], s[24:25], 3
	s_add_nc_u64 s[20:21], s[20:21], 1
	ds_load_b64 v[34:35], v34
	s_add_co_i32 s43, s43, -8
	s_wait_alu 0xfffe
	s_cmp_eq_u32 s20, s30
	s_wait_dscnt 0x0
	v_mul_f64_e32 v[34:35], v[38:39], v[34:35]
	v_add_co_u32 v38, vcc_lo, v78, s22
	s_wait_alu 0xfffd
	v_add_co_ci_u32_e64 v39, null, s23, v79, vcc_lo
	s_delay_alu instid0(VALU_DEP_3) | instskip(NEXT) | instid1(VALU_DEP_4)
	v_movreld_b32_e32 v2, v34
	v_movreld_b32_e32 v3, v35
	flat_store_b64 v[38:39], v[34:35]
	s_cbranch_scc1 .LBB83_37
.LBB83_47:                              ;   Parent Loop BB83_5 Depth=1
                                        ;     Parent Loop BB83_35 Depth=2
                                        ;       Parent Loop BB83_38 Depth=3
                                        ; =>      This Loop Header: Depth=4
                                        ;           Child Loop BB83_49 Depth 5
	s_wait_alu 0xfffe
	s_cmp_eq_u32 s20, 0
	s_cbranch_scc1 .LBB83_45
; %bb.48:                               ;   in Loop: Header=BB83_47 Depth=4
	s_mov_b64 s[22:23], s[20:21]
	s_mov_b64 s[24:25], 0
	s_lshl_b32 s23, s20, 1
	s_mov_b32 s26, s43
.LBB83_49:                              ;   Parent Loop BB83_5 Depth=1
                                        ;     Parent Loop BB83_35 Depth=2
                                        ;       Parent Loop BB83_38 Depth=3
                                        ;         Parent Loop BB83_47 Depth=4
                                        ; =>        This Inner Loop Header: Depth=5
	s_wait_alu 0xfffe
	v_mov_b32_e32 v34, s26
	s_lshl_b32 m0, s24, 1
	s_add_nc_u64 s[24:25], s[24:25], 1
	v_movrels_b32_e32 v39, v3
	v_movrels_b32_e32 v38, v2
	ds_load_b64 v[34:35], v34
	s_mov_b32 m0, s23
	s_addk_co_i32 s26, 0xff80
	v_movrels_b32_e32 v41, v3
	v_movrels_b32_e32 v40, v2
	s_wait_alu 0xfffe
	s_cmp_eq_u32 s20, s24
	s_wait_dscnt 0x0
	s_delay_alu instid0(VALU_DEP_1) | instskip(NEXT) | instid1(VALU_DEP_1)
	v_fma_f64 v[34:35], -v[38:39], v[34:35], v[40:41]
	v_movreld_b32_e32 v2, v34
	s_delay_alu instid0(VALU_DEP_2)
	v_movreld_b32_e32 v3, v35
	s_cbranch_scc0 .LBB83_49
; %bb.50:                               ;   in Loop: Header=BB83_47 Depth=4
	s_sub_co_i32 s26, s18, s20
	s_wait_alu 0xfffe
	s_ashr_i32 s27, s26, 31
	s_wait_alu 0xfffe
	s_mov_b64 s[24:25], s[26:27]
	s_branch .LBB83_46
.LBB83_51:                              ;   in Loop: Header=BB83_35 Depth=2
	s_cmp_gt_i32 s18, -1
	s_cselect_b32 s20, -1, 0
	s_add_co_i32 s19, s14, 1
	s_cmp_lt_u32 s14, 2
	s_cselect_b32 s14, -1, 0
	s_wait_alu 0xfffe
	s_and_b32 s14, s20, s14
	s_delay_alu instid0(SALU_CYCLE_1)
	s_and_not1_b32 vcc_lo, exec_lo, s14
	s_wait_alu 0xfffe
	s_cbranch_vccnz .LBB83_2
; %bb.52:                               ;   in Loop: Header=BB83_35 Depth=2
	s_mov_b32 s14, s19
	s_branch .LBB83_35
.LBB83_53:
	s_endpgm
	.section	.rodata,"a",@progbits
	.p2align	6, 0x0
	.amdhsa_kernel _ZL30rocblas_trsm_small_left_deviceILi16ELi16ELb0EddPKPKdPKPdEv13rocblas_fill_18rocblas_operation_17rocblas_diagonal_iiT3_T4_lilT5_lili
		.amdhsa_group_segment_fixed_size 2048
		.amdhsa_private_segment_fixed_size 0
		.amdhsa_kernarg_size 360
		.amdhsa_user_sgpr_count 2
		.amdhsa_user_sgpr_dispatch_ptr 0
		.amdhsa_user_sgpr_queue_ptr 0
		.amdhsa_user_sgpr_kernarg_segment_ptr 1
		.amdhsa_user_sgpr_dispatch_id 0
		.amdhsa_user_sgpr_private_segment_size 0
		.amdhsa_wavefront_size32 1
		.amdhsa_uses_dynamic_stack 0
		.amdhsa_enable_private_segment 0
		.amdhsa_system_sgpr_workgroup_id_x 1
		.amdhsa_system_sgpr_workgroup_id_y 0
		.amdhsa_system_sgpr_workgroup_id_z 1
		.amdhsa_system_sgpr_workgroup_info 0
		.amdhsa_system_vgpr_workitem_id 0
		.amdhsa_next_free_vgpr 86
		.amdhsa_next_free_sgpr 45
		.amdhsa_reserve_vcc 1
		.amdhsa_float_round_mode_32 0
		.amdhsa_float_round_mode_16_64 0
		.amdhsa_float_denorm_mode_32 3
		.amdhsa_float_denorm_mode_16_64 3
		.amdhsa_fp16_overflow 0
		.amdhsa_workgroup_processor_mode 1
		.amdhsa_memory_ordered 1
		.amdhsa_forward_progress 1
		.amdhsa_inst_pref_size 23
		.amdhsa_round_robin_scheduling 0
		.amdhsa_exception_fp_ieee_invalid_op 0
		.amdhsa_exception_fp_denorm_src 0
		.amdhsa_exception_fp_ieee_div_zero 0
		.amdhsa_exception_fp_ieee_overflow 0
		.amdhsa_exception_fp_ieee_underflow 0
		.amdhsa_exception_fp_ieee_inexact 0
		.amdhsa_exception_int_div_zero 0
	.end_amdhsa_kernel
	.section	.text._ZL30rocblas_trsm_small_left_deviceILi16ELi16ELb0EddPKPKdPKPdEv13rocblas_fill_18rocblas_operation_17rocblas_diagonal_iiT3_T4_lilT5_lili,"axG",@progbits,_ZL30rocblas_trsm_small_left_deviceILi16ELi16ELb0EddPKPKdPKPdEv13rocblas_fill_18rocblas_operation_17rocblas_diagonal_iiT3_T4_lilT5_lili,comdat
.Lfunc_end83:
	.size	_ZL30rocblas_trsm_small_left_deviceILi16ELi16ELb0EddPKPKdPKPdEv13rocblas_fill_18rocblas_operation_17rocblas_diagonal_iiT3_T4_lilT5_lili, .Lfunc_end83-_ZL30rocblas_trsm_small_left_deviceILi16ELi16ELb0EddPKPKdPKPdEv13rocblas_fill_18rocblas_operation_17rocblas_diagonal_iiT3_T4_lilT5_lili
                                        ; -- End function
	.set _ZL30rocblas_trsm_small_left_deviceILi16ELi16ELb0EddPKPKdPKPdEv13rocblas_fill_18rocblas_operation_17rocblas_diagonal_iiT3_T4_lilT5_lili.num_vgpr, 86
	.set _ZL30rocblas_trsm_small_left_deviceILi16ELi16ELb0EddPKPKdPKPdEv13rocblas_fill_18rocblas_operation_17rocblas_diagonal_iiT3_T4_lilT5_lili.num_agpr, 0
	.set _ZL30rocblas_trsm_small_left_deviceILi16ELi16ELb0EddPKPKdPKPdEv13rocblas_fill_18rocblas_operation_17rocblas_diagonal_iiT3_T4_lilT5_lili.numbered_sgpr, 45
	.set _ZL30rocblas_trsm_small_left_deviceILi16ELi16ELb0EddPKPKdPKPdEv13rocblas_fill_18rocblas_operation_17rocblas_diagonal_iiT3_T4_lilT5_lili.num_named_barrier, 0
	.set _ZL30rocblas_trsm_small_left_deviceILi16ELi16ELb0EddPKPKdPKPdEv13rocblas_fill_18rocblas_operation_17rocblas_diagonal_iiT3_T4_lilT5_lili.private_seg_size, 0
	.set _ZL30rocblas_trsm_small_left_deviceILi16ELi16ELb0EddPKPKdPKPdEv13rocblas_fill_18rocblas_operation_17rocblas_diagonal_iiT3_T4_lilT5_lili.uses_vcc, 1
	.set _ZL30rocblas_trsm_small_left_deviceILi16ELi16ELb0EddPKPKdPKPdEv13rocblas_fill_18rocblas_operation_17rocblas_diagonal_iiT3_T4_lilT5_lili.uses_flat_scratch, 0
	.set _ZL30rocblas_trsm_small_left_deviceILi16ELi16ELb0EddPKPKdPKPdEv13rocblas_fill_18rocblas_operation_17rocblas_diagonal_iiT3_T4_lilT5_lili.has_dyn_sized_stack, 0
	.set _ZL30rocblas_trsm_small_left_deviceILi16ELi16ELb0EddPKPKdPKPdEv13rocblas_fill_18rocblas_operation_17rocblas_diagonal_iiT3_T4_lilT5_lili.has_recursion, 0
	.set _ZL30rocblas_trsm_small_left_deviceILi16ELi16ELb0EddPKPKdPKPdEv13rocblas_fill_18rocblas_operation_17rocblas_diagonal_iiT3_T4_lilT5_lili.has_indirect_call, 0
	.section	.AMDGPU.csdata,"",@progbits
; Kernel info:
; codeLenInByte = 2932
; TotalNumSgprs: 47
; NumVgprs: 86
; ScratchSize: 0
; MemoryBound: 0
; FloatMode: 240
; IeeeMode: 1
; LDSByteSize: 2048 bytes/workgroup (compile time only)
; SGPRBlocks: 0
; VGPRBlocks: 10
; NumSGPRsForWavesPerEU: 47
; NumVGPRsForWavesPerEU: 86
; Occupancy: 16
; WaveLimiterHint : 1
; COMPUTE_PGM_RSRC2:SCRATCH_EN: 0
; COMPUTE_PGM_RSRC2:USER_SGPR: 2
; COMPUTE_PGM_RSRC2:TRAP_HANDLER: 0
; COMPUTE_PGM_RSRC2:TGID_X_EN: 1
; COMPUTE_PGM_RSRC2:TGID_Y_EN: 0
; COMPUTE_PGM_RSRC2:TGID_Z_EN: 1
; COMPUTE_PGM_RSRC2:TIDIG_COMP_CNT: 0
	.section	.text._ZL38rocblas_trsm_small_left_device_sharedBILi16ELi16ELb1EddPKPKdPKPdEv13rocblas_fill_18rocblas_operation_17rocblas_diagonal_iiT3_T4_lilT5_lili,"axG",@progbits,_ZL38rocblas_trsm_small_left_device_sharedBILi16ELi16ELb1EddPKPKdPKPdEv13rocblas_fill_18rocblas_operation_17rocblas_diagonal_iiT3_T4_lilT5_lili,comdat
	.globl	_ZL38rocblas_trsm_small_left_device_sharedBILi16ELi16ELb1EddPKPKdPKPdEv13rocblas_fill_18rocblas_operation_17rocblas_diagonal_iiT3_T4_lilT5_lili ; -- Begin function _ZL38rocblas_trsm_small_left_device_sharedBILi16ELi16ELb1EddPKPKdPKPdEv13rocblas_fill_18rocblas_operation_17rocblas_diagonal_iiT3_T4_lilT5_lili
	.p2align	8
	.type	_ZL38rocblas_trsm_small_left_device_sharedBILi16ELi16ELb1EddPKPKdPKPdEv13rocblas_fill_18rocblas_operation_17rocblas_diagonal_iiT3_T4_lilT5_lili,@function
_ZL38rocblas_trsm_small_left_device_sharedBILi16ELi16ELb1EddPKPKdPKPdEv13rocblas_fill_18rocblas_operation_17rocblas_diagonal_iiT3_T4_lilT5_lili: ; @_ZL38rocblas_trsm_small_left_device_sharedBILi16ELi16ELb1EddPKPKdPKPdEv13rocblas_fill_18rocblas_operation_17rocblas_diagonal_iiT3_T4_lilT5_lili
; %bb.0:
	s_load_b32 s26, s[0:1], 0x60
	s_lshr_b32 s2, ttmp7, 16
	s_wait_kmcnt 0x0
	s_cmp_ge_u32 s2, s26
	s_cbranch_scc1 .LBB84_56
; %bb.1:
	s_clause 0x5
	s_load_b96 s[16:18], s[0:1], 0x28
	s_load_b32 s20, s[0:1], 0x50
	s_load_b128 s[12:15], s[0:1], 0x4
	s_load_b32 s3, s[0:1], 0x68
	s_load_b128 s[4:7], s[0:1], 0x18
	s_load_b128 s[8:11], s[0:1], 0x40
	v_dual_mov_b32 v1, 0 :: v_dual_lshlrev_b32 v70, 3, v0
	s_lshl_b32 s22, ttmp9, 4
	v_lshlrev_b32_e32 v35, 7, v0
	s_mov_b32 s19, 0
	s_delay_alu instid0(VALU_DEP_2)
	v_or_b32_e32 v71, 0x800, v70
	v_dual_mov_b32 v31, v1 :: v_dual_mov_b32 v32, v1
	v_dual_mov_b32 v2, v1 :: v_dual_mov_b32 v3, v1
	;; [unrolled: 1-line block ×4, first 2 shown]
	v_mov_b32_e32 v8, v1
	s_wait_kmcnt 0x0
	s_ashr_i32 s25, s18, 31
	s_min_i32 s1, s14, 16
	s_add_co_i32 s3, s3, -1
	s_ashr_i32 s21, s20, 31
	s_sub_co_i32 s0, s15, s22
	s_add_co_i32 s27, s1, -1
	v_mad_co_i64_i32 v[33:34], null, s20, v0, 0
	s_cmp_ge_u32 ttmp9, s3
	v_dual_mov_b32 v9, v1 :: v_dual_mov_b32 v10, v1
	s_cselect_b32 s3, s0, 16
	s_ashr_i32 s23, s22, 31
	s_cmp_lg_u32 s13, 0x84
	v_cmp_gt_i32_e32 vcc_lo, s3, v0
	s_cselect_b32 s28, -1, 0
	s_cmp_gt_i32 s14, 0
	v_dual_mov_b32 v11, v1 :: v_dual_mov_b32 v12, v1
	v_dual_mov_b32 v13, v1 :: v_dual_mov_b32 v14, v1
	;; [unrolled: 1-line block ×10, first 2 shown]
	v_cmp_gt_i32_e64 s0, s1, v0
	s_cselect_b32 s3, -1, 0
	s_cmp_lg_u32 s12, 0x6f
	v_lshlrev_b32_e32 v0, 3, v0
	v_lshlrev_b64_e32 v[66:67], 3, v[33:34]
	v_mov_b32_e32 v33, v32
	v_mov_b32_e32 v32, v31
	;; [unrolled: 1-line block ×4, first 2 shown]
	v_dual_mov_b32 v29, v28 :: v_dual_add_nc_u32 v72, v70, v35
	v_mov_b32_e32 v28, v27
	v_mov_b32_e32 v27, v26
	;; [unrolled: 1-line block ×27, first 2 shown]
	s_mov_b32 s24, s18
	s_mul_u64 s[20:21], s[20:21], s[22:23]
	s_cselect_b32 s29, -1, 0
	s_lshl_b32 s31, s1, 3
	s_wait_alu 0xfffe
	s_and_b32 s30, vcc_lo, s3
	s_lshl_b64 s[12:13], s[24:25], 3
	s_add_co_i32 s31, s31, -8
	s_lshl_b64 s[14:15], s[16:17], 3
	s_lshl_b64 s[10:11], s[10:11], 3
	;; [unrolled: 1-line block ×3, first 2 shown]
	s_branch .LBB84_3
.LBB84_2:                               ;   in Loop: Header=BB84_3 Depth=1
	s_wait_alu 0xfffe
	s_or_b32 exec_lo, exec_lo, s3
	v_dual_mov_b32 v2, v34 :: v_dual_mov_b32 v3, v35
	v_dual_mov_b32 v4, v36 :: v_dual_mov_b32 v5, v37
	;; [unrolled: 1-line block ×16, first 2 shown]
	s_add_co_i32 s2, s2, 0x10000
	s_wait_alu 0xfffe
	s_cmp_lt_u32 s2, s26
	s_cbranch_scc0 .LBB84_56
.LBB84_3:                               ; =>This Loop Header: Depth=1
                                        ;     Child Loop BB84_5 Depth 2
                                        ;     Child Loop BB84_11 Depth 2
	;; [unrolled: 1-line block ×3, first 2 shown]
                                        ;       Child Loop BB84_17 Depth 3
                                        ;         Child Loop BB84_18 Depth 4
                                        ;         Child Loop BB84_20 Depth 4
                                        ;           Child Loop BB84_21 Depth 5
                                        ;         Child Loop BB84_26 Depth 4
                                        ;           Child Loop BB84_28 Depth 5
                                        ;     Child Loop BB84_34 Depth 2
                                        ;       Child Loop BB84_37 Depth 3
                                        ;         Child Loop BB84_38 Depth 4
                                        ;         Child Loop BB84_41 Depth 4
                                        ;           Child Loop BB84_42 Depth 5
                                        ;         Child Loop BB84_47 Depth 4
                                        ;           Child Loop BB84_49 Depth 5
                                        ;     Child Loop BB84_55 Depth 2
	s_mov_b32 s3, s19
	s_wait_alu 0xfffe
	s_lshl_b64 s[20:21], s[2:3], 3
	s_wait_alu 0xfffe
	s_add_nc_u64 s[22:23], s[8:9], s[20:21]
	global_load_b64 v[34:35], v1, s[22:23]
	s_and_saveexec_b32 s3, s0
	s_cbranch_execz .LBB84_9
; %bb.4:                                ;   in Loop: Header=BB84_3 Depth=1
	s_add_nc_u64 s[20:21], s[6:7], s[20:21]
	v_mov_b32_e32 v38, v70
	global_load_b64 v[36:37], v1, s[20:21]
	s_mov_b32 s18, s1
	s_wait_loadcnt 0x0
	v_add_co_u32 v36, vcc_lo, v36, s14
	s_wait_alu 0xfffd
	v_add_co_ci_u32_e64 v37, null, s15, v37, vcc_lo
	s_delay_alu instid0(VALU_DEP_2) | instskip(SKIP_1) | instid1(VALU_DEP_2)
	v_add_co_u32 v36, vcc_lo, v36, v0
	s_wait_alu 0xfffd
	v_add_co_ci_u32_e64 v37, null, 0, v37, vcc_lo
.LBB84_5:                               ;   Parent Loop BB84_3 Depth=1
                                        ; =>  This Inner Loop Header: Depth=2
	flat_load_b64 v[39:40], v[36:37]
	v_add_co_u32 v36, vcc_lo, v36, s12
	s_wait_alu 0xfffd
	v_add_co_ci_u32_e64 v37, null, s13, v37, vcc_lo
	s_add_co_i32 s18, s18, -1
	s_delay_alu instid0(SALU_CYCLE_1)
	s_cmp_eq_u32 s18, 0
	s_wait_loadcnt_dscnt 0x0
	ds_store_b64 v38, v[39:40]
	v_add_nc_u32_e32 v38, 0x80, v38
	s_cbranch_scc0 .LBB84_5
; %bb.6:                                ;   in Loop: Header=BB84_3 Depth=1
	v_mov_b32_e32 v36, 0
	v_mov_b32_e32 v37, 0x3ff00000
	s_and_b32 vcc_lo, exec_lo, s28
	s_wait_alu 0xfffe
	s_cbranch_vccz .LBB84_8
; %bb.7:                                ;   in Loop: Header=BB84_3 Depth=1
	ds_load_b64 v[36:37], v72
	s_wait_dscnt 0x0
	v_div_scale_f64 v[38:39], null, v[36:37], v[36:37], 1.0
	s_delay_alu instid0(VALU_DEP_1) | instskip(NEXT) | instid1(TRANS32_DEP_1)
	v_rcp_f64_e32 v[40:41], v[38:39]
	v_fma_f64 v[42:43], -v[38:39], v[40:41], 1.0
	s_delay_alu instid0(VALU_DEP_1) | instskip(NEXT) | instid1(VALU_DEP_1)
	v_fma_f64 v[40:41], v[40:41], v[42:43], v[40:41]
	v_fma_f64 v[42:43], -v[38:39], v[40:41], 1.0
	s_delay_alu instid0(VALU_DEP_1) | instskip(SKIP_1) | instid1(VALU_DEP_1)
	v_fma_f64 v[40:41], v[40:41], v[42:43], v[40:41]
	v_div_scale_f64 v[42:43], vcc_lo, 1.0, v[36:37], 1.0
	v_mul_f64_e32 v[44:45], v[42:43], v[40:41]
	s_delay_alu instid0(VALU_DEP_1) | instskip(SKIP_1) | instid1(VALU_DEP_1)
	v_fma_f64 v[38:39], -v[38:39], v[44:45], v[42:43]
	s_wait_alu 0xfffd
	v_div_fmas_f64 v[38:39], v[38:39], v[40:41], v[44:45]
	s_delay_alu instid0(VALU_DEP_1)
	v_div_fixup_f64 v[36:37], v[38:39], v[36:37], 1.0
.LBB84_8:                               ;   in Loop: Header=BB84_3 Depth=1
	ds_store_b64 v72, v[36:37]
.LBB84_9:                               ;   in Loop: Header=BB84_3 Depth=1
	s_wait_alu 0xfffe
	s_or_b32 exec_lo, exec_lo, s3
	s_wait_loadcnt 0x0
	v_add_co_u32 v34, vcc_lo, v34, s10
	s_wait_alu 0xfffd
	v_add_co_ci_u32_e64 v35, null, s11, v35, vcc_lo
	s_delay_alu instid0(VALU_DEP_2) | instskip(SKIP_1) | instid1(VALU_DEP_2)
	v_add_co_u32 v73, vcc_lo, v34, s16
	s_wait_alu 0xfffd
	v_add_co_ci_u32_e64 v74, null, s17, v35, vcc_lo
	s_and_saveexec_b32 s3, s30
	s_cbranch_execz .LBB84_12
; %bb.10:                               ;   in Loop: Header=BB84_3 Depth=1
	v_add_co_u32 v34, vcc_lo, v73, v66
	s_wait_alu 0xfffd
	v_add_co_ci_u32_e64 v35, null, v74, v67, vcc_lo
	v_mov_b32_e32 v36, v71
	s_mov_b32 s18, s1
.LBB84_11:                              ;   Parent Loop BB84_3 Depth=1
                                        ; =>  This Inner Loop Header: Depth=2
	flat_load_b64 v[37:38], v[34:35]
	v_add_co_u32 v34, vcc_lo, v34, 8
	s_wait_alu 0xfffd
	v_add_co_ci_u32_e64 v35, null, 0, v35, vcc_lo
	s_add_co_i32 s18, s18, -1
	s_delay_alu instid0(SALU_CYCLE_1)
	s_cmp_lg_u32 s18, 0
	s_wait_loadcnt_dscnt 0x0
	v_mul_f64_e32 v[37:38], s[4:5], v[37:38]
	ds_store_b64 v36, v[37:38]
	v_add_nc_u32_e32 v36, 0x80, v36
	s_cbranch_scc1 .LBB84_11
.LBB84_12:                              ;   in Loop: Header=BB84_3 Depth=1
	s_wait_alu 0xfffe
	s_or_b32 exec_lo, exec_lo, s3
	s_delay_alu instid0(SALU_CYCLE_1)
	s_and_not1_b32 vcc_lo, exec_lo, s29
	s_mov_b32 s3, -1
	s_wait_dscnt 0x0
	; wave barrier
	global_inv scope:SCOPE_SE
                                        ; implicit-def: $vgpr34_vgpr35_vgpr36_vgpr37_vgpr38_vgpr39_vgpr40_vgpr41_vgpr42_vgpr43_vgpr44_vgpr45_vgpr46_vgpr47_vgpr48_vgpr49_vgpr50_vgpr51_vgpr52_vgpr53_vgpr54_vgpr55_vgpr56_vgpr57_vgpr58_vgpr59_vgpr60_vgpr61_vgpr62_vgpr63_vgpr64_vgpr65
	s_wait_alu 0xfffe
	s_cbranch_vccnz .LBB84_32
; %bb.13:                               ;   in Loop: Header=BB84_3 Depth=1
	v_dual_mov_b32 v65, v33 :: v_dual_mov_b32 v64, v32
	v_dual_mov_b32 v63, v31 :: v_dual_mov_b32 v62, v30
	;; [unrolled: 1-line block ×16, first 2 shown]
	s_mov_b32 s18, 0
	s_mov_b32 s3, s27
.LBB84_14:                              ;   Parent Loop BB84_3 Depth=1
                                        ; =>  This Loop Header: Depth=2
                                        ;       Child Loop BB84_17 Depth 3
                                        ;         Child Loop BB84_18 Depth 4
                                        ;         Child Loop BB84_20 Depth 4
                                        ;           Child Loop BB84_21 Depth 5
                                        ;         Child Loop BB84_26 Depth 4
                                        ;           Child Loop BB84_28 Depth 5
	s_getpc_b64 s[20:21]
	s_wait_alu 0xfffe
	s_sext_i32_i16 s21, s21
	s_add_co_u32 s20, s20, __const._ZL38rocblas_trsm_small_left_device_sharedBILi16ELi16ELb1EddPKPKdPKPdEv13rocblas_fill_18rocblas_operation_17rocblas_diagonal_iiT3_T4_lilT5_lili.step_sizes@rel32@lo+12
	s_wait_alu 0xfffe
	s_add_co_ci_u32 s21, s21, __const._ZL38rocblas_trsm_small_left_device_sharedBILi16ELi16ELb1EddPKPKdPKPdEv13rocblas_fill_18rocblas_operation_17rocblas_diagonal_iiT3_T4_lilT5_lili.step_sizes@rel32@hi+24
	s_lshl_b64 s[22:23], s[18:19], 2
	s_wait_alu 0xfffe
	s_add_nc_u64 s[20:21], s[20:21], s[22:23]
	s_load_b32 s33, s[20:21], 0x0
	s_wait_kmcnt 0x0
	s_add_co_i32 s34, s33, -1
	s_delay_alu instid0(SALU_CYCLE_1)
	s_cmp_lt_i32 s3, s34
	s_cbranch_scc1 .LBB84_29
; %bb.15:                               ;   in Loop: Header=BB84_14 Depth=2
	s_lshl_b32 s20, s3, 7
	s_lshl_b32 s21, s33, 7
	s_wait_alu 0xfffe
	v_add_nc_u32_e32 v75, s20, v71
	s_max_i32 s35, s33, 1
	s_sub_co_i32 s36, 0, s21
	s_add_co_i32 s37, s31, s20
	s_mul_i32 s38, s3, 0x88
	s_mul_i32 s39, s33, 0xffffff78
	s_branch .LBB84_17
.LBB84_16:                              ;   in Loop: Header=BB84_17 Depth=3
	v_add_nc_u32_e32 v75, s36, v75
	s_sub_co_i32 s3, s3, s33
	s_add_co_i32 s37, s37, s36
	s_add_co_i32 s38, s38, s39
	s_wait_alu 0xfffe
	s_cmp_lt_i32 s3, s34
	s_cbranch_scc1 .LBB84_29
.LBB84_17:                              ;   Parent Loop BB84_3 Depth=1
                                        ;     Parent Loop BB84_14 Depth=2
                                        ; =>    This Loop Header: Depth=3
                                        ;         Child Loop BB84_18 Depth 4
                                        ;         Child Loop BB84_20 Depth 4
                                        ;           Child Loop BB84_21 Depth 5
                                        ;         Child Loop BB84_26 Depth 4
                                        ;           Child Loop BB84_28 Depth 5
	v_mov_b32_e32 v68, v75
	s_mov_b64 s[20:21], 0
.LBB84_18:                              ;   Parent Loop BB84_3 Depth=1
                                        ;     Parent Loop BB84_14 Depth=2
                                        ;       Parent Loop BB84_17 Depth=3
                                        ; =>      This Inner Loop Header: Depth=4
	ds_load_b64 v[76:77], v68
	v_add_nc_u32_e32 v68, 0xffffff80, v68
	s_wait_alu 0xfffe
	s_lshl_b32 m0, s20, 1
	s_add_nc_u64 s[20:21], s[20:21], 1
	s_wait_alu 0xfffe
	s_cmp_eq_u32 s35, s20
	s_wait_dscnt 0x0
	v_movreld_b32_e32 v34, v76
	v_movreld_b32_e32 v35, v77
	s_cbranch_scc0 .LBB84_18
; %bb.19:                               ;   in Loop: Header=BB84_17 Depth=3
	s_cmp_le_i32 s27, s3
	s_mov_b32 s22, s37
	s_mov_b32 s23, s27
	s_cbranch_scc1 .LBB84_23
.LBB84_20:                              ;   Parent Loop BB84_3 Depth=1
                                        ;     Parent Loop BB84_14 Depth=2
                                        ;       Parent Loop BB84_17 Depth=3
                                        ; =>      This Loop Header: Depth=4
                                        ;           Child Loop BB84_21 Depth 5
	s_wait_alu 0xfffe
	v_lshl_add_u32 v68, s23, 7, v71
	s_mov_b64 s[20:21], 0
	s_mov_b32 s24, s22
	ds_load_b64 v[68:69], v68
.LBB84_21:                              ;   Parent Loop BB84_3 Depth=1
                                        ;     Parent Loop BB84_14 Depth=2
                                        ;       Parent Loop BB84_17 Depth=3
                                        ;         Parent Loop BB84_20 Depth=4
                                        ; =>        This Inner Loop Header: Depth=5
	s_wait_alu 0xfffe
	v_mov_b32_e32 v76, s24
	s_lshl_b32 m0, s20, 1
	s_add_nc_u64 s[20:21], s[20:21], 1
	v_movrels_b32_e32 v79, v35
	v_movrels_b32_e32 v78, v34
	ds_load_b64 v[76:77], v76
	s_addk_co_i32 s24, 0xff80
	s_wait_alu 0xfffe
	s_cmp_eq_u32 s35, s20
	s_wait_dscnt 0x0
	v_fma_f64 v[76:77], -v[68:69], v[76:77], v[78:79]
	s_delay_alu instid0(VALU_DEP_1) | instskip(NEXT) | instid1(VALU_DEP_2)
	v_movreld_b32_e32 v34, v76
	v_movreld_b32_e32 v35, v77
	s_cbranch_scc0 .LBB84_21
; %bb.22:                               ;   in Loop: Header=BB84_20 Depth=4
	s_add_co_i32 s23, s23, -1
	s_add_co_i32 s22, s22, -8
	s_wait_alu 0xfffe
	s_cmp_le_i32 s23, s3
	s_cbranch_scc0 .LBB84_20
.LBB84_23:                              ;   in Loop: Header=BB84_17 Depth=3
	s_lshl_b32 s40, s3, 7
	s_mov_b64 s[20:21], 0
	s_mov_b32 s41, s38
	s_branch .LBB84_26
.LBB84_24:                              ;   in Loop: Header=BB84_26 Depth=4
	s_mov_b32 s43, s3
	s_mov_b64 s[22:23], 0
	s_mov_b32 s42, s40
.LBB84_25:                              ;   in Loop: Header=BB84_26 Depth=4
	s_wait_alu 0xfffe
	s_mul_i32 s23, s43, 0x88
	s_lshl_b32 m0, s22, 1
	s_wait_alu 0xfffe
	v_mov_b32_e32 v68, s23
	v_movrels_b32_e32 v77, v35
	v_movrels_b32_e32 v76, v34
	s_add_nc_u64 s[20:21], s[20:21], 1
	s_addk_co_i32 s41, 0xff80
	ds_load_b64 v[68:69], v68
	s_wait_alu 0xfffe
	s_cmp_eq_u32 s20, s35
	s_wait_dscnt 0x0
	v_mul_f64_e32 v[68:69], v[76:77], v[68:69]
	v_add_nc_u32_e32 v76, s42, v71
	s_delay_alu instid0(VALU_DEP_2) | instskip(NEXT) | instid1(VALU_DEP_3)
	v_movreld_b32_e32 v34, v68
	v_movreld_b32_e32 v35, v69
	ds_store_b64 v76, v[68:69]
	s_cbranch_scc1 .LBB84_16
.LBB84_26:                              ;   Parent Loop BB84_3 Depth=1
                                        ;     Parent Loop BB84_14 Depth=2
                                        ;       Parent Loop BB84_17 Depth=3
                                        ; =>      This Loop Header: Depth=4
                                        ;           Child Loop BB84_28 Depth 5
	s_wait_alu 0xfffe
	s_cmp_eq_u32 s20, 0
	s_cbranch_scc1 .LBB84_24
; %bb.27:                               ;   in Loop: Header=BB84_26 Depth=4
	s_sub_co_i32 s43, s3, s20
	s_mov_b64 s[22:23], s[20:21]
	s_mov_b64 s[24:25], 0
	s_wait_alu 0xfffe
	s_lshl_b32 s42, s43, 7
	s_lshl_b32 s23, s20, 1
	s_mov_b32 s44, s41
.LBB84_28:                              ;   Parent Loop BB84_3 Depth=1
                                        ;     Parent Loop BB84_14 Depth=2
                                        ;       Parent Loop BB84_17 Depth=3
                                        ;         Parent Loop BB84_26 Depth=4
                                        ; =>        This Inner Loop Header: Depth=5
	s_wait_alu 0xfffe
	v_mov_b32_e32 v68, s44
	s_lshl_b32 m0, s24, 1
	s_add_nc_u64 s[24:25], s[24:25], 1
	v_movrels_b32_e32 v77, v35
	v_movrels_b32_e32 v76, v34
	ds_load_b64 v[68:69], v68
	s_mov_b32 m0, s23
	s_add_co_i32 s44, s44, -8
	v_movrels_b32_e32 v79, v35
	v_movrels_b32_e32 v78, v34
	s_wait_alu 0xfffe
	s_cmp_eq_u32 s20, s24
	s_wait_dscnt 0x0
	s_delay_alu instid0(VALU_DEP_1) | instskip(NEXT) | instid1(VALU_DEP_1)
	v_fma_f64 v[68:69], -v[76:77], v[68:69], v[78:79]
	v_movreld_b32_e32 v34, v68
	s_delay_alu instid0(VALU_DEP_2)
	v_movreld_b32_e32 v35, v69
	s_cbranch_scc0 .LBB84_28
	s_branch .LBB84_25
.LBB84_29:                              ;   in Loop: Header=BB84_14 Depth=2
	s_cmp_gt_i32 s3, -1
	s_cselect_b32 s21, -1, 0
	s_add_co_i32 s20, s18, 1
	s_cmp_lt_u32 s18, 2
	s_cselect_b32 s18, -1, 0
	s_wait_alu 0xfffe
	s_and_b32 s18, s21, s18
	s_delay_alu instid0(SALU_CYCLE_1)
	s_and_b32 vcc_lo, exec_lo, s18
	s_wait_alu 0xfffe
	s_cbranch_vccz .LBB84_31
; %bb.30:                               ;   in Loop: Header=BB84_14 Depth=2
	s_mov_b32 s18, s20
	s_branch .LBB84_14
.LBB84_31:                              ;   in Loop: Header=BB84_3 Depth=1
	s_mov_b32 s3, 0
.LBB84_32:                              ;   in Loop: Header=BB84_3 Depth=1
	s_wait_alu 0xfffe
	s_and_b32 vcc_lo, exec_lo, s3
	s_wait_alu 0xfffe
	s_cbranch_vccz .LBB84_53
; %bb.33:                               ;   in Loop: Header=BB84_3 Depth=1
	s_mov_b32 s3, 0
	s_wait_alu 0xfffe
	s_mov_b32 s18, s3
.LBB84_34:                              ;   Parent Loop BB84_3 Depth=1
                                        ; =>  This Loop Header: Depth=2
                                        ;       Child Loop BB84_37 Depth 3
                                        ;         Child Loop BB84_38 Depth 4
                                        ;         Child Loop BB84_41 Depth 4
                                        ;           Child Loop BB84_42 Depth 5
                                        ;         Child Loop BB84_47 Depth 4
                                        ;           Child Loop BB84_49 Depth 5
	s_getpc_b64 s[20:21]
	s_wait_alu 0xfffe
	s_sext_i32_i16 s21, s21
	s_add_co_u32 s20, s20, __const._ZL38rocblas_trsm_small_left_device_sharedBILi16ELi16ELb1EddPKPKdPKPdEv13rocblas_fill_18rocblas_operation_17rocblas_diagonal_iiT3_T4_lilT5_lili.step_sizes@rel32@lo+12
	s_wait_alu 0xfffe
	s_add_co_ci_u32 s21, s21, __const._ZL38rocblas_trsm_small_left_device_sharedBILi16ELi16ELb1EddPKPKdPKPdEv13rocblas_fill_18rocblas_operation_17rocblas_diagonal_iiT3_T4_lilT5_lili.step_sizes@rel32@hi+24
	s_lshl_b64 s[22:23], s[18:19], 2
	s_wait_alu 0xfffe
	s_add_nc_u64 s[20:21], s[20:21], s[22:23]
	s_load_b32 s33, s[20:21], 0x0
	s_wait_kmcnt 0x0
	s_add_co_i32 s34, s33, -1
	s_delay_alu instid0(SALU_CYCLE_1)
	s_add_co_i32 s20, s34, s3
	s_wait_alu 0xfffe
	s_cmp_ge_i32 s20, s1
	s_cbranch_scc1 .LBB84_50
; %bb.35:                               ;   in Loop: Header=BB84_34 Depth=2
	v_lshl_add_u32 v36, s3, 7, v71
	s_max_i32 s35, s33, 1
	s_lshl_b32 s36, s33, 7
	s_lshl_b32 s37, s3, 3
	;; [unrolled: 1-line block ×3, first 2 shown]
	s_mul_i32 s39, s3, 0x88
	s_mul_i32 s40, s33, 0x88
	s_branch .LBB84_37
.LBB84_36:                              ;   in Loop: Header=BB84_37 Depth=3
	s_add_co_i32 s3, s3, s33
	v_add_nc_u32_e32 v36, s36, v36
	s_wait_alu 0xfffe
	s_add_co_i32 s20, s34, s3
	s_add_co_i32 s37, s37, s38
	;; [unrolled: 1-line block ×3, first 2 shown]
	s_wait_alu 0xfffe
	s_cmp_ge_i32 s20, s1
	s_cbranch_scc1 .LBB84_50
.LBB84_37:                              ;   Parent Loop BB84_3 Depth=1
                                        ;     Parent Loop BB84_34 Depth=2
                                        ; =>    This Loop Header: Depth=3
                                        ;         Child Loop BB84_38 Depth 4
                                        ;         Child Loop BB84_41 Depth 4
                                        ;           Child Loop BB84_42 Depth 5
                                        ;         Child Loop BB84_47 Depth 4
                                        ;           Child Loop BB84_49 Depth 5
	v_mov_b32_e32 v34, v36
	s_mov_b64 s[20:21], 0
.LBB84_38:                              ;   Parent Loop BB84_3 Depth=1
                                        ;     Parent Loop BB84_34 Depth=2
                                        ;       Parent Loop BB84_37 Depth=3
                                        ; =>      This Inner Loop Header: Depth=4
	ds_load_b64 v[37:38], v34
	v_add_nc_u32_e32 v34, 0x80, v34
	s_wait_alu 0xfffe
	s_lshl_b32 m0, s20, 1
	s_add_nc_u64 s[20:21], s[20:21], 1
	s_wait_alu 0xfffe
	s_cmp_eq_u32 s35, s20
	s_wait_dscnt 0x0
	v_movreld_b32_e32 v2, v37
	v_movreld_b32_e32 v3, v38
	s_cbranch_scc0 .LBB84_38
; %bb.39:                               ;   in Loop: Header=BB84_37 Depth=3
	s_cmp_lt_i32 s3, 1
	s_cbranch_scc1 .LBB84_44
; %bb.40:                               ;   in Loop: Header=BB84_37 Depth=3
	s_mov_b32 s22, 0
	s_mov_b32 s23, s37
.LBB84_41:                              ;   Parent Loop BB84_3 Depth=1
                                        ;     Parent Loop BB84_34 Depth=2
                                        ;       Parent Loop BB84_37 Depth=3
                                        ; =>      This Loop Header: Depth=4
                                        ;           Child Loop BB84_42 Depth 5
	s_wait_alu 0xfffe
	v_lshl_add_u32 v34, s22, 7, v71
	s_mov_b64 s[20:21], 0
	s_mov_b32 s24, s23
	ds_load_b64 v[34:35], v34
.LBB84_42:                              ;   Parent Loop BB84_3 Depth=1
                                        ;     Parent Loop BB84_34 Depth=2
                                        ;       Parent Loop BB84_37 Depth=3
                                        ;         Parent Loop BB84_41 Depth=4
                                        ; =>        This Inner Loop Header: Depth=5
	s_wait_alu 0xfffe
	v_mov_b32_e32 v37, s24
	s_lshl_b32 m0, s20, 1
	s_add_nc_u64 s[20:21], s[20:21], 1
	v_movrels_b32_e32 v40, v3
	v_movrels_b32_e32 v39, v2
	ds_load_b64 v[37:38], v37
	s_add_co_i32 s24, s24, 8
	s_wait_alu 0xfffe
	s_cmp_eq_u32 s35, s20
	s_wait_dscnt 0x0
	v_fma_f64 v[37:38], -v[34:35], v[37:38], v[39:40]
	s_delay_alu instid0(VALU_DEP_1) | instskip(NEXT) | instid1(VALU_DEP_2)
	v_movreld_b32_e32 v2, v37
	v_movreld_b32_e32 v3, v38
	s_cbranch_scc0 .LBB84_42
; %bb.43:                               ;   in Loop: Header=BB84_41 Depth=4
	s_add_co_i32 s22, s22, 1
	s_addk_co_i32 s23, 0x80
	s_wait_alu 0xfffe
	s_cmp_eq_u32 s22, s3
	s_cbranch_scc0 .LBB84_41
.LBB84_44:                              ;   in Loop: Header=BB84_37 Depth=3
	s_mov_b64 s[20:21], 0
	s_mov_b32 s41, s39
	s_branch .LBB84_47
.LBB84_45:                              ;   in Loop: Header=BB84_47 Depth=4
	s_mov_b64 s[22:23], 0
.LBB84_46:                              ;   in Loop: Header=BB84_47 Depth=4
	s_add_co_i32 s23, s20, s3
	s_wait_alu 0xfffe
	s_lshl_b32 m0, s22, 1
	s_mul_i32 s24, s23, 0x88
	v_movrels_b32_e32 v38, v3
	s_wait_alu 0xfffe
	v_mov_b32_e32 v34, s24
	v_movrels_b32_e32 v37, v2
	s_add_nc_u64 s[20:21], s[20:21], 1
	s_add_co_i32 s41, s41, 8
	s_wait_alu 0xfffe
	s_cmp_eq_u32 s20, s35
	ds_load_b64 v[34:35], v34
	s_wait_dscnt 0x0
	v_mul_f64_e32 v[34:35], v[37:38], v[34:35]
	v_lshl_add_u32 v37, s23, 7, v71
	s_delay_alu instid0(VALU_DEP_2) | instskip(NEXT) | instid1(VALU_DEP_3)
	v_movreld_b32_e32 v2, v34
	v_movreld_b32_e32 v3, v35
	ds_store_b64 v37, v[34:35]
	s_cbranch_scc1 .LBB84_36
.LBB84_47:                              ;   Parent Loop BB84_3 Depth=1
                                        ;     Parent Loop BB84_34 Depth=2
                                        ;       Parent Loop BB84_37 Depth=3
                                        ; =>      This Loop Header: Depth=4
                                        ;           Child Loop BB84_49 Depth 5
	s_wait_alu 0xfffe
	s_cmp_eq_u32 s20, 0
	s_cbranch_scc1 .LBB84_45
; %bb.48:                               ;   in Loop: Header=BB84_47 Depth=4
	s_mov_b64 s[22:23], s[20:21]
	s_mov_b64 s[24:25], 0
	s_lshl_b32 s23, s20, 1
	s_mov_b32 s42, s41
.LBB84_49:                              ;   Parent Loop BB84_3 Depth=1
                                        ;     Parent Loop BB84_34 Depth=2
                                        ;       Parent Loop BB84_37 Depth=3
                                        ;         Parent Loop BB84_47 Depth=4
                                        ; =>        This Inner Loop Header: Depth=5
	s_wait_alu 0xfffe
	v_mov_b32_e32 v34, s42
	s_lshl_b32 m0, s24, 1
	s_add_nc_u64 s[24:25], s[24:25], 1
	v_movrels_b32_e32 v38, v3
	v_movrels_b32_e32 v37, v2
	ds_load_b64 v[34:35], v34
	s_mov_b32 m0, s23
	s_addk_co_i32 s42, 0x80
	v_movrels_b32_e32 v40, v3
	v_movrels_b32_e32 v39, v2
	s_wait_alu 0xfffe
	s_cmp_eq_u32 s20, s24
	s_wait_dscnt 0x0
	s_delay_alu instid0(VALU_DEP_1) | instskip(NEXT) | instid1(VALU_DEP_1)
	v_fma_f64 v[34:35], -v[37:38], v[34:35], v[39:40]
	v_movreld_b32_e32 v2, v34
	s_delay_alu instid0(VALU_DEP_2)
	v_movreld_b32_e32 v3, v35
	s_cbranch_scc0 .LBB84_49
	s_branch .LBB84_46
.LBB84_50:                              ;   in Loop: Header=BB84_34 Depth=2
	s_cmp_lt_i32 s3, s1
	s_cselect_b32 s21, -1, 0
	s_add_co_i32 s20, s18, 1
	s_cmp_lt_u32 s18, 2
	s_cselect_b32 s18, -1, 0
	s_wait_alu 0xfffe
	s_and_b32 s18, s21, s18
	s_delay_alu instid0(SALU_CYCLE_1)
	s_and_not1_b32 vcc_lo, exec_lo, s18
	s_wait_alu 0xfffe
	s_cbranch_vccnz .LBB84_52
; %bb.51:                               ;   in Loop: Header=BB84_34 Depth=2
	s_mov_b32 s18, s20
	s_branch .LBB84_34
.LBB84_52:                              ;   in Loop: Header=BB84_3 Depth=1
	v_dual_mov_b32 v65, v33 :: v_dual_mov_b32 v64, v32
	v_dual_mov_b32 v63, v31 :: v_dual_mov_b32 v62, v30
	;; [unrolled: 1-line block ×16, first 2 shown]
.LBB84_53:                              ;   in Loop: Header=BB84_3 Depth=1
	; wave barrier
	s_wait_loadcnt_dscnt 0x0
	global_inv scope:SCOPE_SE
	s_and_saveexec_b32 s3, s30
	s_cbranch_execz .LBB84_2
; %bb.54:                               ;   in Loop: Header=BB84_3 Depth=1
	v_add_co_u32 v2, vcc_lo, v73, v66
	s_wait_alu 0xfffd
	v_add_co_ci_u32_e64 v3, null, v74, v67, vcc_lo
	v_mov_b32_e32 v4, v71
	s_mov_b32 s18, s1
.LBB84_55:                              ;   Parent Loop BB84_3 Depth=1
                                        ; =>  This Inner Loop Header: Depth=2
	ds_load_b64 v[5:6], v4
	v_add_nc_u32_e32 v4, 0x80, v4
	s_add_co_i32 s18, s18, -1
	s_delay_alu instid0(SALU_CYCLE_1)
	s_cmp_lg_u32 s18, 0
	s_wait_dscnt 0x0
	flat_store_b64 v[2:3], v[5:6]
	v_add_co_u32 v2, vcc_lo, v2, 8
	s_wait_alu 0xfffd
	v_add_co_ci_u32_e64 v3, null, 0, v3, vcc_lo
	s_cbranch_scc1 .LBB84_55
	s_branch .LBB84_2
.LBB84_56:
	s_endpgm
	.section	.rodata,"a",@progbits
	.p2align	6, 0x0
	.amdhsa_kernel _ZL38rocblas_trsm_small_left_device_sharedBILi16ELi16ELb1EddPKPKdPKPdEv13rocblas_fill_18rocblas_operation_17rocblas_diagonal_iiT3_T4_lilT5_lili
		.amdhsa_group_segment_fixed_size 4096
		.amdhsa_private_segment_fixed_size 0
		.amdhsa_kernarg_size 360
		.amdhsa_user_sgpr_count 2
		.amdhsa_user_sgpr_dispatch_ptr 0
		.amdhsa_user_sgpr_queue_ptr 0
		.amdhsa_user_sgpr_kernarg_segment_ptr 1
		.amdhsa_user_sgpr_dispatch_id 0
		.amdhsa_user_sgpr_private_segment_size 0
		.amdhsa_wavefront_size32 1
		.amdhsa_uses_dynamic_stack 0
		.amdhsa_enable_private_segment 0
		.amdhsa_system_sgpr_workgroup_id_x 1
		.amdhsa_system_sgpr_workgroup_id_y 0
		.amdhsa_system_sgpr_workgroup_id_z 1
		.amdhsa_system_sgpr_workgroup_info 0
		.amdhsa_system_vgpr_workitem_id 0
		.amdhsa_next_free_vgpr 169
		.amdhsa_next_free_sgpr 45
		.amdhsa_reserve_vcc 1
		.amdhsa_float_round_mode_32 0
		.amdhsa_float_round_mode_16_64 0
		.amdhsa_float_denorm_mode_32 3
		.amdhsa_float_denorm_mode_16_64 3
		.amdhsa_fp16_overflow 0
		.amdhsa_workgroup_processor_mode 1
		.amdhsa_memory_ordered 1
		.amdhsa_forward_progress 1
		.amdhsa_inst_pref_size 23
		.amdhsa_round_robin_scheduling 0
		.amdhsa_exception_fp_ieee_invalid_op 0
		.amdhsa_exception_fp_denorm_src 0
		.amdhsa_exception_fp_ieee_div_zero 0
		.amdhsa_exception_fp_ieee_overflow 0
		.amdhsa_exception_fp_ieee_underflow 0
		.amdhsa_exception_fp_ieee_inexact 0
		.amdhsa_exception_int_div_zero 0
	.end_amdhsa_kernel
	.section	.text._ZL38rocblas_trsm_small_left_device_sharedBILi16ELi16ELb1EddPKPKdPKPdEv13rocblas_fill_18rocblas_operation_17rocblas_diagonal_iiT3_T4_lilT5_lili,"axG",@progbits,_ZL38rocblas_trsm_small_left_device_sharedBILi16ELi16ELb1EddPKPKdPKPdEv13rocblas_fill_18rocblas_operation_17rocblas_diagonal_iiT3_T4_lilT5_lili,comdat
.Lfunc_end84:
	.size	_ZL38rocblas_trsm_small_left_device_sharedBILi16ELi16ELb1EddPKPKdPKPdEv13rocblas_fill_18rocblas_operation_17rocblas_diagonal_iiT3_T4_lilT5_lili, .Lfunc_end84-_ZL38rocblas_trsm_small_left_device_sharedBILi16ELi16ELb1EddPKPKdPKPdEv13rocblas_fill_18rocblas_operation_17rocblas_diagonal_iiT3_T4_lilT5_lili
                                        ; -- End function
	.set _ZL38rocblas_trsm_small_left_device_sharedBILi16ELi16ELb1EddPKPKdPKPdEv13rocblas_fill_18rocblas_operation_17rocblas_diagonal_iiT3_T4_lilT5_lili.num_vgpr, 80
	.set _ZL38rocblas_trsm_small_left_device_sharedBILi16ELi16ELb1EddPKPKdPKPdEv13rocblas_fill_18rocblas_operation_17rocblas_diagonal_iiT3_T4_lilT5_lili.num_agpr, 0
	.set _ZL38rocblas_trsm_small_left_device_sharedBILi16ELi16ELb1EddPKPKdPKPdEv13rocblas_fill_18rocblas_operation_17rocblas_diagonal_iiT3_T4_lilT5_lili.numbered_sgpr, 45
	.set _ZL38rocblas_trsm_small_left_device_sharedBILi16ELi16ELb1EddPKPKdPKPdEv13rocblas_fill_18rocblas_operation_17rocblas_diagonal_iiT3_T4_lilT5_lili.num_named_barrier, 0
	.set _ZL38rocblas_trsm_small_left_device_sharedBILi16ELi16ELb1EddPKPKdPKPdEv13rocblas_fill_18rocblas_operation_17rocblas_diagonal_iiT3_T4_lilT5_lili.private_seg_size, 0
	.set _ZL38rocblas_trsm_small_left_device_sharedBILi16ELi16ELb1EddPKPKdPKPdEv13rocblas_fill_18rocblas_operation_17rocblas_diagonal_iiT3_T4_lilT5_lili.uses_vcc, 1
	.set _ZL38rocblas_trsm_small_left_device_sharedBILi16ELi16ELb1EddPKPKdPKPdEv13rocblas_fill_18rocblas_operation_17rocblas_diagonal_iiT3_T4_lilT5_lili.uses_flat_scratch, 0
	.set _ZL38rocblas_trsm_small_left_device_sharedBILi16ELi16ELb1EddPKPKdPKPdEv13rocblas_fill_18rocblas_operation_17rocblas_diagonal_iiT3_T4_lilT5_lili.has_dyn_sized_stack, 0
	.set _ZL38rocblas_trsm_small_left_device_sharedBILi16ELi16ELb1EddPKPKdPKPdEv13rocblas_fill_18rocblas_operation_17rocblas_diagonal_iiT3_T4_lilT5_lili.has_recursion, 0
	.set _ZL38rocblas_trsm_small_left_device_sharedBILi16ELi16ELb1EddPKPKdPKPdEv13rocblas_fill_18rocblas_operation_17rocblas_diagonal_iiT3_T4_lilT5_lili.has_indirect_call, 0
	.section	.AMDGPU.csdata,"",@progbits
; Kernel info:
; codeLenInByte = 2916
; TotalNumSgprs: 47
; NumVgprs: 80
; ScratchSize: 0
; MemoryBound: 0
; FloatMode: 240
; IeeeMode: 1
; LDSByteSize: 4096 bytes/workgroup (compile time only)
; SGPRBlocks: 0
; VGPRBlocks: 21
; NumSGPRsForWavesPerEU: 47
; NumVGPRsForWavesPerEU: 169
; Occupancy: 8
; WaveLimiterHint : 0
; COMPUTE_PGM_RSRC2:SCRATCH_EN: 0
; COMPUTE_PGM_RSRC2:USER_SGPR: 2
; COMPUTE_PGM_RSRC2:TRAP_HANDLER: 0
; COMPUTE_PGM_RSRC2:TGID_X_EN: 1
; COMPUTE_PGM_RSRC2:TGID_Y_EN: 0
; COMPUTE_PGM_RSRC2:TGID_Z_EN: 1
; COMPUTE_PGM_RSRC2:TIDIG_COMP_CNT: 0
	.section	.text._ZL30rocblas_trsm_small_left_deviceILi16ELi16ELb1EddPKPKdPKPdEv13rocblas_fill_18rocblas_operation_17rocblas_diagonal_iiT3_T4_lilT5_lili,"axG",@progbits,_ZL30rocblas_trsm_small_left_deviceILi16ELi16ELb1EddPKPKdPKPdEv13rocblas_fill_18rocblas_operation_17rocblas_diagonal_iiT3_T4_lilT5_lili,comdat
	.globl	_ZL30rocblas_trsm_small_left_deviceILi16ELi16ELb1EddPKPKdPKPdEv13rocblas_fill_18rocblas_operation_17rocblas_diagonal_iiT3_T4_lilT5_lili ; -- Begin function _ZL30rocblas_trsm_small_left_deviceILi16ELi16ELb1EddPKPKdPKPdEv13rocblas_fill_18rocblas_operation_17rocblas_diagonal_iiT3_T4_lilT5_lili
	.p2align	8
	.type	_ZL30rocblas_trsm_small_left_deviceILi16ELi16ELb1EddPKPKdPKPdEv13rocblas_fill_18rocblas_operation_17rocblas_diagonal_iiT3_T4_lilT5_lili,@function
_ZL30rocblas_trsm_small_left_deviceILi16ELi16ELb1EddPKPKdPKPdEv13rocblas_fill_18rocblas_operation_17rocblas_diagonal_iiT3_T4_lilT5_lili: ; @_ZL30rocblas_trsm_small_left_deviceILi16ELi16ELb1EddPKPKdPKPdEv13rocblas_fill_18rocblas_operation_17rocblas_diagonal_iiT3_T4_lilT5_lili
; %bb.0:
	s_load_b32 s33, s[0:1], 0x60
	s_lshr_b32 s2, ttmp7, 16
	s_wait_kmcnt 0x0
	s_cmp_ge_u32 s2, s33
	s_cbranch_scc1 .LBB85_53
; %bb.1:
	s_clause 0x5
	s_load_b96 s[16:18], s[0:1], 0x28
	s_load_b128 s[12:15], s[0:1], 0x4
	s_load_b32 s3, s[0:1], 0x68
	s_load_b32 s20, s[0:1], 0x50
	s_load_b128 s[4:7], s[0:1], 0x18
	s_load_b128 s[8:11], s[0:1], 0x40
	s_lshl_b32 s0, ttmp9, 4
	v_dual_mov_b32 v1, 0 :: v_dual_lshlrev_b32 v72, 3, v0
	v_or_b32_e32 v2, s0, v0
	v_lshlrev_b32_e32 v34, 7, v0
	s_mov_b32 s39, 0
	s_delay_alu instid0(VALU_DEP_3)
	v_mov_b32_e32 v32, v1
	v_dual_mov_b32 v4, v1 :: v_dual_mov_b32 v7, v1
	v_dual_mov_b32 v6, v1 :: v_dual_mov_b32 v9, v1
	;; [unrolled: 1-line block ×3, first 2 shown]
	s_wait_kmcnt 0x0
	s_ashr_i32 s19, s18, 31
	s_min_i32 s34, s14, 16
	s_add_co_i32 s3, s3, -1
	v_mad_co_i64_i32 v[2:3], null, s20, v2, 0
	s_sub_co_i32 s0, s15, s0
	s_add_co_i32 s35, s34, -1
	s_wait_alu 0xfffe
	s_cmp_ge_u32 ttmp9, s3
	v_dual_mov_b32 v10, v1 :: v_dual_mov_b32 v13, v1
	s_cselect_b32 s1, s0, 16
	s_cmp_lg_u32 s13, 0x84
	v_lshlrev_b64_e32 v[66:67], 3, v[2:3]
	s_cselect_b32 s36, -1, 0
	s_cmp_lg_u32 s12, 0x6f
	v_dual_mov_b32 v2, v1 :: v_dual_mov_b32 v5, v1
	s_cselect_b32 s37, -1, 0
	s_lshl_b64 s[10:11], s[10:11], 3
	v_dual_mov_b32 v3, v1 :: v_dual_mov_b32 v12, v1
	v_dual_mov_b32 v15, v1 :: v_dual_mov_b32 v14, v1
	;; [unrolled: 1-line block ×10, first 2 shown]
	v_add_nc_u32_e32 v75, v72, v34
	v_add_co_u32 v73, vcc_lo, v66, s10
	v_cmp_gt_i32_e64 s0, s34, v0
	s_wait_alu 0xfffe
	v_cmp_gt_i32_e64 s1, s1, v0
	v_dual_mov_b32 v33, v32 :: v_dual_lshlrev_b32 v0, 3, v0
	v_add_co_ci_u32_e64 v74, null, s11, v67, vcc_lo
	v_mov_b32_e32 v32, v31
	v_mov_b32_e32 v31, v30
	v_mov_b32_e32 v30, v29
	v_mov_b32_e32 v29, v28
	v_mov_b32_e32 v28, v27
	v_mov_b32_e32 v27, v26
	v_mov_b32_e32 v26, v25
	v_mov_b32_e32 v25, v24
	v_mov_b32_e32 v24, v23
	v_mov_b32_e32 v23, v22
	v_mov_b32_e32 v22, v21
	v_mov_b32_e32 v21, v20
	v_mov_b32_e32 v20, v19
	v_mov_b32_e32 v19, v18
	v_mov_b32_e32 v18, v17
	v_mov_b32_e32 v17, v16
	v_mov_b32_e32 v16, v15
	v_mov_b32_e32 v15, v14
	v_mov_b32_e32 v14, v13
	v_mov_b32_e32 v13, v12
	v_mov_b32_e32 v12, v11
	v_mov_b32_e32 v11, v10
	v_mov_b32_e32 v10, v9
	v_mov_b32_e32 v9, v8
	v_mov_b32_e32 v8, v7
	v_mov_b32_e32 v7, v6
	v_mov_b32_e32 v6, v5
	v_mov_b32_e32 v5, v4
	v_mov_b32_e32 v4, v3
	v_mov_b32_e32 v3, v2
	v_mov_b32_e32 v2, v1
	s_lshl_b32 s38, s34, 3
	s_lshl_b64 s[12:13], s[18:19], 3
	s_add_co_i32 s38, s38, -8
	s_mov_b32 s15, 0
	s_lshl_b64 s[16:17], s[16:17], 3
	s_branch .LBB85_5
.LBB85_2:                               ;   in Loop: Header=BB85_5 Depth=1
	v_dual_mov_b32 v65, v33 :: v_dual_mov_b32 v64, v32
	v_dual_mov_b32 v63, v31 :: v_dual_mov_b32 v62, v30
	;; [unrolled: 1-line block ×16, first 2 shown]
.LBB85_3:                               ;   in Loop: Header=BB85_5 Depth=1
	s_add_co_i32 s2, s2, 0x10000
	s_delay_alu instid0(SALU_CYCLE_1) | instskip(SKIP_1) | instid1(SALU_CYCLE_1)
	s_cmp_ge_u32 s2, s33
	s_cselect_b32 s14, -1, 0
	s_or_not1_b32 s14, s14, exec_lo
.LBB85_4:                               ;   in Loop: Header=BB85_5 Depth=1
	s_or_b32 exec_lo, exec_lo, s3
	v_dual_mov_b32 v2, v34 :: v_dual_mov_b32 v3, v35
	v_dual_mov_b32 v4, v36 :: v_dual_mov_b32 v5, v37
	;; [unrolled: 1-line block ×16, first 2 shown]
	s_and_b32 s3, exec_lo, s14
	s_delay_alu instid0(SALU_CYCLE_1) | instskip(NEXT) | instid1(SALU_CYCLE_1)
	s_or_b32 s39, s3, s39
	s_and_not1_b32 exec_lo, exec_lo, s39
	s_cbranch_execz .LBB85_53
.LBB85_5:                               ; =>This Loop Header: Depth=1
                                        ;     Child Loop BB85_7 Depth 2
                                        ;     Child Loop BB85_14 Depth 2
                                        ;       Child Loop BB85_17 Depth 3
                                        ;         Child Loop BB85_18 Depth 4
                                        ;         Child Loop BB85_20 Depth 4
                                        ;           Child Loop BB85_21 Depth 5
                                        ;         Child Loop BB85_26 Depth 4
                                        ;           Child Loop BB85_28 Depth 5
                                        ;     Child Loop BB85_35 Depth 2
                                        ;       Child Loop BB85_38 Depth 3
                                        ;         Child Loop BB85_39 Depth 4
                                        ;         Child Loop BB85_42 Depth 4
                                        ;           Child Loop BB85_43 Depth 5
                                        ;         Child Loop BB85_48 Depth 4
                                        ;           Child Loop BB85_50 Depth 5
	s_mov_b32 s3, s15
	s_delay_alu instid0(SALU_CYCLE_1) | instskip(NEXT) | instid1(SALU_CYCLE_1)
	s_lshl_b64 s[18:19], s[2:3], 3
	s_add_nc_u64 s[20:21], s[8:9], s[18:19]
	global_load_b64 v[68:69], v1, s[20:21]
	s_and_saveexec_b32 s3, s0
	s_cbranch_execz .LBB85_11
; %bb.6:                                ;   in Loop: Header=BB85_5 Depth=1
	s_add_nc_u64 s[18:19], s[6:7], s[18:19]
	v_mov_b32_e32 v36, v72
	global_load_b64 v[34:35], v1, s[18:19]
	s_mov_b32 s14, s34
	s_wait_loadcnt 0x0
	v_add_co_u32 v34, vcc_lo, v34, s16
	s_wait_alu 0xfffd
	v_add_co_ci_u32_e64 v35, null, s17, v35, vcc_lo
	s_delay_alu instid0(VALU_DEP_2) | instskip(SKIP_1) | instid1(VALU_DEP_2)
	v_add_co_u32 v34, vcc_lo, v34, v0
	s_wait_alu 0xfffd
	v_add_co_ci_u32_e64 v35, null, 0, v35, vcc_lo
.LBB85_7:                               ;   Parent Loop BB85_5 Depth=1
                                        ; =>  This Inner Loop Header: Depth=2
	flat_load_b64 v[37:38], v[34:35]
	v_add_co_u32 v34, vcc_lo, v34, s12
	s_wait_alu 0xfffd
	v_add_co_ci_u32_e64 v35, null, s13, v35, vcc_lo
	s_add_co_i32 s14, s14, -1
	s_delay_alu instid0(SALU_CYCLE_1)
	s_cmp_eq_u32 s14, 0
	s_wait_loadcnt_dscnt 0x0
	ds_store_b64 v36, v[37:38]
	v_add_nc_u32_e32 v36, 0x80, v36
	s_cbranch_scc0 .LBB85_7
; %bb.8:                                ;   in Loop: Header=BB85_5 Depth=1
	v_mov_b32_e32 v34, 0
	v_mov_b32_e32 v35, 0x3ff00000
	s_and_b32 vcc_lo, exec_lo, s36
	s_wait_alu 0xfffe
	s_cbranch_vccz .LBB85_10
; %bb.9:                                ;   in Loop: Header=BB85_5 Depth=1
	ds_load_b64 v[34:35], v75
	s_wait_dscnt 0x0
	v_div_scale_f64 v[36:37], null, v[34:35], v[34:35], 1.0
	s_delay_alu instid0(VALU_DEP_1) | instskip(NEXT) | instid1(TRANS32_DEP_1)
	v_rcp_f64_e32 v[38:39], v[36:37]
	v_fma_f64 v[40:41], -v[36:37], v[38:39], 1.0
	s_delay_alu instid0(VALU_DEP_1) | instskip(NEXT) | instid1(VALU_DEP_1)
	v_fma_f64 v[38:39], v[38:39], v[40:41], v[38:39]
	v_fma_f64 v[40:41], -v[36:37], v[38:39], 1.0
	s_delay_alu instid0(VALU_DEP_1) | instskip(SKIP_1) | instid1(VALU_DEP_1)
	v_fma_f64 v[38:39], v[38:39], v[40:41], v[38:39]
	v_div_scale_f64 v[40:41], vcc_lo, 1.0, v[34:35], 1.0
	v_mul_f64_e32 v[42:43], v[40:41], v[38:39]
	s_delay_alu instid0(VALU_DEP_1) | instskip(SKIP_1) | instid1(VALU_DEP_1)
	v_fma_f64 v[36:37], -v[36:37], v[42:43], v[40:41]
	s_wait_alu 0xfffd
	v_div_fmas_f64 v[36:37], v[36:37], v[38:39], v[42:43]
	s_delay_alu instid0(VALU_DEP_1)
	v_div_fixup_f64 v[34:35], v[36:37], v[34:35], 1.0
.LBB85_10:                              ;   in Loop: Header=BB85_5 Depth=1
	ds_store_b64 v75, v[34:35]
.LBB85_11:                              ;   in Loop: Header=BB85_5 Depth=1
	s_or_b32 exec_lo, exec_lo, s3
	s_mov_b32 s14, -1
	; wave barrier
	s_wait_loadcnt_dscnt 0x0
	global_inv scope:SCOPE_SE
                                        ; implicit-def: $vgpr34_vgpr35_vgpr36_vgpr37_vgpr38_vgpr39_vgpr40_vgpr41_vgpr42_vgpr43_vgpr44_vgpr45_vgpr46_vgpr47_vgpr48_vgpr49_vgpr50_vgpr51_vgpr52_vgpr53_vgpr54_vgpr55_vgpr56_vgpr57_vgpr58_vgpr59_vgpr60_vgpr61_vgpr62_vgpr63_vgpr64_vgpr65
	s_and_saveexec_b32 s3, s1
	s_cbranch_execz .LBB85_4
; %bb.12:                               ;   in Loop: Header=BB85_5 Depth=1
	v_add_co_u32 v34, vcc_lo, v68, s10
	s_wait_alu 0xfffd
	v_add_co_ci_u32_e64 v35, null, s11, v69, vcc_lo
	s_delay_alu instid0(VALU_DEP_2) | instskip(SKIP_1) | instid1(VALU_DEP_2)
	v_add_co_u32 v76, vcc_lo, v34, v66
	s_wait_alu 0xfffd
	v_add_co_ci_u32_e64 v77, null, v35, v67, vcc_lo
	s_and_not1_b32 vcc_lo, exec_lo, s37
                                        ; implicit-def: $vgpr34_vgpr35_vgpr36_vgpr37_vgpr38_vgpr39_vgpr40_vgpr41_vgpr42_vgpr43_vgpr44_vgpr45_vgpr46_vgpr47_vgpr48_vgpr49_vgpr50_vgpr51_vgpr52_vgpr53_vgpr54_vgpr55_vgpr56_vgpr57_vgpr58_vgpr59_vgpr60_vgpr61_vgpr62_vgpr63_vgpr64_vgpr65
	s_wait_alu 0xfffe
	s_cbranch_vccnz .LBB85_33
; %bb.13:                               ;   in Loop: Header=BB85_5 Depth=1
	v_add_co_u32 v78, vcc_lo, v68, v73
	v_dual_mov_b32 v65, v33 :: v_dual_mov_b32 v64, v32
	v_dual_mov_b32 v63, v31 :: v_dual_mov_b32 v62, v30
	;; [unrolled: 1-line block ×16, first 2 shown]
	s_wait_alu 0xfffd
	v_add_co_ci_u32_e64 v79, null, v69, v74, vcc_lo
	s_mov_b32 s14, 0
	s_mov_b32 s18, s35
.LBB85_14:                              ;   Parent Loop BB85_5 Depth=1
                                        ; =>  This Loop Header: Depth=2
                                        ;       Child Loop BB85_17 Depth 3
                                        ;         Child Loop BB85_18 Depth 4
                                        ;         Child Loop BB85_20 Depth 4
                                        ;           Child Loop BB85_21 Depth 5
                                        ;         Child Loop BB85_26 Depth 4
                                        ;           Child Loop BB85_28 Depth 5
	s_getpc_b64 s[20:21]
	s_wait_alu 0xfffe
	s_sext_i32_i16 s21, s21
	s_add_co_u32 s20, s20, __const._ZL30rocblas_trsm_small_left_deviceILi16ELi16ELb1EddPKPKdPKPdEv13rocblas_fill_18rocblas_operation_17rocblas_diagonal_iiT3_T4_lilT5_lili.step_sizes@rel32@lo+12
	s_wait_alu 0xfffe
	s_add_co_ci_u32 s21, s21, __const._ZL30rocblas_trsm_small_left_deviceILi16ELi16ELb1EddPKPKdPKPdEv13rocblas_fill_18rocblas_operation_17rocblas_diagonal_iiT3_T4_lilT5_lili.step_sizes@rel32@hi+24
	s_lshl_b64 s[22:23], s[14:15], 2
	s_wait_alu 0xfffe
	s_add_nc_u64 s[20:21], s[20:21], s[22:23]
	s_load_b32 s28, s[20:21], 0x0
	s_wait_kmcnt 0x0
	s_add_co_i32 s29, s28, -1
	s_wait_alu 0xfffe
	s_cmp_lt_i32 s18, s29
	s_cbranch_scc1 .LBB85_30
; %bb.15:                               ;   in Loop: Header=BB85_14 Depth=2
	s_lshl_b32 s19, s18, 7
	s_lshl_b32 s20, s28, 7
	s_max_i32 s30, s28, 1
	s_add_co_i32 s31, s38, s19
	s_wait_alu 0xfffe
	s_sub_co_i32 s40, 0, s20
	s_mul_i32 s41, s18, 0x88
	s_mul_i32 s42, s28, 0xffffff78
	s_branch .LBB85_17
.LBB85_16:                              ;   in Loop: Header=BB85_17 Depth=3
	s_sub_co_i32 s18, s18, s28
	s_add_co_i32 s31, s31, s40
	s_add_co_i32 s41, s41, s42
	s_cmp_lt_i32 s18, s29
	s_cbranch_scc1 .LBB85_30
.LBB85_17:                              ;   Parent Loop BB85_5 Depth=1
                                        ;     Parent Loop BB85_14 Depth=2
                                        ; =>    This Loop Header: Depth=3
                                        ;         Child Loop BB85_18 Depth 4
                                        ;         Child Loop BB85_20 Depth 4
                                        ;           Child Loop BB85_21 Depth 5
                                        ;         Child Loop BB85_26 Depth 4
                                        ;           Child Loop BB85_28 Depth 5
	s_ashr_i32 s19, s18, 31
	s_delay_alu instid0(SALU_CYCLE_1)
	s_lshl_b64 s[20:21], s[18:19], 3
	s_wait_alu 0xfffe
	v_add_co_u32 v70, vcc_lo, v78, s20
	s_wait_alu 0xfffd
	v_add_co_ci_u32_e64 v71, null, s21, v79, vcc_lo
	s_mov_b64 s[20:21], 0
.LBB85_18:                              ;   Parent Loop BB85_5 Depth=1
                                        ;     Parent Loop BB85_14 Depth=2
                                        ;       Parent Loop BB85_17 Depth=3
                                        ; =>      This Inner Loop Header: Depth=4
	flat_load_b64 v[80:81], v[70:71]
	v_add_co_u32 v70, vcc_lo, v70, -8
	s_wait_alu 0xfffd
	v_add_co_ci_u32_e64 v71, null, -1, v71, vcc_lo
	s_wait_alu 0xfffe
	s_lshl_b32 m0, s20, 1
	s_add_nc_u64 s[20:21], s[20:21], 1
	s_wait_alu 0xfffe
	s_cmp_eq_u32 s30, s20
	s_wait_loadcnt_dscnt 0x0
	v_mul_f64_e32 v[80:81], s[4:5], v[80:81]
	s_delay_alu instid0(VALU_DEP_1) | instskip(NEXT) | instid1(VALU_DEP_2)
	v_movreld_b32_e32 v34, v80
	v_movreld_b32_e32 v35, v81
	s_cbranch_scc0 .LBB85_18
; %bb.19:                               ;   in Loop: Header=BB85_17 Depth=3
	s_cmp_le_i32 s35, s18
	s_mov_b32 s24, s31
	s_mov_b32 s20, s35
	s_cbranch_scc1 .LBB85_23
.LBB85_20:                              ;   Parent Loop BB85_5 Depth=1
                                        ;     Parent Loop BB85_14 Depth=2
                                        ;       Parent Loop BB85_17 Depth=3
                                        ; =>      This Loop Header: Depth=4
                                        ;           Child Loop BB85_21 Depth 5
	s_wait_alu 0xfffe
	s_ashr_i32 s21, s20, 31
	s_wait_alu 0xfffe
	s_lshl_b64 s[22:23], s[20:21], 3
	s_mov_b32 s21, s24
	s_wait_alu 0xfffe
	v_add_co_u32 v70, vcc_lo, v76, s22
	s_wait_alu 0xfffd
	v_add_co_ci_u32_e64 v71, null, s23, v77, vcc_lo
	s_mov_b64 s[22:23], 0
	flat_load_b64 v[70:71], v[70:71]
.LBB85_21:                              ;   Parent Loop BB85_5 Depth=1
                                        ;     Parent Loop BB85_14 Depth=2
                                        ;       Parent Loop BB85_17 Depth=3
                                        ;         Parent Loop BB85_20 Depth=4
                                        ; =>        This Inner Loop Header: Depth=5
	s_wait_alu 0xfffe
	v_mov_b32_e32 v80, s21
	s_lshl_b32 m0, s22, 1
	s_add_nc_u64 s[22:23], s[22:23], 1
	v_movrels_b32_e32 v83, v35
	v_movrels_b32_e32 v82, v34
	ds_load_b64 v[80:81], v80
	s_addk_co_i32 s21, 0xff80
	s_wait_alu 0xfffe
	s_cmp_eq_u32 s30, s22
	s_wait_loadcnt_dscnt 0x0
	v_fma_f64 v[80:81], -v[70:71], v[80:81], v[82:83]
	s_delay_alu instid0(VALU_DEP_1) | instskip(NEXT) | instid1(VALU_DEP_2)
	v_movreld_b32_e32 v34, v80
	v_movreld_b32_e32 v35, v81
	s_cbranch_scc0 .LBB85_21
; %bb.22:                               ;   in Loop: Header=BB85_20 Depth=4
	s_add_co_i32 s20, s20, -1
	s_add_co_i32 s24, s24, -8
	s_wait_alu 0xfffe
	s_cmp_le_i32 s20, s18
	s_cbranch_scc0 .LBB85_20
.LBB85_23:                              ;   in Loop: Header=BB85_17 Depth=3
	s_mov_b64 s[20:21], 0
	s_mov_b32 s43, s41
	s_branch .LBB85_26
.LBB85_24:                              ;   in Loop: Header=BB85_26 Depth=4
	s_mov_b32 s26, s18
	s_mov_b64 s[22:23], 0
	s_mov_b64 s[24:25], s[18:19]
.LBB85_25:                              ;   in Loop: Header=BB85_26 Depth=4
	s_wait_alu 0xfffe
	s_mul_i32 s23, s26, 0x88
	s_lshl_b32 m0, s22, 1
	s_wait_alu 0xfffe
	v_mov_b32_e32 v70, s23
	v_movrels_b32_e32 v81, v35
	v_movrels_b32_e32 v80, v34
	s_lshl_b64 s[22:23], s[24:25], 3
	s_add_nc_u64 s[20:21], s[20:21], 1
	ds_load_b64 v[70:71], v70
	s_addk_co_i32 s43, 0xff80
	s_wait_alu 0xfffe
	s_cmp_eq_u32 s20, s30
	s_wait_dscnt 0x0
	v_mul_f64_e32 v[70:71], v[80:81], v[70:71]
	v_add_co_u32 v80, vcc_lo, v76, s22
	s_wait_alu 0xfffd
	v_add_co_ci_u32_e64 v81, null, s23, v77, vcc_lo
	s_delay_alu instid0(VALU_DEP_3) | instskip(NEXT) | instid1(VALU_DEP_4)
	v_movreld_b32_e32 v34, v70
	v_movreld_b32_e32 v35, v71
	flat_store_b64 v[80:81], v[70:71]
	s_cbranch_scc1 .LBB85_16
.LBB85_26:                              ;   Parent Loop BB85_5 Depth=1
                                        ;     Parent Loop BB85_14 Depth=2
                                        ;       Parent Loop BB85_17 Depth=3
                                        ; =>      This Loop Header: Depth=4
                                        ;           Child Loop BB85_28 Depth 5
	s_wait_alu 0xfffe
	s_cmp_eq_u32 s20, 0
	s_cbranch_scc1 .LBB85_24
; %bb.27:                               ;   in Loop: Header=BB85_26 Depth=4
	s_mov_b64 s[22:23], s[20:21]
	s_mov_b64 s[24:25], 0
	s_lshl_b32 s23, s20, 1
	s_mov_b32 s26, s43
.LBB85_28:                              ;   Parent Loop BB85_5 Depth=1
                                        ;     Parent Loop BB85_14 Depth=2
                                        ;       Parent Loop BB85_17 Depth=3
                                        ;         Parent Loop BB85_26 Depth=4
                                        ; =>        This Inner Loop Header: Depth=5
	s_wait_alu 0xfffe
	v_mov_b32_e32 v70, s26
	s_lshl_b32 m0, s24, 1
	s_add_nc_u64 s[24:25], s[24:25], 1
	v_movrels_b32_e32 v81, v35
	v_movrels_b32_e32 v80, v34
	ds_load_b64 v[70:71], v70
	s_mov_b32 m0, s23
	s_add_co_i32 s26, s26, -8
	v_movrels_b32_e32 v83, v35
	v_movrels_b32_e32 v82, v34
	s_wait_alu 0xfffe
	s_cmp_eq_u32 s20, s24
	s_wait_dscnt 0x0
	s_delay_alu instid0(VALU_DEP_1) | instskip(NEXT) | instid1(VALU_DEP_1)
	v_fma_f64 v[70:71], -v[80:81], v[70:71], v[82:83]
	v_movreld_b32_e32 v34, v70
	s_delay_alu instid0(VALU_DEP_2)
	v_movreld_b32_e32 v35, v71
	s_cbranch_scc0 .LBB85_28
; %bb.29:                               ;   in Loop: Header=BB85_26 Depth=4
	s_sub_co_i32 s26, s18, s20
	s_wait_alu 0xfffe
	s_ashr_i32 s27, s26, 31
	s_wait_alu 0xfffe
	s_mov_b64 s[24:25], s[26:27]
	s_branch .LBB85_25
.LBB85_30:                              ;   in Loop: Header=BB85_14 Depth=2
	s_cmp_gt_i32 s18, -1
	s_cselect_b32 s20, -1, 0
	s_add_co_i32 s19, s14, 1
	s_cmp_lt_u32 s14, 2
	s_cselect_b32 s14, -1, 0
	s_wait_alu 0xfffe
	s_and_b32 s14, s20, s14
	s_delay_alu instid0(SALU_CYCLE_1)
	s_and_b32 vcc_lo, exec_lo, s14
	s_wait_alu 0xfffe
	s_cbranch_vccz .LBB85_32
; %bb.31:                               ;   in Loop: Header=BB85_14 Depth=2
	s_mov_b32 s14, s19
	s_branch .LBB85_14
.LBB85_32:                              ;   in Loop: Header=BB85_5 Depth=1
	s_mov_b32 s14, 0
.LBB85_33:                              ;   in Loop: Header=BB85_5 Depth=1
	s_delay_alu instid0(SALU_CYCLE_1)
	s_and_b32 vcc_lo, exec_lo, s14
	s_wait_alu 0xfffe
	s_cbranch_vccz .LBB85_3
; %bb.34:                               ;   in Loop: Header=BB85_5 Depth=1
	v_add_co_u32 v38, vcc_lo, v68, v73
	s_wait_alu 0xfffd
	v_add_co_ci_u32_e64 v39, null, v69, v74, vcc_lo
	s_mov_b32 s18, 0
	s_mov_b32 s20, 0
.LBB85_35:                              ;   Parent Loop BB85_5 Depth=1
                                        ; =>  This Loop Header: Depth=2
                                        ;       Child Loop BB85_38 Depth 3
                                        ;         Child Loop BB85_39 Depth 4
                                        ;         Child Loop BB85_42 Depth 4
                                        ;           Child Loop BB85_43 Depth 5
                                        ;         Child Loop BB85_48 Depth 4
                                        ;           Child Loop BB85_50 Depth 5
	s_mov_b32 s21, s15
	s_getpc_b64 s[22:23]
	s_wait_alu 0xfffe
	s_sext_i32_i16 s23, s23
	s_add_co_u32 s22, s22, __const._ZL30rocblas_trsm_small_left_deviceILi16ELi16ELb1EddPKPKdPKPdEv13rocblas_fill_18rocblas_operation_17rocblas_diagonal_iiT3_T4_lilT5_lili.step_sizes@rel32@lo+12
	s_wait_alu 0xfffe
	s_add_co_ci_u32 s23, s23, __const._ZL30rocblas_trsm_small_left_deviceILi16ELi16ELb1EddPKPKdPKPdEv13rocblas_fill_18rocblas_operation_17rocblas_diagonal_iiT3_T4_lilT5_lili.step_sizes@rel32@hi+24
	s_lshl_b64 s[24:25], s[20:21], 2
	s_wait_alu 0xfffe
	s_add_nc_u64 s[22:23], s[22:23], s[24:25]
	s_load_b32 s22, s[22:23], 0x0
	s_wait_kmcnt 0x0
	s_add_co_i32 s21, s22, -1
	s_wait_alu 0xfffe
	s_add_co_i32 s14, s21, s18
	s_delay_alu instid0(SALU_CYCLE_1)
	s_cmp_ge_i32 s14, s34
	s_cbranch_scc1 .LBB85_51
; %bb.36:                               ;   in Loop: Header=BB85_35 Depth=2
	s_ashr_i32 s19, s18, 31
	s_ashr_i32 s23, s22, 31
	s_lshl_b64 s[24:25], s[18:19], 3
	s_max_i32 s40, s22, 1
	s_wait_alu 0xfffe
	v_add_co_u32 v34, vcc_lo, v38, s24
	s_wait_alu 0xfffd
	v_add_co_ci_u32_e64 v35, null, s25, v39, vcc_lo
	s_lshl_b64 s[24:25], s[22:23], 3
	s_lshl_b32 s19, s18, 3
	s_lshl_b32 s23, s22, 3
	s_mul_i32 s41, s18, 0x88
	s_mul_i32 s42, s22, 0x88
	s_branch .LBB85_38
.LBB85_37:                              ;   in Loop: Header=BB85_38 Depth=3
	v_add_co_u32 v34, vcc_lo, v34, s24
	s_add_co_i32 s18, s18, s22
	s_wait_alu 0xfffd
	v_add_co_ci_u32_e64 v35, null, s25, v35, vcc_lo
	s_add_co_i32 s14, s21, s18
	s_add_co_i32 s19, s19, s23
	;; [unrolled: 1-line block ×3, first 2 shown]
	s_cmp_ge_i32 s14, s34
	s_cbranch_scc1 .LBB85_51
.LBB85_38:                              ;   Parent Loop BB85_5 Depth=1
                                        ;     Parent Loop BB85_35 Depth=2
                                        ; =>    This Loop Header: Depth=3
                                        ;         Child Loop BB85_39 Depth 4
                                        ;         Child Loop BB85_42 Depth 4
                                        ;           Child Loop BB85_43 Depth 5
                                        ;         Child Loop BB85_48 Depth 4
                                        ;           Child Loop BB85_50 Depth 5
	v_dual_mov_b32 v37, v35 :: v_dual_mov_b32 v36, v34
	s_mov_b64 s[26:27], 0
.LBB85_39:                              ;   Parent Loop BB85_5 Depth=1
                                        ;     Parent Loop BB85_35 Depth=2
                                        ;       Parent Loop BB85_38 Depth=3
                                        ; =>      This Inner Loop Header: Depth=4
	flat_load_b64 v[40:41], v[36:37]
	v_add_co_u32 v36, vcc_lo, v36, 8
	s_wait_alu 0xfffd
	v_add_co_ci_u32_e64 v37, null, 0, v37, vcc_lo
	s_wait_alu 0xfffe
	s_lshl_b32 m0, s26, 1
	s_add_nc_u64 s[26:27], s[26:27], 1
	s_wait_alu 0xfffe
	s_cmp_eq_u32 s40, s26
	s_wait_loadcnt_dscnt 0x0
	v_mul_f64_e32 v[40:41], s[4:5], v[40:41]
	s_delay_alu instid0(VALU_DEP_1) | instskip(NEXT) | instid1(VALU_DEP_2)
	v_movreld_b32_e32 v2, v40
	v_movreld_b32_e32 v3, v41
	s_cbranch_scc0 .LBB85_39
; %bb.40:                               ;   in Loop: Header=BB85_38 Depth=3
	s_cmp_lt_i32 s18, 1
	s_cbranch_scc1 .LBB85_45
; %bb.41:                               ;   in Loop: Header=BB85_38 Depth=3
	s_mov_b32 s14, 0
	s_mov_b32 s28, s19
.LBB85_42:                              ;   Parent Loop BB85_5 Depth=1
                                        ;     Parent Loop BB85_35 Depth=2
                                        ;       Parent Loop BB85_38 Depth=3
                                        ; =>      This Loop Header: Depth=4
                                        ;           Child Loop BB85_43 Depth 5
	s_lshl_b64 s[26:27], s[14:15], 3
	s_wait_alu 0xfffe
	s_mov_b32 s29, s28
	v_add_co_u32 v36, vcc_lo, v76, s26
	s_wait_alu 0xfffd
	v_add_co_ci_u32_e64 v37, null, s27, v77, vcc_lo
	s_mov_b64 s[26:27], 0
	flat_load_b64 v[36:37], v[36:37]
.LBB85_43:                              ;   Parent Loop BB85_5 Depth=1
                                        ;     Parent Loop BB85_35 Depth=2
                                        ;       Parent Loop BB85_38 Depth=3
                                        ;         Parent Loop BB85_42 Depth=4
                                        ; =>        This Inner Loop Header: Depth=5
	s_wait_alu 0xfffe
	v_mov_b32_e32 v40, s29
	s_lshl_b32 m0, s26, 1
	s_add_nc_u64 s[26:27], s[26:27], 1
	v_movrels_b32_e32 v43, v3
	v_movrels_b32_e32 v42, v2
	ds_load_b64 v[40:41], v40
	s_add_co_i32 s29, s29, 8
	s_wait_alu 0xfffe
	s_cmp_eq_u32 s40, s26
	s_wait_loadcnt_dscnt 0x0
	v_fma_f64 v[40:41], -v[36:37], v[40:41], v[42:43]
	s_delay_alu instid0(VALU_DEP_1) | instskip(NEXT) | instid1(VALU_DEP_2)
	v_movreld_b32_e32 v2, v40
	v_movreld_b32_e32 v3, v41
	s_cbranch_scc0 .LBB85_43
; %bb.44:                               ;   in Loop: Header=BB85_42 Depth=4
	s_add_co_i32 s14, s14, 1
	s_addk_co_i32 s28, 0x80
	s_cmp_eq_u32 s14, s18
	s_cbranch_scc0 .LBB85_42
.LBB85_45:                              ;   in Loop: Header=BB85_38 Depth=3
	s_mov_b64 s[26:27], 0
	s_mov_b32 s14, s41
	s_branch .LBB85_48
.LBB85_46:                              ;   in Loop: Header=BB85_48 Depth=4
	s_mov_b64 s[28:29], 0
.LBB85_47:                              ;   in Loop: Header=BB85_48 Depth=4
	s_add_co_i32 s30, s26, s18
	s_wait_alu 0xfffe
	s_lshl_b32 m0, s28, 1
	s_mul_i32 s29, s30, 0x88
	v_movrels_b32_e32 v41, v3
	s_wait_alu 0xfffe
	v_mov_b32_e32 v36, s29
	v_movrels_b32_e32 v40, v2
	s_ashr_i32 s31, s30, 31
	s_add_nc_u64 s[26:27], s[26:27], 1
	s_lshl_b64 s[28:29], s[30:31], 3
	ds_load_b64 v[36:37], v36
	s_add_co_i32 s14, s14, 8
	s_wait_alu 0xfffe
	s_cmp_eq_u32 s26, s40
	s_wait_dscnt 0x0
	v_mul_f64_e32 v[36:37], v[40:41], v[36:37]
	v_add_co_u32 v40, vcc_lo, v76, s28
	s_wait_alu 0xfffd
	v_add_co_ci_u32_e64 v41, null, s29, v77, vcc_lo
	s_delay_alu instid0(VALU_DEP_3) | instskip(NEXT) | instid1(VALU_DEP_4)
	v_movreld_b32_e32 v2, v36
	v_movreld_b32_e32 v3, v37
	flat_store_b64 v[40:41], v[36:37]
	s_cbranch_scc1 .LBB85_37
.LBB85_48:                              ;   Parent Loop BB85_5 Depth=1
                                        ;     Parent Loop BB85_35 Depth=2
                                        ;       Parent Loop BB85_38 Depth=3
                                        ; =>      This Loop Header: Depth=4
                                        ;           Child Loop BB85_50 Depth 5
	s_wait_alu 0xfffe
	s_cmp_eq_u32 s26, 0
	s_cbranch_scc1 .LBB85_46
; %bb.49:                               ;   in Loop: Header=BB85_48 Depth=4
	s_mov_b64 s[28:29], s[26:27]
	s_mov_b64 s[30:31], 0
	s_lshl_b32 s29, s26, 1
	s_mov_b32 s43, s14
.LBB85_50:                              ;   Parent Loop BB85_5 Depth=1
                                        ;     Parent Loop BB85_35 Depth=2
                                        ;       Parent Loop BB85_38 Depth=3
                                        ;         Parent Loop BB85_48 Depth=4
                                        ; =>        This Inner Loop Header: Depth=5
	s_wait_alu 0xfffe
	v_mov_b32_e32 v36, s43
	s_lshl_b32 m0, s30, 1
	s_add_nc_u64 s[30:31], s[30:31], 1
	v_movrels_b32_e32 v41, v3
	v_movrels_b32_e32 v40, v2
	ds_load_b64 v[36:37], v36
	s_mov_b32 m0, s29
	s_addk_co_i32 s43, 0x80
	v_movrels_b32_e32 v43, v3
	v_movrels_b32_e32 v42, v2
	s_cmp_eq_u32 s26, s30
	s_wait_dscnt 0x0
	s_delay_alu instid0(VALU_DEP_1) | instskip(NEXT) | instid1(VALU_DEP_1)
	v_fma_f64 v[36:37], -v[40:41], v[36:37], v[42:43]
	v_movreld_b32_e32 v2, v36
	s_delay_alu instid0(VALU_DEP_2)
	v_movreld_b32_e32 v3, v37
	s_cbranch_scc0 .LBB85_50
	s_branch .LBB85_47
.LBB85_51:                              ;   in Loop: Header=BB85_35 Depth=2
	s_cmp_lt_i32 s18, s34
	s_cselect_b32 s19, -1, 0
	s_add_co_i32 s14, s20, 1
	s_cmp_lt_u32 s20, 2
	s_cselect_b32 s20, -1, 0
	s_wait_alu 0xfffe
	s_and_b32 s19, s19, s20
	s_delay_alu instid0(SALU_CYCLE_1)
	s_and_not1_b32 vcc_lo, exec_lo, s19
	s_wait_alu 0xfffe
	s_cbranch_vccnz .LBB85_2
; %bb.52:                               ;   in Loop: Header=BB85_35 Depth=2
	s_mov_b32 s20, s14
	s_branch .LBB85_35
.LBB85_53:
	s_endpgm
	.section	.rodata,"a",@progbits
	.p2align	6, 0x0
	.amdhsa_kernel _ZL30rocblas_trsm_small_left_deviceILi16ELi16ELb1EddPKPKdPKPdEv13rocblas_fill_18rocblas_operation_17rocblas_diagonal_iiT3_T4_lilT5_lili
		.amdhsa_group_segment_fixed_size 2048
		.amdhsa_private_segment_fixed_size 0
		.amdhsa_kernarg_size 360
		.amdhsa_user_sgpr_count 2
		.amdhsa_user_sgpr_dispatch_ptr 0
		.amdhsa_user_sgpr_queue_ptr 0
		.amdhsa_user_sgpr_kernarg_segment_ptr 1
		.amdhsa_user_sgpr_dispatch_id 0
		.amdhsa_user_sgpr_private_segment_size 0
		.amdhsa_wavefront_size32 1
		.amdhsa_uses_dynamic_stack 0
		.amdhsa_enable_private_segment 0
		.amdhsa_system_sgpr_workgroup_id_x 1
		.amdhsa_system_sgpr_workgroup_id_y 0
		.amdhsa_system_sgpr_workgroup_id_z 1
		.amdhsa_system_sgpr_workgroup_info 0
		.amdhsa_system_vgpr_workitem_id 0
		.amdhsa_next_free_vgpr 84
		.amdhsa_next_free_sgpr 44
		.amdhsa_reserve_vcc 1
		.amdhsa_float_round_mode_32 0
		.amdhsa_float_round_mode_16_64 0
		.amdhsa_float_denorm_mode_32 3
		.amdhsa_float_denorm_mode_16_64 3
		.amdhsa_fp16_overflow 0
		.amdhsa_workgroup_processor_mode 1
		.amdhsa_memory_ordered 1
		.amdhsa_forward_progress 1
		.amdhsa_inst_pref_size 23
		.amdhsa_round_robin_scheduling 0
		.amdhsa_exception_fp_ieee_invalid_op 0
		.amdhsa_exception_fp_denorm_src 0
		.amdhsa_exception_fp_ieee_div_zero 0
		.amdhsa_exception_fp_ieee_overflow 0
		.amdhsa_exception_fp_ieee_underflow 0
		.amdhsa_exception_fp_ieee_inexact 0
		.amdhsa_exception_int_div_zero 0
	.end_amdhsa_kernel
	.section	.text._ZL30rocblas_trsm_small_left_deviceILi16ELi16ELb1EddPKPKdPKPdEv13rocblas_fill_18rocblas_operation_17rocblas_diagonal_iiT3_T4_lilT5_lili,"axG",@progbits,_ZL30rocblas_trsm_small_left_deviceILi16ELi16ELb1EddPKPKdPKPdEv13rocblas_fill_18rocblas_operation_17rocblas_diagonal_iiT3_T4_lilT5_lili,comdat
.Lfunc_end85:
	.size	_ZL30rocblas_trsm_small_left_deviceILi16ELi16ELb1EddPKPKdPKPdEv13rocblas_fill_18rocblas_operation_17rocblas_diagonal_iiT3_T4_lilT5_lili, .Lfunc_end85-_ZL30rocblas_trsm_small_left_deviceILi16ELi16ELb1EddPKPKdPKPdEv13rocblas_fill_18rocblas_operation_17rocblas_diagonal_iiT3_T4_lilT5_lili
                                        ; -- End function
	.set _ZL30rocblas_trsm_small_left_deviceILi16ELi16ELb1EddPKPKdPKPdEv13rocblas_fill_18rocblas_operation_17rocblas_diagonal_iiT3_T4_lilT5_lili.num_vgpr, 84
	.set _ZL30rocblas_trsm_small_left_deviceILi16ELi16ELb1EddPKPKdPKPdEv13rocblas_fill_18rocblas_operation_17rocblas_diagonal_iiT3_T4_lilT5_lili.num_agpr, 0
	.set _ZL30rocblas_trsm_small_left_deviceILi16ELi16ELb1EddPKPKdPKPdEv13rocblas_fill_18rocblas_operation_17rocblas_diagonal_iiT3_T4_lilT5_lili.numbered_sgpr, 44
	.set _ZL30rocblas_trsm_small_left_deviceILi16ELi16ELb1EddPKPKdPKPdEv13rocblas_fill_18rocblas_operation_17rocblas_diagonal_iiT3_T4_lilT5_lili.num_named_barrier, 0
	.set _ZL30rocblas_trsm_small_left_deviceILi16ELi16ELb1EddPKPKdPKPdEv13rocblas_fill_18rocblas_operation_17rocblas_diagonal_iiT3_T4_lilT5_lili.private_seg_size, 0
	.set _ZL30rocblas_trsm_small_left_deviceILi16ELi16ELb1EddPKPKdPKPdEv13rocblas_fill_18rocblas_operation_17rocblas_diagonal_iiT3_T4_lilT5_lili.uses_vcc, 1
	.set _ZL30rocblas_trsm_small_left_deviceILi16ELi16ELb1EddPKPKdPKPdEv13rocblas_fill_18rocblas_operation_17rocblas_diagonal_iiT3_T4_lilT5_lili.uses_flat_scratch, 0
	.set _ZL30rocblas_trsm_small_left_deviceILi16ELi16ELb1EddPKPKdPKPdEv13rocblas_fill_18rocblas_operation_17rocblas_diagonal_iiT3_T4_lilT5_lili.has_dyn_sized_stack, 0
	.set _ZL30rocblas_trsm_small_left_deviceILi16ELi16ELb1EddPKPKdPKPdEv13rocblas_fill_18rocblas_operation_17rocblas_diagonal_iiT3_T4_lilT5_lili.has_recursion, 0
	.set _ZL30rocblas_trsm_small_left_deviceILi16ELi16ELb1EddPKPKdPKPdEv13rocblas_fill_18rocblas_operation_17rocblas_diagonal_iiT3_T4_lilT5_lili.has_indirect_call, 0
	.section	.AMDGPU.csdata,"",@progbits
; Kernel info:
; codeLenInByte = 2924
; TotalNumSgprs: 46
; NumVgprs: 84
; ScratchSize: 0
; MemoryBound: 0
; FloatMode: 240
; IeeeMode: 1
; LDSByteSize: 2048 bytes/workgroup (compile time only)
; SGPRBlocks: 0
; VGPRBlocks: 10
; NumSGPRsForWavesPerEU: 46
; NumVGPRsForWavesPerEU: 84
; Occupancy: 16
; WaveLimiterHint : 1
; COMPUTE_PGM_RSRC2:SCRATCH_EN: 0
; COMPUTE_PGM_RSRC2:USER_SGPR: 2
; COMPUTE_PGM_RSRC2:TRAP_HANDLER: 0
; COMPUTE_PGM_RSRC2:TGID_X_EN: 1
; COMPUTE_PGM_RSRC2:TGID_Y_EN: 0
; COMPUTE_PGM_RSRC2:TGID_Z_EN: 1
; COMPUTE_PGM_RSRC2:TIDIG_COMP_CNT: 0
	.section	.text._ZL31rocblas_trsm_small_right_deviceIddPKPKdPKPdLi16EEv13rocblas_fill_18rocblas_operation_17rocblas_diagonal_iiT0_T1_lilT2_lili,"axG",@progbits,_ZL31rocblas_trsm_small_right_deviceIddPKPKdPKPdLi16EEv13rocblas_fill_18rocblas_operation_17rocblas_diagonal_iiT0_T1_lilT2_lili,comdat
	.globl	_ZL31rocblas_trsm_small_right_deviceIddPKPKdPKPdLi16EEv13rocblas_fill_18rocblas_operation_17rocblas_diagonal_iiT0_T1_lilT2_lili ; -- Begin function _ZL31rocblas_trsm_small_right_deviceIddPKPKdPKPdLi16EEv13rocblas_fill_18rocblas_operation_17rocblas_diagonal_iiT0_T1_lilT2_lili
	.p2align	8
	.type	_ZL31rocblas_trsm_small_right_deviceIddPKPKdPKPdLi16EEv13rocblas_fill_18rocblas_operation_17rocblas_diagonal_iiT0_T1_lilT2_lili,@function
_ZL31rocblas_trsm_small_right_deviceIddPKPKdPKPdLi16EEv13rocblas_fill_18rocblas_operation_17rocblas_diagonal_iiT0_T1_lilT2_lili: ; @_ZL31rocblas_trsm_small_right_deviceIddPKPKdPKPdLi16EEv13rocblas_fill_18rocblas_operation_17rocblas_diagonal_iiT0_T1_lilT2_lili
; %bb.0:
	s_load_b32 s22, s[0:1], 0x60
	s_lshr_b32 s2, ttmp7, 16
	s_wait_kmcnt 0x0
	s_cmp_ge_u32 s2, s22
	s_cbranch_scc1 .LBB86_82
; %bb.1:
	s_clause 0x6
	s_load_b96 s[16:18], s[0:1], 0x28
	s_load_b32 s30, s[0:1], 0x50
	s_load_b128 s[12:15], s[0:1], 0x0
	s_load_b32 s23, s[0:1], 0x10
	s_load_b32 s3, s[0:1], 0x68
	s_load_b128 s[4:7], s[0:1], 0x18
	s_load_b128 s[8:11], s[0:1], 0x40
	s_mov_b32 s20, ttmp9
	v_dual_mov_b32 v5, 0x3ff00000 :: v_dual_lshlrev_b32 v10, 3, v0
	v_dual_mov_b32 v4, 0 :: v_dual_lshlrev_b32 v1, 7, v0
	v_lshlrev_b32_e32 v15, 3, v0
	s_delay_alu instid0(VALU_DEP_3) | instskip(NEXT) | instid1(VALU_DEP_3)
	v_or_b32_e32 v11, 0x800, v10
	v_add_nc_u32_e32 v14, v10, v1
	s_wait_kmcnt 0x0
	s_ashr_i32 s19, s18, 31
	s_ashr_i32 s31, s30, 31
	s_cmp_lg_u32 s12, 0x7a
	s_cselect_b32 s26, -1, 0
	s_min_i32 s1, s23, 16
	s_lshl_b32 s0, ttmp9, 4
	s_add_co_i32 s3, s3, -1
	s_add_co_i32 s24, s1, -1
	s_sub_co_i32 s0, s15, s0
	s_cmp_ge_u32 ttmp9, s3
	s_mul_i32 s34, s1, 0x88
	s_cselect_b32 s15, s0, 16
	s_ashr_i32 s21, ttmp9, 31
	v_cmp_gt_i32_e32 vcc_lo, s15, v0
	s_lshl_b64 s[20:21], s[20:21], 7
	s_cmp_eq_u32 s14, 0x84
	v_cmp_gt_i32_e64 s0, s1, v0
	s_cselect_b32 s25, -1, 0
	s_cmp_gt_i32 s23, 0
	s_mov_b32 s3, 0
	s_cselect_b32 s14, -1, 0
	s_cmp_lg_u32 s13, 0x6f
	s_cselect_b32 s13, -1, 0
	s_cmp_lg_u32 s12, 0x79
	s_cselect_b32 s12, -1, 0
	s_or_b32 s26, s26, s13
	s_or_b32 s27, s12, s13
	s_cmp_gt_i32 s23, 3
	v_cndmask_b32_e64 v12, 0, 1, s12
	s_cselect_b32 s28, -1, 0
	s_lshl_b32 s33, s1, 7
	s_lshl_b32 s36, s1, 3
	v_or_b32_e32 v2, s33, v10
	s_wait_alu 0xfffe
	s_and_b32 s29, vcc_lo, s14
	s_lshl_b64 s[12:13], s[18:19], 3
	s_lshl_b64 s[14:15], s[30:31], 3
	s_add_co_i32 s30, s34, 0xffffff60
	v_add_nc_u32_e32 v13, 0x780, v2
	s_add_co_i32 s31, s33, 0xffffff80
	s_addk_co_i32 s33, 0xff78
	s_addk_co_i32 s34, 0xfdf8
	s_add_co_i32 s35, s36, -8
	s_addk_co_i32 s36, 0xff78
	s_lshl_b64 s[16:17], s[16:17], 3
	s_lshl_b64 s[10:11], s[10:11], 3
	s_branch .LBB86_3
.LBB86_2:                               ;   in Loop: Header=BB86_3 Depth=1
	s_wait_alu 0xfffe
	s_or_b32 exec_lo, exec_lo, s18
	s_add_co_i32 s2, s2, 0x10000
	s_delay_alu instid0(SALU_CYCLE_1)
	s_cmp_lt_u32 s2, s22
	s_cbranch_scc0 .LBB86_82
.LBB86_3:                               ; =>This Loop Header: Depth=1
                                        ;     Child Loop BB86_5 Depth 2
                                        ;     Child Loop BB86_10 Depth 2
	;; [unrolled: 1-line block ×3, first 2 shown]
                                        ;       Child Loop BB86_17 Depth 3
                                        ;     Child Loop BB86_23 Depth 2
                                        ;       Child Loop BB86_24 Depth 3
                                        ;     Child Loop BB86_28 Depth 2
	;; [unrolled: 2-line block ×3, first 2 shown]
                                        ;     Child Loop BB86_41 Depth 2
                                        ;       Child Loop BB86_42 Depth 3
                                        ;       Child Loop BB86_44 Depth 3
                                        ;     Child Loop BB86_48 Depth 2
                                        ;       Child Loop BB86_49 Depth 3
                                        ;     Child Loop BB86_57 Depth 2
                                        ;     Child Loop BB86_62 Depth 2
                                        ;       Child Loop BB86_63 Depth 3
                                        ;       Child Loop BB86_65 Depth 3
                                        ;     Child Loop BB86_70 Depth 2
                                        ;       Child Loop BB86_71 Depth 3
                                        ;     Child Loop BB86_77 Depth 2
	;; [unrolled: 2-line block ×3, first 2 shown]
	s_lshl_b64 s[18:19], s[2:3], 3
	s_wait_alu 0xfffe
	s_add_nc_u64 s[38:39], s[8:9], s[18:19]
	global_load_b64 v[0:1], v4, s[38:39]
	s_and_saveexec_b32 s37, s0
	s_cbranch_execz .LBB86_8
; %bb.4:                                ;   in Loop: Header=BB86_3 Depth=1
	s_add_nc_u64 s[18:19], s[6:7], s[18:19]
	v_mov_b32_e32 v6, v10
	global_load_b64 v[2:3], v4, s[18:19]
	s_mov_b32 s18, s1
	s_wait_loadcnt 0x0
	v_add_co_u32 v2, vcc_lo, v2, s16
	s_wait_alu 0xfffd
	v_add_co_ci_u32_e64 v3, null, s17, v3, vcc_lo
	s_delay_alu instid0(VALU_DEP_2) | instskip(SKIP_1) | instid1(VALU_DEP_2)
	v_add_co_u32 v2, vcc_lo, v2, v15
	s_wait_alu 0xfffd
	v_add_co_ci_u32_e64 v3, null, 0, v3, vcc_lo
.LBB86_5:                               ;   Parent Loop BB86_3 Depth=1
                                        ; =>  This Inner Loop Header: Depth=2
	flat_load_b64 v[7:8], v[2:3]
	s_wait_alu 0xfffe
	v_add_co_u32 v2, vcc_lo, v2, s12
	s_wait_alu 0xfffd
	v_add_co_ci_u32_e64 v3, null, s13, v3, vcc_lo
	s_add_co_i32 s18, s18, -1
	s_wait_alu 0xfffe
	s_cmp_eq_u32 s18, 0
	s_wait_loadcnt_dscnt 0x0
	ds_store_b64 v6, v[7:8]
	v_add_nc_u32_e32 v6, 0x80, v6
	s_cbranch_scc0 .LBB86_5
; %bb.6:                                ;   in Loop: Header=BB86_3 Depth=1
	s_and_b32 vcc_lo, exec_lo, s25
	s_wait_alu 0xfffe
	s_cbranch_vccz .LBB86_8
; %bb.7:                                ;   in Loop: Header=BB86_3 Depth=1
	ds_store_b64 v14, v[4:5]
.LBB86_8:                               ;   in Loop: Header=BB86_3 Depth=1
	s_wait_alu 0xfffe
	s_or_b32 exec_lo, exec_lo, s37
	s_wait_loadcnt 0x0
	v_add_co_u32 v0, vcc_lo, v0, s10
	s_wait_alu 0xfffd
	v_add_co_ci_u32_e64 v1, null, s11, v1, vcc_lo
	s_delay_alu instid0(VALU_DEP_2) | instskip(SKIP_1) | instid1(VALU_DEP_2)
	v_add_co_u32 v16, vcc_lo, v0, s20
	s_wait_alu 0xfffd
	v_add_co_ci_u32_e64 v17, null, s21, v1, vcc_lo
	s_and_saveexec_b32 s18, s29
	s_cbranch_execz .LBB86_11
; %bb.9:                                ;   in Loop: Header=BB86_3 Depth=1
	v_add_co_u32 v0, vcc_lo, v16, v15
	s_wait_alu 0xfffd
	v_add_co_ci_u32_e64 v1, null, 0, v17, vcc_lo
	v_mov_b32_e32 v2, v11
	s_mov_b32 s19, s23
.LBB86_10:                              ;   Parent Loop BB86_3 Depth=1
                                        ; =>  This Inner Loop Header: Depth=2
	flat_load_b64 v[6:7], v[0:1]
	s_wait_alu 0xfffe
	v_add_co_u32 v0, vcc_lo, v0, s14
	s_wait_alu 0xfffd
	v_add_co_ci_u32_e64 v1, null, s15, v1, vcc_lo
	s_add_co_i32 s19, s19, -1
	s_wait_alu 0xfffe
	s_cmp_lg_u32 s19, 0
	s_wait_loadcnt_dscnt 0x0
	v_mul_f64_e32 v[6:7], s[4:5], v[6:7]
	ds_store_b64 v2, v[6:7]
	v_add_nc_u32_e32 v2, 0x80, v2
	s_cbranch_scc1 .LBB86_10
.LBB86_11:                              ;   in Loop: Header=BB86_3 Depth=1
	s_wait_alu 0xfffe
	s_or_b32 exec_lo, exec_lo, s18
	s_delay_alu instid0(SALU_CYCLE_1)
	s_and_b32 vcc_lo, exec_lo, s27
	s_mov_b32 s18, -1
	s_wait_dscnt 0x0
	; wave barrier
	global_inv scope:SCOPE_SE
	s_wait_alu 0xfffe
	s_cbranch_vccz .LBB86_67
; %bb.12:                               ;   in Loop: Header=BB86_3 Depth=1
	s_and_b32 vcc_lo, exec_lo, s26
	s_wait_alu 0xfffe
	s_cbranch_vccz .LBB86_46
; %bb.13:                               ;   in Loop: Header=BB86_3 Depth=1
	v_cmp_ne_u32_e32 vcc_lo, 1, v12
	s_cbranch_vccnz .LBB86_26
; %bb.14:                               ;   in Loop: Header=BB86_3 Depth=1
	s_and_not1_b32 vcc_lo, exec_lo, s28
	s_mov_b32 s37, 0
	s_wait_alu 0xfffe
	s_cbranch_vccnz .LBB86_20
; %bb.15:                               ;   in Loop: Header=BB86_3 Depth=1
	s_mov_b32 s18, 0
	s_mov_b32 s19, 0
.LBB86_16:                              ;   Parent Loop BB86_3 Depth=1
                                        ; =>  This Loop Header: Depth=2
                                        ;       Child Loop BB86_17 Depth 3
	s_wait_alu 0xfffe
	s_lshl_b32 s38, s19, 7
	s_or_b32 s37, s19, 1
	s_wait_alu 0xfffe
	v_dual_mov_b32 v21, v11 :: v_dual_add_nc_u32 v18, s38, v11
	s_or_b32 s39, s38, 0x180
	v_lshl_add_u32 v20, s37, 7, v11
	s_wait_alu 0xfffe
	v_add_nc_u32_e32 v19, s39, v11
	ds_load_2addr_b64 v[0:3], v18 offset1:32
	ds_load_b64 v[8:9], v20
	ds_load_b64 v[6:7], v19
	s_cmp_eq_u32 s19, 0
	s_mov_b32 s39, s18
	s_mov_b32 s40, s19
	s_cbranch_scc1 .LBB86_18
.LBB86_17:                              ;   Parent Loop BB86_3 Depth=1
                                        ;     Parent Loop BB86_16 Depth=2
                                        ; =>    This Inner Loop Header: Depth=3
	s_wait_alu 0xfffe
	v_mov_b32_e32 v26, s39
	s_add_co_i32 s40, s40, -1
	s_addk_co_i32 s39, 0x80
	s_wait_alu 0xfffe
	s_cmp_eq_u32 s40, 0
	ds_load_b64 v[30:31], v21
	ds_load_b128 v[22:25], v26
	ds_load_b128 v[26:29], v26 offset:16
	v_add_nc_u32_e32 v21, 0x80, v21
	s_wait_dscnt 0x1
	v_fma_f64 v[0:1], -v[30:31], v[22:23], v[0:1]
	v_fma_f64 v[8:9], -v[30:31], v[24:25], v[8:9]
	s_wait_dscnt 0x0
	v_fma_f64 v[2:3], -v[30:31], v[26:27], v[2:3]
	v_fma_f64 v[6:7], -v[30:31], v[28:29], v[6:7]
	s_cbranch_scc0 .LBB86_17
.LBB86_18:                              ;   in Loop: Header=BB86_16 Depth=2
	s_lshl_b32 s39, s19, 3
	s_lshl_b32 s37, s37, 3
	s_wait_alu 0xfffe
	s_add_co_i32 s38, s39, s38
	s_wait_alu 0xfffe
	v_dual_mov_b32 v42, s38 :: v_dual_add_nc_u32 v21, 0x100, v18
	s_addk_co_i32 s38, 0x88
	s_add_co_i32 s18, s18, 32
	s_wait_alu 0xfffe
	s_sub_co_i32 s37, s38, s37
	ds_load_b128 v[22:25], v42
	ds_load_b128 v[26:29], v42 offset:16
	s_wait_alu 0xfffe
	s_add_co_i32 s37, s37, s39
	s_wait_dscnt 0x1
	v_div_scale_f64 v[30:31], null, v[22:23], v[22:23], v[0:1]
	v_div_scale_f64 v[36:37], vcc_lo, v[0:1], v[22:23], v[0:1]
	s_delay_alu instid0(VALU_DEP_2) | instskip(NEXT) | instid1(TRANS32_DEP_1)
	v_rcp_f64_e32 v[32:33], v[30:31]
	v_fma_f64 v[34:35], -v[30:31], v[32:33], 1.0
	s_delay_alu instid0(VALU_DEP_1) | instskip(NEXT) | instid1(VALU_DEP_1)
	v_fma_f64 v[32:33], v[32:33], v[34:35], v[32:33]
	v_fma_f64 v[34:35], -v[30:31], v[32:33], 1.0
	s_delay_alu instid0(VALU_DEP_1) | instskip(NEXT) | instid1(VALU_DEP_1)
	v_fma_f64 v[32:33], v[32:33], v[34:35], v[32:33]
	v_mul_f64_e32 v[34:35], v[36:37], v[32:33]
	s_delay_alu instid0(VALU_DEP_1) | instskip(SKIP_1) | instid1(VALU_DEP_1)
	v_fma_f64 v[30:31], -v[30:31], v[34:35], v[36:37]
	s_wait_alu 0xfffd
	v_div_fmas_f64 v[30:31], v[30:31], v[32:33], v[34:35]
	s_delay_alu instid0(VALU_DEP_1) | instskip(NEXT) | instid1(VALU_DEP_1)
	v_div_fixup_f64 v[0:1], v[30:31], v[22:23], v[0:1]
	v_fma_f64 v[8:9], -v[0:1], v[24:25], v[8:9]
	ds_load_2addr_b64 v[22:25], v42 offset0:17 offset1:18
	ds_load_b128 v[30:33], v42 offset:272
	s_wait_dscnt 0x2
	v_fma_f64 v[2:3], -v[0:1], v[26:27], v[2:3]
	v_fma_f64 v[6:7], -v[0:1], v[28:29], v[6:7]
	s_wait_dscnt 0x1
	v_div_scale_f64 v[34:35], null, v[22:23], v[22:23], v[8:9]
	v_div_scale_f64 v[40:41], vcc_lo, v[8:9], v[22:23], v[8:9]
	s_delay_alu instid0(VALU_DEP_2) | instskip(NEXT) | instid1(TRANS32_DEP_1)
	v_rcp_f64_e32 v[36:37], v[34:35]
	v_fma_f64 v[38:39], -v[34:35], v[36:37], 1.0
	s_delay_alu instid0(VALU_DEP_1) | instskip(NEXT) | instid1(VALU_DEP_1)
	v_fma_f64 v[36:37], v[36:37], v[38:39], v[36:37]
	v_fma_f64 v[38:39], -v[34:35], v[36:37], 1.0
	s_delay_alu instid0(VALU_DEP_1) | instskip(NEXT) | instid1(VALU_DEP_1)
	v_fma_f64 v[36:37], v[36:37], v[38:39], v[36:37]
	v_mul_f64_e32 v[38:39], v[40:41], v[36:37]
	s_delay_alu instid0(VALU_DEP_1) | instskip(SKIP_1) | instid1(VALU_DEP_1)
	v_fma_f64 v[34:35], -v[34:35], v[38:39], v[40:41]
	s_wait_alu 0xfffd
	v_div_fmas_f64 v[34:35], v[34:35], v[36:37], v[38:39]
	s_delay_alu instid0(VALU_DEP_1) | instskip(NEXT) | instid1(VALU_DEP_1)
	v_div_fixup_f64 v[8:9], v[34:35], v[22:23], v[8:9]
	v_fma_f64 v[2:3], -v[8:9], v[24:25], v[2:3]
	s_wait_dscnt 0x0
	s_delay_alu instid0(VALU_DEP_1) | instskip(SKIP_1) | instid1(VALU_DEP_2)
	v_div_scale_f64 v[22:23], null, v[30:31], v[30:31], v[2:3]
	v_div_scale_f64 v[34:35], vcc_lo, v[2:3], v[30:31], v[2:3]
	v_rcp_f64_e32 v[24:25], v[22:23]
	s_delay_alu instid0(TRANS32_DEP_1) | instskip(NEXT) | instid1(VALU_DEP_1)
	v_fma_f64 v[26:27], -v[22:23], v[24:25], 1.0
	v_fma_f64 v[24:25], v[24:25], v[26:27], v[24:25]
	s_delay_alu instid0(VALU_DEP_1) | instskip(NEXT) | instid1(VALU_DEP_1)
	v_fma_f64 v[26:27], -v[22:23], v[24:25], 1.0
	v_fma_f64 v[24:25], v[24:25], v[26:27], v[24:25]
	s_delay_alu instid0(VALU_DEP_1) | instskip(NEXT) | instid1(VALU_DEP_1)
	v_mul_f64_e32 v[26:27], v[34:35], v[24:25]
	v_fma_f64 v[22:23], -v[22:23], v[26:27], v[34:35]
	s_wait_alu 0xfffd
	s_delay_alu instid0(VALU_DEP_1)
	v_div_fmas_f64 v[22:23], v[22:23], v[24:25], v[26:27]
	s_wait_alu 0xfffe
	v_mov_b32_e32 v24, s37
	s_add_co_i32 s37, s19, 4
	s_add_co_i32 s19, s19, 7
	ds_load_b64 v[24:25], v24 offset:24
	ds_load_b64 v[26:27], v42 offset:408
	s_wait_alu 0xfffe
	s_cmp_ge_i32 s19, s1
	s_wait_dscnt 0x1
	v_fma_f64 v[6:7], -v[8:9], v[24:25], v[6:7]
	v_div_fixup_f64 v[2:3], v[22:23], v[30:31], v[2:3]
	s_delay_alu instid0(VALU_DEP_1) | instskip(SKIP_1) | instid1(VALU_DEP_1)
	v_fma_f64 v[6:7], -v[2:3], v[32:33], v[6:7]
	s_wait_dscnt 0x0
	v_div_scale_f64 v[22:23], null, v[26:27], v[26:27], v[6:7]
	s_delay_alu instid0(VALU_DEP_1) | instskip(NEXT) | instid1(TRANS32_DEP_1)
	v_rcp_f64_e32 v[24:25], v[22:23]
	v_fma_f64 v[28:29], -v[22:23], v[24:25], 1.0
	s_delay_alu instid0(VALU_DEP_1) | instskip(NEXT) | instid1(VALU_DEP_1)
	v_fma_f64 v[24:25], v[24:25], v[28:29], v[24:25]
	v_fma_f64 v[28:29], -v[22:23], v[24:25], 1.0
	s_delay_alu instid0(VALU_DEP_1) | instskip(SKIP_1) | instid1(VALU_DEP_1)
	v_fma_f64 v[24:25], v[24:25], v[28:29], v[24:25]
	v_div_scale_f64 v[28:29], vcc_lo, v[6:7], v[26:27], v[6:7]
	v_mul_f64_e32 v[30:31], v[28:29], v[24:25]
	s_delay_alu instid0(VALU_DEP_1) | instskip(SKIP_1) | instid1(VALU_DEP_1)
	v_fma_f64 v[22:23], -v[22:23], v[30:31], v[28:29]
	s_wait_alu 0xfffd
	v_div_fmas_f64 v[22:23], v[22:23], v[24:25], v[30:31]
	s_delay_alu instid0(VALU_DEP_1)
	v_div_fixup_f64 v[6:7], v[22:23], v[26:27], v[6:7]
	ds_store_b64 v18, v[0:1]
	ds_store_b64 v20, v[8:9]
	;; [unrolled: 1-line block ×4, first 2 shown]
	s_cbranch_scc1 .LBB86_20
; %bb.19:                               ;   in Loop: Header=BB86_16 Depth=2
	s_mov_b32 s19, s37
	s_branch .LBB86_16
.LBB86_20:                              ;   in Loop: Header=BB86_3 Depth=1
	s_wait_alu 0xfffe
	s_cmp_ge_i32 s37, s1
	s_cbranch_scc1 .LBB86_25
; %bb.21:                               ;   in Loop: Header=BB86_3 Depth=1
	s_lshl_b32 s18, s37, 3
	s_branch .LBB86_23
.LBB86_22:                              ;   in Loop: Header=BB86_23 Depth=2
	s_lshl_b32 s38, s37, 3
	s_add_co_i32 s37, s37, 1
	s_wait_alu 0xfffe
	s_add_co_i32 s19, s38, s19
	s_add_co_i32 s18, s18, 8
	s_wait_alu 0xfffe
	v_mov_b32_e32 v3, s19
	s_cmp_ge_i32 s37, s1
	ds_load_b64 v[6:7], v3
	s_wait_dscnt 0x0
	v_div_scale_f64 v[8:9], null, v[6:7], v[6:7], v[0:1]
	s_delay_alu instid0(VALU_DEP_1) | instskip(NEXT) | instid1(TRANS32_DEP_1)
	v_rcp_f64_e32 v[18:19], v[8:9]
	v_fma_f64 v[20:21], -v[8:9], v[18:19], 1.0
	s_delay_alu instid0(VALU_DEP_1) | instskip(NEXT) | instid1(VALU_DEP_1)
	v_fma_f64 v[18:19], v[18:19], v[20:21], v[18:19]
	v_fma_f64 v[20:21], -v[8:9], v[18:19], 1.0
	s_delay_alu instid0(VALU_DEP_1) | instskip(SKIP_1) | instid1(VALU_DEP_1)
	v_fma_f64 v[18:19], v[18:19], v[20:21], v[18:19]
	v_div_scale_f64 v[20:21], vcc_lo, v[0:1], v[6:7], v[0:1]
	v_mul_f64_e32 v[22:23], v[20:21], v[18:19]
	s_delay_alu instid0(VALU_DEP_1) | instskip(SKIP_1) | instid1(VALU_DEP_1)
	v_fma_f64 v[8:9], -v[8:9], v[22:23], v[20:21]
	s_wait_alu 0xfffd
	v_div_fmas_f64 v[8:9], v[8:9], v[18:19], v[22:23]
	s_delay_alu instid0(VALU_DEP_1)
	v_div_fixup_f64 v[0:1], v[8:9], v[6:7], v[0:1]
	ds_store_b64 v2, v[0:1]
	s_cbranch_scc1 .LBB86_25
.LBB86_23:                              ;   Parent Loop BB86_3 Depth=1
                                        ; =>  This Loop Header: Depth=2
                                        ;       Child Loop BB86_24 Depth 3
	s_lshl_b32 s19, s37, 7
	s_cmp_eq_u32 s37, 0
	s_wait_alu 0xfffe
	v_dual_mov_b32 v3, v11 :: v_dual_add_nc_u32 v2, s19, v11
	s_mov_b32 s38, s18
	s_mov_b32 s39, s37
	ds_load_b64 v[0:1], v2
	s_cbranch_scc1 .LBB86_22
.LBB86_24:                              ;   Parent Loop BB86_3 Depth=1
                                        ;     Parent Loop BB86_23 Depth=2
                                        ; =>    This Inner Loop Header: Depth=3
	s_wait_alu 0xfffe
	v_mov_b32_e32 v8, s38
	s_add_co_i32 s39, s39, -1
	s_addk_co_i32 s38, 0x80
	s_wait_alu 0xfffe
	s_cmp_eq_u32 s39, 0
	ds_load_b64 v[6:7], v3
	ds_load_b64 v[8:9], v8
	v_add_nc_u32_e32 v3, 0x80, v3
	s_wait_dscnt 0x0
	v_fma_f64 v[0:1], -v[6:7], v[8:9], v[0:1]
	s_cbranch_scc0 .LBB86_24
	s_branch .LBB86_22
.LBB86_25:                              ;   in Loop: Header=BB86_3 Depth=1
	s_mov_b32 s18, 0
.LBB86_26:                              ;   in Loop: Header=BB86_3 Depth=1
	s_wait_alu 0xfffe
	s_and_b32 vcc_lo, exec_lo, s18
	s_wait_alu 0xfffe
	s_cbranch_vccz .LBB86_45
; %bb.27:                               ;   in Loop: Header=BB86_3 Depth=1
	s_mov_b32 s37, s24
	s_and_not1_b32 vcc_lo, exec_lo, s28
	s_mov_b32 s18, s30
	s_mov_b32 s19, s24
	s_wait_alu 0xfffe
	s_cbranch_vccnz .LBB86_32
.LBB86_28:                              ;   Parent Loop BB86_3 Depth=1
                                        ; =>  This Loop Header: Depth=2
                                        ;       Child Loop BB86_29 Depth 3
	s_wait_alu 0xfffe
	s_add_co_i32 s39, s19, -1
	s_add_co_i32 s40, s19, -3
	v_lshl_add_u32 v18, s19, 7, v11
	s_add_co_i32 s38, s19, -2
	s_wait_alu 0xfffe
	v_lshl_add_u32 v19, s39, 7, v11
	s_lshl_b32 s37, s40, 7
	v_lshl_add_u32 v20, s38, 7, v11
	s_wait_alu 0xfffe
	v_dual_mov_b32 v22, v13 :: v_dual_add_nc_u32 v21, s37, v11
	ds_load_b64 v[8:9], v18
	ds_load_b64 v[6:7], v19
	;; [unrolled: 1-line block ×4, first 2 shown]
	s_cmp_le_i32 s24, s19
	s_mov_b32 s41, s18
	s_mov_b32 s42, s24
	s_cbranch_scc1 .LBB86_30
.LBB86_29:                              ;   Parent Loop BB86_3 Depth=1
                                        ;     Parent Loop BB86_28 Depth=2
                                        ; =>    This Inner Loop Header: Depth=3
	s_wait_alu 0xfffe
	v_mov_b32_e32 v27, s41
	s_add_co_i32 s42, s42, -1
	s_addk_co_i32 s41, 0xff80
	s_wait_alu 0xfffe
	s_cmp_le_i32 s42, s19
	ds_load_b64 v[31:32], v22
	ds_load_2addr_b64 v[23:26], v27 offset0:2 offset1:3
	ds_load_2addr_b64 v[27:30], v27 offset1:1
	v_add_nc_u32_e32 v22, 0xffffff80, v22
	s_wait_dscnt 0x1
	v_fma_f64 v[8:9], -v[31:32], v[25:26], v[8:9]
	v_fma_f64 v[6:7], -v[31:32], v[23:24], v[6:7]
	s_wait_dscnt 0x0
	v_fma_f64 v[2:3], -v[31:32], v[29:30], v[2:3]
	v_fma_f64 v[0:1], -v[31:32], v[27:28], v[0:1]
	s_cbranch_scc0 .LBB86_29
.LBB86_30:                              ;   in Loop: Header=BB86_28 Depth=2
	s_lshl_b32 s41, s19, 3
	s_lshl_b32 s42, s19, 7
	;; [unrolled: 1-line block ×3, first 2 shown]
	s_wait_alu 0xfffe
	s_add_co_i32 s42, s41, s42
	s_sub_co_i32 s18, s18, 32
	s_wait_alu 0xfffe
	s_add_co_i32 s43, s42, -8
	s_sub_co_i32 s42, s42, 24
	s_wait_alu 0xfffe
	v_mov_b32_e32 v22, s43
	s_lshl_b32 s43, s39, 7
	s_lshl_b32 s39, s39, 3
	s_wait_alu 0xfffe
	s_add_co_i32 s43, s41, s43
	ds_load_2addr_b64 v[22:25], v22 offset1:1
	s_wait_alu 0xfffe
	s_add_co_i32 s43, s43, -8
	s_wait_alu 0xfffe
	v_mov_b32_e32 v26, s43
	s_sub_co_i32 s39, s43, s39
	s_wait_alu 0xfffe
	s_add_co_i32 s39, s39, s40
	ds_load_b64 v[26:27], v26
	s_wait_dscnt 0x1
	v_div_scale_f64 v[28:29], null, v[24:25], v[24:25], v[8:9]
	v_div_scale_f64 v[34:35], vcc_lo, v[8:9], v[24:25], v[8:9]
	s_delay_alu instid0(VALU_DEP_2) | instskip(NEXT) | instid1(TRANS32_DEP_1)
	v_rcp_f64_e32 v[30:31], v[28:29]
	v_fma_f64 v[32:33], -v[28:29], v[30:31], 1.0
	s_delay_alu instid0(VALU_DEP_1) | instskip(NEXT) | instid1(VALU_DEP_1)
	v_fma_f64 v[30:31], v[30:31], v[32:33], v[30:31]
	v_fma_f64 v[32:33], -v[28:29], v[30:31], 1.0
	s_delay_alu instid0(VALU_DEP_1) | instskip(NEXT) | instid1(VALU_DEP_1)
	v_fma_f64 v[30:31], v[30:31], v[32:33], v[30:31]
	v_mul_f64_e32 v[32:33], v[34:35], v[30:31]
	s_delay_alu instid0(VALU_DEP_1) | instskip(SKIP_1) | instid1(VALU_DEP_1)
	v_fma_f64 v[28:29], -v[28:29], v[32:33], v[34:35]
	s_wait_alu 0xfffd
	v_div_fmas_f64 v[28:29], v[28:29], v[30:31], v[32:33]
	s_delay_alu instid0(VALU_DEP_1) | instskip(NEXT) | instid1(VALU_DEP_1)
	v_div_fixup_f64 v[28:29], v[28:29], v[24:25], v[8:9]
	v_fma_f64 v[30:31], -v[28:29], v[22:23], v[6:7]
	s_wait_dscnt 0x0
	s_delay_alu instid0(VALU_DEP_1) | instskip(SKIP_1) | instid1(VALU_DEP_2)
	v_div_scale_f64 v[6:7], null, v[26:27], v[26:27], v[30:31]
	v_div_scale_f64 v[24:25], vcc_lo, v[30:31], v[26:27], v[30:31]
	v_rcp_f64_e32 v[8:9], v[6:7]
	s_delay_alu instid0(TRANS32_DEP_1) | instskip(NEXT) | instid1(VALU_DEP_1)
	v_fma_f64 v[22:23], -v[6:7], v[8:9], 1.0
	v_fma_f64 v[8:9], v[8:9], v[22:23], v[8:9]
	s_delay_alu instid0(VALU_DEP_1) | instskip(NEXT) | instid1(VALU_DEP_1)
	v_fma_f64 v[22:23], -v[6:7], v[8:9], 1.0
	v_fma_f64 v[8:9], v[8:9], v[22:23], v[8:9]
	s_delay_alu instid0(VALU_DEP_1) | instskip(NEXT) | instid1(VALU_DEP_1)
	v_mul_f64_e32 v[22:23], v[24:25], v[8:9]
	v_fma_f64 v[6:7], -v[6:7], v[22:23], v[24:25]
	s_wait_alu 0xfffd
	s_delay_alu instid0(VALU_DEP_1)
	v_div_fmas_f64 v[32:33], v[6:7], v[8:9], v[22:23]
	v_mov_b32_e32 v6, s42
	s_wait_alu 0xfffe
	v_mov_b32_e32 v22, s39
	s_lshl_b32 s39, s38, 7
	s_lshl_b32 s38, s38, 3
	s_wait_alu 0xfffe
	s_add_co_i32 s39, s41, s39
	ds_load_2addr_b64 v[6:9], v6 offset1:1
	ds_load_2addr_b64 v[22:25], v22 offset1:1
	s_wait_alu 0xfffe
	s_sub_co_i32 s38, s39, s38
	s_add_co_i32 s41, s41, s37
	s_wait_alu 0xfffe
	s_add_co_i32 s38, s38, s40
	s_sub_co_i32 s37, s41, 24
	s_wait_alu 0xfffe
	s_add_co_i32 s38, s38, -16
	s_wait_dscnt 0x1
	v_fma_f64 v[2:3], -v[28:29], v[8:9], v[2:3]
	v_fma_f64 v[0:1], -v[28:29], v[6:7], v[0:1]
	v_div_fixup_f64 v[8:9], v[32:33], v[26:27], v[30:31]
	v_mov_b32_e32 v30, s37
	s_add_co_i32 s37, s19, -4
	s_cmp_lt_i32 s19, 7
	ds_load_b64 v[30:31], v30
	s_wait_dscnt 0x1
	v_fma_f64 v[2:3], -v[8:9], v[24:25], v[2:3]
	s_wait_alu 0xfffe
	v_mov_b32_e32 v24, s38
	v_fma_f64 v[0:1], -v[8:9], v[22:23], v[0:1]
	ds_load_2addr_b64 v[24:27], v24 offset1:1
	s_wait_dscnt 0x0
	v_div_scale_f64 v[32:33], null, v[26:27], v[26:27], v[2:3]
	v_div_scale_f64 v[38:39], vcc_lo, v[2:3], v[26:27], v[2:3]
	s_delay_alu instid0(VALU_DEP_2) | instskip(NEXT) | instid1(TRANS32_DEP_1)
	v_rcp_f64_e32 v[34:35], v[32:33]
	v_fma_f64 v[36:37], -v[32:33], v[34:35], 1.0
	s_delay_alu instid0(VALU_DEP_1) | instskip(NEXT) | instid1(VALU_DEP_1)
	v_fma_f64 v[34:35], v[34:35], v[36:37], v[34:35]
	v_fma_f64 v[36:37], -v[32:33], v[34:35], 1.0
	s_delay_alu instid0(VALU_DEP_1) | instskip(NEXT) | instid1(VALU_DEP_1)
	v_fma_f64 v[34:35], v[34:35], v[36:37], v[34:35]
	v_mul_f64_e32 v[36:37], v[38:39], v[34:35]
	s_delay_alu instid0(VALU_DEP_1) | instskip(SKIP_1) | instid1(VALU_DEP_1)
	v_fma_f64 v[32:33], -v[32:33], v[36:37], v[38:39]
	s_wait_alu 0xfffd
	v_div_fmas_f64 v[6:7], v[32:33], v[34:35], v[36:37]
	s_delay_alu instid0(VALU_DEP_1) | instskip(NEXT) | instid1(VALU_DEP_1)
	v_div_fixup_f64 v[2:3], v[6:7], v[26:27], v[2:3]
	v_fma_f64 v[0:1], -v[2:3], v[24:25], v[0:1]
	s_delay_alu instid0(VALU_DEP_1) | instskip(NEXT) | instid1(VALU_DEP_1)
	v_div_scale_f64 v[6:7], null, v[30:31], v[30:31], v[0:1]
	v_rcp_f64_e32 v[22:23], v[6:7]
	s_delay_alu instid0(TRANS32_DEP_1) | instskip(NEXT) | instid1(VALU_DEP_1)
	v_fma_f64 v[24:25], -v[6:7], v[22:23], 1.0
	v_fma_f64 v[22:23], v[22:23], v[24:25], v[22:23]
	s_delay_alu instid0(VALU_DEP_1) | instskip(NEXT) | instid1(VALU_DEP_1)
	v_fma_f64 v[24:25], -v[6:7], v[22:23], 1.0
	v_fma_f64 v[22:23], v[22:23], v[24:25], v[22:23]
	v_div_scale_f64 v[24:25], vcc_lo, v[0:1], v[30:31], v[0:1]
	s_delay_alu instid0(VALU_DEP_1) | instskip(NEXT) | instid1(VALU_DEP_1)
	v_mul_f64_e32 v[26:27], v[24:25], v[22:23]
	v_fma_f64 v[6:7], -v[6:7], v[26:27], v[24:25]
	s_wait_alu 0xfffd
	s_delay_alu instid0(VALU_DEP_1) | instskip(NEXT) | instid1(VALU_DEP_1)
	v_div_fmas_f64 v[6:7], v[6:7], v[22:23], v[26:27]
	v_div_fixup_f64 v[0:1], v[6:7], v[30:31], v[0:1]
	ds_store_b64 v18, v[28:29]
	ds_store_b64 v19, v[8:9]
	ds_store_b64 v20, v[2:3]
	ds_store_b64 v21, v[0:1]
	s_cbranch_scc1 .LBB86_32
; %bb.31:                               ;   in Loop: Header=BB86_28 Depth=2
	s_mov_b32 s19, s37
	s_branch .LBB86_28
.LBB86_32:                              ;   in Loop: Header=BB86_3 Depth=1
	s_cmp_lt_i32 s37, 0
	s_cbranch_scc1 .LBB86_45
; %bb.33:                               ;   in Loop: Header=BB86_3 Depth=1
	s_bitcmp1_b32 s37, 0
	s_cselect_b32 s18, -1, 0
	s_wait_alu 0xfffe
	s_and_b32 vcc_lo, exec_lo, s18
	s_mov_b32 s18, s37
	s_wait_alu 0xfffe
	s_cbranch_vccnz .LBB86_38
; %bb.34:                               ;   in Loop: Header=BB86_3 Depth=1
	s_lshl_b32 s18, s37, 7
	s_cmp_le_i32 s24, s37
	s_wait_alu 0xfffe
	v_add_nc_u32_e32 v2, s18, v11
	ds_load_b64 v[0:1], v2
	s_cbranch_scc1 .LBB86_37
; %bb.35:                               ;   in Loop: Header=BB86_3 Depth=1
	v_mov_b32_e32 v3, v13
	s_lshl_b32 s19, s37, 3
	s_mov_b32 s38, s24
	s_wait_alu 0xfffe
	s_add_co_i32 s19, s31, s19
.LBB86_36:                              ;   Parent Loop BB86_3 Depth=1
                                        ; =>  This Inner Loop Header: Depth=2
	s_wait_alu 0xfffe
	v_mov_b32_e32 v8, s19
	s_add_co_i32 s38, s38, -1
	s_addk_co_i32 s19, 0xff80
	s_wait_alu 0xfffe
	s_cmp_gt_i32 s38, s37
	ds_load_b64 v[6:7], v3
	ds_load_b64 v[8:9], v8
	v_add_nc_u32_e32 v3, 0xffffff80, v3
	s_wait_dscnt 0x0
	v_fma_f64 v[0:1], -v[6:7], v[8:9], v[0:1]
	s_cbranch_scc1 .LBB86_36
.LBB86_37:                              ;   in Loop: Header=BB86_3 Depth=1
	s_lshl_b32 s19, s37, 3
	s_wait_alu 0xfffe
	s_add_co_i32 s18, s19, s18
	s_wait_alu 0xfffe
	v_mov_b32_e32 v3, s18
	s_add_co_i32 s18, s37, -1
	ds_load_b64 v[6:7], v3
	s_wait_dscnt 0x0
	v_div_scale_f64 v[8:9], null, v[6:7], v[6:7], v[0:1]
	s_delay_alu instid0(VALU_DEP_1) | instskip(NEXT) | instid1(TRANS32_DEP_1)
	v_rcp_f64_e32 v[18:19], v[8:9]
	v_fma_f64 v[20:21], -v[8:9], v[18:19], 1.0
	s_delay_alu instid0(VALU_DEP_1) | instskip(NEXT) | instid1(VALU_DEP_1)
	v_fma_f64 v[18:19], v[18:19], v[20:21], v[18:19]
	v_fma_f64 v[20:21], -v[8:9], v[18:19], 1.0
	s_delay_alu instid0(VALU_DEP_1) | instskip(SKIP_1) | instid1(VALU_DEP_1)
	v_fma_f64 v[18:19], v[18:19], v[20:21], v[18:19]
	v_div_scale_f64 v[20:21], vcc_lo, v[0:1], v[6:7], v[0:1]
	v_mul_f64_e32 v[22:23], v[20:21], v[18:19]
	s_delay_alu instid0(VALU_DEP_1) | instskip(SKIP_1) | instid1(VALU_DEP_1)
	v_fma_f64 v[8:9], -v[8:9], v[22:23], v[20:21]
	s_wait_alu 0xfffd
	v_div_fmas_f64 v[8:9], v[8:9], v[18:19], v[22:23]
	s_delay_alu instid0(VALU_DEP_1)
	v_div_fixup_f64 v[0:1], v[8:9], v[6:7], v[0:1]
	ds_store_b64 v2, v[0:1]
.LBB86_38:                              ;   in Loop: Header=BB86_3 Depth=1
	s_cmp_eq_u32 s37, 0
	s_cbranch_scc1 .LBB86_45
; %bb.39:                               ;   in Loop: Header=BB86_3 Depth=1
	s_wait_alu 0xfffe
	s_lshl_b32 s37, s18, 3
	s_wait_alu 0xfffe
	s_add_co_i32 s19, s31, s37
	s_add_co_i32 s37, s33, s37
	s_branch .LBB86_41
.LBB86_40:                              ;   in Loop: Header=BB86_41 Depth=2
	s_add_co_i32 s38, s38, s39
	s_add_co_i32 s19, s19, -16
	s_wait_alu 0xfffe
	s_add_co_i32 s38, s38, -8
	s_add_co_i32 s37, s37, -16
	s_wait_alu 0xfffe
	v_mov_b32_e32 v0, s38
	s_add_co_i32 s38, s18, -2
	s_cmp_lt_i32 s18, 2
	s_wait_alu 0xfffe
	s_mov_b32 s18, s38
	ds_load_b64 v[0:1], v0
	s_wait_dscnt 0x0
	v_div_scale_f64 v[8:9], null, v[0:1], v[0:1], v[2:3]
	s_delay_alu instid0(VALU_DEP_1) | instskip(NEXT) | instid1(TRANS32_DEP_1)
	v_rcp_f64_e32 v[18:19], v[8:9]
	v_fma_f64 v[20:21], -v[8:9], v[18:19], 1.0
	s_delay_alu instid0(VALU_DEP_1) | instskip(NEXT) | instid1(VALU_DEP_1)
	v_fma_f64 v[18:19], v[18:19], v[20:21], v[18:19]
	v_fma_f64 v[20:21], -v[8:9], v[18:19], 1.0
	s_delay_alu instid0(VALU_DEP_1) | instskip(SKIP_1) | instid1(VALU_DEP_1)
	v_fma_f64 v[18:19], v[18:19], v[20:21], v[18:19]
	v_div_scale_f64 v[20:21], vcc_lo, v[2:3], v[0:1], v[2:3]
	v_mul_f64_e32 v[22:23], v[20:21], v[18:19]
	s_delay_alu instid0(VALU_DEP_1) | instskip(SKIP_1) | instid1(VALU_DEP_1)
	v_fma_f64 v[8:9], -v[8:9], v[22:23], v[20:21]
	s_wait_alu 0xfffd
	v_div_fmas_f64 v[8:9], v[8:9], v[18:19], v[22:23]
	s_delay_alu instid0(VALU_DEP_1)
	v_div_fixup_f64 v[0:1], v[8:9], v[0:1], v[2:3]
	ds_store_b64 v7, v[0:1]
	s_cbranch_scc1 .LBB86_45
.LBB86_41:                              ;   Parent Loop BB86_3 Depth=1
                                        ; =>  This Loop Header: Depth=2
                                        ;       Child Loop BB86_42 Depth 3
                                        ;       Child Loop BB86_44 Depth 3
	s_wait_alu 0xfffe
	s_lshl_b32 s39, s18, 7
	v_mov_b32_e32 v2, v13
	s_wait_alu 0xfffe
	v_add_nc_u32_e32 v6, s39, v11
	s_cmp_le_i32 s24, s18
	s_mov_b32 s38, s19
	s_mov_b32 s40, s24
	ds_load_b64 v[0:1], v6
	s_cbranch_scc1 .LBB86_43
.LBB86_42:                              ;   Parent Loop BB86_3 Depth=1
                                        ;     Parent Loop BB86_41 Depth=2
                                        ; =>    This Inner Loop Header: Depth=3
	s_wait_alu 0xfffe
	v_mov_b32_e32 v3, s38
	s_add_co_i32 s40, s40, -1
	s_addk_co_i32 s38, 0xff80
	s_wait_alu 0xfffe
	s_cmp_le_i32 s40, s18
	ds_load_b64 v[7:8], v2
	ds_load_b64 v[18:19], v3
	v_add_nc_u32_e32 v2, 0xffffff80, v2
	s_wait_dscnt 0x0
	v_fma_f64 v[0:1], -v[7:8], v[18:19], v[0:1]
	s_cbranch_scc0 .LBB86_42
.LBB86_43:                              ;   in Loop: Header=BB86_41 Depth=2
	s_lshl_b32 s38, s18, 3
	s_mov_b32 s41, s1
	s_wait_alu 0xfffe
	s_add_co_i32 s40, s38, s39
	s_addk_co_i32 s39, 0xff80
	s_wait_alu 0xfffe
	v_dual_mov_b32 v2, s40 :: v_dual_add_nc_u32 v7, s39, v11
	s_cmp_le_i32 s1, s18
	s_mov_b32 s40, s37
	ds_load_b64 v[8:9], v2
	ds_load_b64 v[2:3], v7
	s_wait_dscnt 0x1
	v_div_scale_f64 v[18:19], null, v[8:9], v[8:9], v[0:1]
	s_delay_alu instid0(VALU_DEP_1) | instskip(NEXT) | instid1(TRANS32_DEP_1)
	v_rcp_f64_e32 v[20:21], v[18:19]
	v_fma_f64 v[22:23], -v[18:19], v[20:21], 1.0
	s_delay_alu instid0(VALU_DEP_1) | instskip(NEXT) | instid1(VALU_DEP_1)
	v_fma_f64 v[20:21], v[20:21], v[22:23], v[20:21]
	v_fma_f64 v[22:23], -v[18:19], v[20:21], 1.0
	s_delay_alu instid0(VALU_DEP_1) | instskip(SKIP_1) | instid1(VALU_DEP_1)
	v_fma_f64 v[20:21], v[20:21], v[22:23], v[20:21]
	v_div_scale_f64 v[22:23], vcc_lo, v[0:1], v[8:9], v[0:1]
	v_mul_f64_e32 v[24:25], v[22:23], v[20:21]
	s_delay_alu instid0(VALU_DEP_1) | instskip(SKIP_1) | instid1(VALU_DEP_1)
	v_fma_f64 v[18:19], -v[18:19], v[24:25], v[22:23]
	s_wait_alu 0xfffd
	v_div_fmas_f64 v[18:19], v[18:19], v[20:21], v[24:25]
	s_delay_alu instid0(VALU_DEP_1)
	v_div_fixup_f64 v[8:9], v[18:19], v[8:9], v[0:1]
	v_mov_b32_e32 v0, v13
	ds_store_b64 v6, v[8:9]
	s_cbranch_scc1 .LBB86_40
.LBB86_44:                              ;   Parent Loop BB86_3 Depth=1
                                        ;     Parent Loop BB86_41 Depth=2
                                        ; =>    This Inner Loop Header: Depth=3
	s_wait_alu 0xfffe
	v_mov_b32_e32 v1, s40
	s_add_co_i32 s41, s41, -1
	s_addk_co_i32 s40, 0xff80
	s_wait_alu 0xfffe
	s_cmp_gt_i32 s41, s18
	ds_load_b64 v[8:9], v0
	ds_load_b64 v[18:19], v1
	v_add_nc_u32_e32 v0, 0xffffff80, v0
	s_wait_dscnt 0x0
	v_fma_f64 v[2:3], -v[8:9], v[18:19], v[2:3]
	s_cbranch_scc1 .LBB86_44
	s_branch .LBB86_40
.LBB86_45:                              ;   in Loop: Header=BB86_3 Depth=1
	s_mov_b32 s18, 0
.LBB86_46:                              ;   in Loop: Header=BB86_3 Depth=1
	s_wait_alu 0xfffe
	s_and_not1_b32 vcc_lo, exec_lo, s18
	s_wait_alu 0xfffe
	s_cbranch_vccnz .LBB86_66
; %bb.47:                               ;   in Loop: Header=BB86_3 Depth=1
	s_mov_b32 s37, s24
	s_and_not1_b32 vcc_lo, exec_lo, s28
	s_mov_b32 s18, s34
	s_mov_b32 s19, s24
	s_wait_alu 0xfffe
	s_cbranch_vccnz .LBB86_53
.LBB86_48:                              ;   Parent Loop BB86_3 Depth=1
                                        ; =>  This Loop Header: Depth=2
                                        ;       Child Loop BB86_49 Depth 3
	s_wait_alu 0xfffe
	s_add_co_i32 s39, s19, -1
	v_lshl_add_u32 v18, s19, 7, v11
	s_add_co_i32 s38, s19, -2
	s_wait_alu 0xfffe
	v_lshl_add_u32 v19, s39, 7, v11
	s_add_co_i32 s37, s19, -3
	v_lshl_add_u32 v20, s38, 7, v11
	s_wait_alu 0xfffe
	v_lshl_add_u32 v21, s37, 7, v11
	ds_load_b64 v[8:9], v18
	ds_load_b64 v[6:7], v19
	;; [unrolled: 1-line block ×4, first 2 shown]
	v_mov_b32_e32 v22, v13
	s_cmp_le_i32 s24, s19
	s_mov_b32 s40, s18
	s_mov_b32 s41, s24
	s_cbranch_scc1 .LBB86_50
.LBB86_49:                              ;   Parent Loop BB86_3 Depth=1
                                        ;     Parent Loop BB86_48 Depth=2
                                        ; =>    This Inner Loop Header: Depth=3
	s_wait_alu 0xfffe
	v_mov_b32_e32 v27, s40
	s_add_co_i32 s41, s41, -1
	s_add_co_i32 s40, s40, -8
	s_wait_alu 0xfffe
	s_cmp_le_i32 s41, s19
	ds_load_b64 v[31:32], v22
	ds_load_2addr_b64 v[23:26], v27 offset0:32 offset1:48
	ds_load_2addr_b64 v[27:30], v27 offset1:16
	v_add_nc_u32_e32 v22, 0xffffff80, v22
	s_wait_dscnt 0x1
	v_fma_f64 v[8:9], -v[31:32], v[25:26], v[8:9]
	v_fma_f64 v[6:7], -v[31:32], v[23:24], v[6:7]
	s_wait_dscnt 0x0
	v_fma_f64 v[2:3], -v[31:32], v[29:30], v[2:3]
	v_fma_f64 v[0:1], -v[31:32], v[27:28], v[0:1]
	s_cbranch_scc0 .LBB86_49
.LBB86_50:                              ;   in Loop: Header=BB86_48 Depth=2
	s_lshl_b32 s42, s39, 4
	s_lshl_b32 s41, s38, 4
	;; [unrolled: 1-line block ×3, first 2 shown]
; %bb.51:                               ;   in Loop: Header=BB86_48 Depth=2
	s_mul_i32 s43, s19, 0x88
	s_wait_alu 0xfffe
	s_lshl_b32 s42, s42, 3
	v_mov_b32_e32 v22, s43
	s_lshl_b32 s39, s39, 3
	s_lshl_b32 s38, s38, 3
	s_wait_alu 0xfffe
	s_add_co_i32 s39, s42, s39
	s_lshl_b32 s37, s37, 3
	ds_load_b64 v[26:27], v22
	s_wait_alu 0xfffe
	v_mov_b32_e32 v22, s39
	s_lshl_b32 s39, s41, 3
	s_lshl_b32 s41, s19, 3
	s_wait_alu 0xfffe
	s_add_co_i32 s38, s39, s38
	s_add_co_i32 s42, s39, s41
	ds_load_2addr_b64 v[22:25], v22 offset1:1
	s_addk_co_i32 s18, 0xfe00
	s_wait_dscnt 0x1
	v_div_scale_f64 v[28:29], null, v[26:27], v[26:27], v[8:9]
	v_div_scale_f64 v[34:35], vcc_lo, v[8:9], v[26:27], v[8:9]
	s_delay_alu instid0(VALU_DEP_2) | instskip(NEXT) | instid1(TRANS32_DEP_1)
	v_rcp_f64_e32 v[30:31], v[28:29]
	v_fma_f64 v[32:33], -v[28:29], v[30:31], 1.0
	s_delay_alu instid0(VALU_DEP_1) | instskip(NEXT) | instid1(VALU_DEP_1)
	v_fma_f64 v[30:31], v[30:31], v[32:33], v[30:31]
	v_fma_f64 v[32:33], -v[28:29], v[30:31], 1.0
	s_delay_alu instid0(VALU_DEP_1) | instskip(NEXT) | instid1(VALU_DEP_1)
	v_fma_f64 v[30:31], v[30:31], v[32:33], v[30:31]
	v_mul_f64_e32 v[32:33], v[34:35], v[30:31]
	s_delay_alu instid0(VALU_DEP_1) | instskip(SKIP_1) | instid1(VALU_DEP_1)
	v_fma_f64 v[28:29], -v[28:29], v[32:33], v[34:35]
	s_wait_alu 0xfffd
	v_div_fmas_f64 v[28:29], v[28:29], v[30:31], v[32:33]
	s_delay_alu instid0(VALU_DEP_1) | instskip(SKIP_1) | instid1(VALU_DEP_1)
	v_div_fixup_f64 v[30:31], v[28:29], v[26:27], v[8:9]
	s_wait_dscnt 0x0
	v_fma_f64 v[24:25], -v[30:31], v[24:25], v[6:7]
	s_delay_alu instid0(VALU_DEP_1) | instskip(SKIP_1) | instid1(VALU_DEP_2)
	v_div_scale_f64 v[6:7], null, v[22:23], v[22:23], v[24:25]
	v_div_scale_f64 v[28:29], vcc_lo, v[24:25], v[22:23], v[24:25]
	v_rcp_f64_e32 v[8:9], v[6:7]
	s_delay_alu instid0(TRANS32_DEP_1) | instskip(NEXT) | instid1(VALU_DEP_1)
	v_fma_f64 v[26:27], -v[6:7], v[8:9], 1.0
	v_fma_f64 v[8:9], v[8:9], v[26:27], v[8:9]
	s_delay_alu instid0(VALU_DEP_1) | instskip(NEXT) | instid1(VALU_DEP_1)
	v_fma_f64 v[26:27], -v[6:7], v[8:9], 1.0
	v_fma_f64 v[8:9], v[8:9], v[26:27], v[8:9]
	s_delay_alu instid0(VALU_DEP_1) | instskip(NEXT) | instid1(VALU_DEP_1)
	v_mul_f64_e32 v[26:27], v[28:29], v[8:9]
	v_fma_f64 v[6:7], -v[6:7], v[26:27], v[28:29]
	s_wait_alu 0xfffd
	s_delay_alu instid0(VALU_DEP_1)
	v_div_fmas_f64 v[26:27], v[6:7], v[8:9], v[26:27]
	s_wait_alu 0xfffe
	v_mov_b32_e32 v6, s42
	ds_load_b64 v[28:29], v6
	v_mov_b32_e32 v6, s38
	s_lshl_b32 s38, s40, 3
	s_wait_alu 0xfffe
	s_add_co_i32 s39, s38, s41
	s_add_co_i32 s37, s38, s37
	ds_load_2addr_b64 v[6:9], v6 offset1:1
	s_wait_alu 0xfffe
	s_add_co_i32 s39, s39, -8
	s_wait_dscnt 0x1
	v_fma_f64 v[2:3], -v[30:31], v[28:29], v[2:3]
	v_div_fixup_f64 v[32:33], v[26:27], v[22:23], v[24:25]
	s_wait_dscnt 0x0
	s_delay_alu instid0(VALU_DEP_1) | instskip(NEXT) | instid1(VALU_DEP_1)
	v_fma_f64 v[2:3], -v[32:33], v[8:9], v[2:3]
	v_div_scale_f64 v[8:9], null, v[6:7], v[6:7], v[2:3]
	v_div_scale_f64 v[26:27], vcc_lo, v[2:3], v[6:7], v[2:3]
	s_delay_alu instid0(VALU_DEP_2) | instskip(NEXT) | instid1(TRANS32_DEP_1)
	v_rcp_f64_e32 v[22:23], v[8:9]
	v_fma_f64 v[24:25], -v[8:9], v[22:23], 1.0
	s_delay_alu instid0(VALU_DEP_1) | instskip(NEXT) | instid1(VALU_DEP_1)
	v_fma_f64 v[22:23], v[22:23], v[24:25], v[22:23]
	v_fma_f64 v[24:25], -v[8:9], v[22:23], 1.0
	s_delay_alu instid0(VALU_DEP_1) | instskip(SKIP_4) | instid1(VALU_DEP_1)
	v_fma_f64 v[34:35], v[22:23], v[24:25], v[22:23]
	s_wait_alu 0xfffe
	v_mov_b32_e32 v22, s39
	ds_load_2addr_b64 v[22:25], v22 offset1:1
	v_mul_f64_e32 v[36:37], v[26:27], v[34:35]
	v_fma_f64 v[8:9], -v[8:9], v[36:37], v[26:27]
	v_mov_b32_e32 v26, s37
	s_add_co_i32 s37, s19, -4
	s_cmp_lt_i32 s19, 7
	ds_load_2addr_b64 v[26:29], v26 offset1:1
	s_wait_dscnt 0x1
	v_fma_f64 v[0:1], -v[30:31], v[24:25], v[0:1]
	s_wait_alu 0xfffd
	v_div_fmas_f64 v[8:9], v[8:9], v[34:35], v[36:37]
	s_delay_alu instid0(VALU_DEP_2) | instskip(NEXT) | instid1(VALU_DEP_2)
	v_fma_f64 v[0:1], -v[32:33], v[22:23], v[0:1]
	v_div_fixup_f64 v[2:3], v[8:9], v[6:7], v[2:3]
	s_wait_dscnt 0x0
	s_delay_alu instid0(VALU_DEP_1) | instskip(NEXT) | instid1(VALU_DEP_1)
	v_fma_f64 v[0:1], -v[2:3], v[28:29], v[0:1]
	v_div_scale_f64 v[6:7], null, v[26:27], v[26:27], v[0:1]
	s_delay_alu instid0(VALU_DEP_1) | instskip(NEXT) | instid1(TRANS32_DEP_1)
	v_rcp_f64_e32 v[8:9], v[6:7]
	v_fma_f64 v[22:23], -v[6:7], v[8:9], 1.0
	s_delay_alu instid0(VALU_DEP_1) | instskip(NEXT) | instid1(VALU_DEP_1)
	v_fma_f64 v[8:9], v[8:9], v[22:23], v[8:9]
	v_fma_f64 v[22:23], -v[6:7], v[8:9], 1.0
	s_delay_alu instid0(VALU_DEP_1) | instskip(SKIP_1) | instid1(VALU_DEP_1)
	v_fma_f64 v[8:9], v[8:9], v[22:23], v[8:9]
	v_div_scale_f64 v[22:23], vcc_lo, v[0:1], v[26:27], v[0:1]
	v_mul_f64_e32 v[24:25], v[22:23], v[8:9]
	s_delay_alu instid0(VALU_DEP_1) | instskip(SKIP_1) | instid1(VALU_DEP_1)
	v_fma_f64 v[6:7], -v[6:7], v[24:25], v[22:23]
	s_wait_alu 0xfffd
	v_div_fmas_f64 v[6:7], v[6:7], v[8:9], v[24:25]
	s_delay_alu instid0(VALU_DEP_1)
	v_div_fixup_f64 v[0:1], v[6:7], v[26:27], v[0:1]
	ds_store_b64 v18, v[30:31]
	ds_store_b64 v19, v[32:33]
	ds_store_b64 v20, v[2:3]
	ds_store_b64 v21, v[0:1]
	s_cbranch_scc1 .LBB86_53
; %bb.52:                               ;   in Loop: Header=BB86_48 Depth=2
	s_wait_alu 0xfffe
	s_mov_b32 s19, s37
	s_branch .LBB86_48
.LBB86_53:                              ;   in Loop: Header=BB86_3 Depth=1
	s_wait_alu 0xfffe
	s_cmp_lt_i32 s37, 0
	s_cbranch_scc1 .LBB86_66
; %bb.54:                               ;   in Loop: Header=BB86_3 Depth=1
	s_bitcmp1_b32 s37, 0
	s_cselect_b32 s18, -1, 0
	s_wait_alu 0xfffe
	s_and_b32 vcc_lo, exec_lo, s18
	s_mov_b32 s18, s37
	s_wait_alu 0xfffe
	s_cbranch_vccnz .LBB86_59
; %bb.55:                               ;   in Loop: Header=BB86_3 Depth=1
	v_lshl_add_u32 v2, s37, 7, v11
	s_cmp_le_i32 s24, s37
	ds_load_b64 v[0:1], v2
	s_cbranch_scc1 .LBB86_58
; %bb.56:                               ;   in Loop: Header=BB86_3 Depth=1
	v_mov_b32_e32 v3, v13
	s_lshl_b32 s18, s37, 7
	s_mov_b32 s19, s24
	s_wait_alu 0xfffe
	s_add_co_i32 s18, s35, s18
.LBB86_57:                              ;   Parent Loop BB86_3 Depth=1
                                        ; =>  This Inner Loop Header: Depth=2
	s_wait_alu 0xfffe
	v_mov_b32_e32 v8, s18
	s_add_co_i32 s19, s19, -1
	s_add_co_i32 s18, s18, -8
	s_wait_alu 0xfffe
	s_cmp_gt_u32 s19, s37
	ds_load_b64 v[6:7], v3
	ds_load_b64 v[8:9], v8
	v_add_nc_u32_e32 v3, 0xffffff80, v3
	s_wait_dscnt 0x0
	v_fma_f64 v[0:1], -v[6:7], v[8:9], v[0:1]
	s_cbranch_scc1 .LBB86_57
.LBB86_58:                              ;   in Loop: Header=BB86_3 Depth=1
	s_mul_i32 s18, s37, 0x88
	s_wait_alu 0xfffe
	v_mov_b32_e32 v3, s18
	s_add_co_i32 s18, s37, -1
	ds_load_b64 v[6:7], v3
	s_wait_dscnt 0x0
	v_div_scale_f64 v[8:9], null, v[6:7], v[6:7], v[0:1]
	s_delay_alu instid0(VALU_DEP_1) | instskip(NEXT) | instid1(TRANS32_DEP_1)
	v_rcp_f64_e32 v[18:19], v[8:9]
	v_fma_f64 v[20:21], -v[8:9], v[18:19], 1.0
	s_delay_alu instid0(VALU_DEP_1) | instskip(NEXT) | instid1(VALU_DEP_1)
	v_fma_f64 v[18:19], v[18:19], v[20:21], v[18:19]
	v_fma_f64 v[20:21], -v[8:9], v[18:19], 1.0
	s_delay_alu instid0(VALU_DEP_1) | instskip(SKIP_1) | instid1(VALU_DEP_1)
	v_fma_f64 v[18:19], v[18:19], v[20:21], v[18:19]
	v_div_scale_f64 v[20:21], vcc_lo, v[0:1], v[6:7], v[0:1]
	v_mul_f64_e32 v[22:23], v[20:21], v[18:19]
	s_delay_alu instid0(VALU_DEP_1) | instskip(SKIP_1) | instid1(VALU_DEP_1)
	v_fma_f64 v[8:9], -v[8:9], v[22:23], v[20:21]
	s_wait_alu 0xfffd
	v_div_fmas_f64 v[8:9], v[8:9], v[18:19], v[22:23]
	s_delay_alu instid0(VALU_DEP_1)
	v_div_fixup_f64 v[0:1], v[8:9], v[6:7], v[0:1]
	ds_store_b64 v2, v[0:1]
.LBB86_59:                              ;   in Loop: Header=BB86_3 Depth=1
	s_cmp_eq_u32 s37, 0
	s_cbranch_scc1 .LBB86_66
; %bb.60:                               ;   in Loop: Header=BB86_3 Depth=1
	s_wait_alu 0xfffe
	s_lshl_b32 s37, s18, 7
	s_wait_alu 0xfffe
	s_add_co_i32 s19, s35, s37
	s_add_co_i32 s37, s36, s37
	s_branch .LBB86_62
.LBB86_61:                              ;   in Loop: Header=BB86_62 Depth=2
	s_addk_co_i32 s39, 0xff78
	s_add_co_i32 s18, s18, -2
	s_wait_alu 0xfffe
	v_mov_b32_e32 v0, s39
	s_addk_co_i32 s19, 0xff00
	s_addk_co_i32 s37, 0xff00
	s_cmp_eq_u32 s38, 0
	ds_load_b64 v[0:1], v0
	s_wait_dscnt 0x0
	v_div_scale_f64 v[8:9], null, v[0:1], v[0:1], v[2:3]
	s_delay_alu instid0(VALU_DEP_1) | instskip(NEXT) | instid1(TRANS32_DEP_1)
	v_rcp_f64_e32 v[18:19], v[8:9]
	v_fma_f64 v[20:21], -v[8:9], v[18:19], 1.0
	s_delay_alu instid0(VALU_DEP_1) | instskip(NEXT) | instid1(VALU_DEP_1)
	v_fma_f64 v[18:19], v[18:19], v[20:21], v[18:19]
	v_fma_f64 v[20:21], -v[8:9], v[18:19], 1.0
	s_delay_alu instid0(VALU_DEP_1) | instskip(SKIP_1) | instid1(VALU_DEP_1)
	v_fma_f64 v[18:19], v[18:19], v[20:21], v[18:19]
	v_div_scale_f64 v[20:21], vcc_lo, v[2:3], v[0:1], v[2:3]
	v_mul_f64_e32 v[22:23], v[20:21], v[18:19]
	s_delay_alu instid0(VALU_DEP_1) | instskip(SKIP_1) | instid1(VALU_DEP_1)
	v_fma_f64 v[8:9], -v[8:9], v[22:23], v[20:21]
	s_wait_alu 0xfffd
	v_div_fmas_f64 v[8:9], v[8:9], v[18:19], v[22:23]
	s_delay_alu instid0(VALU_DEP_1)
	v_div_fixup_f64 v[0:1], v[8:9], v[0:1], v[2:3]
	ds_store_b64 v7, v[0:1]
	s_cbranch_scc1 .LBB86_66
.LBB86_62:                              ;   Parent Loop BB86_3 Depth=1
                                        ; =>  This Loop Header: Depth=2
                                        ;       Child Loop BB86_63 Depth 3
                                        ;       Child Loop BB86_65 Depth 3
	v_lshl_add_u32 v6, s18, 7, v11
	v_mov_b32_e32 v2, v13
	s_cmp_le_i32 s24, s18
	s_wait_alu 0xfffe
	s_mov_b32 s38, s19
	s_mov_b32 s39, s24
	ds_load_b64 v[0:1], v6
	s_cbranch_scc1 .LBB86_64
.LBB86_63:                              ;   Parent Loop BB86_3 Depth=1
                                        ;     Parent Loop BB86_62 Depth=2
                                        ; =>    This Inner Loop Header: Depth=3
	s_wait_alu 0xfffe
	v_mov_b32_e32 v3, s38
	s_add_co_i32 s39, s39, -1
	s_add_co_i32 s38, s38, -8
	s_wait_alu 0xfffe
	s_cmp_le_u32 s39, s18
	ds_load_b64 v[7:8], v2
	ds_load_b64 v[18:19], v3
	v_add_nc_u32_e32 v2, 0xffffff80, v2
	s_wait_dscnt 0x0
	v_fma_f64 v[0:1], -v[7:8], v[18:19], v[0:1]
	s_cbranch_scc0 .LBB86_63
.LBB86_64:                              ;   in Loop: Header=BB86_62 Depth=2
	s_mul_i32 s39, s18, 0x88
	s_add_co_i32 s38, s18, -1
	s_wait_alu 0xfffe
	v_mov_b32_e32 v2, s39
	v_lshl_add_u32 v7, s38, 7, v11
	s_cmp_le_i32 s1, s18
	s_mov_b32 s40, s37
	s_mov_b32 s41, s24
	ds_load_b64 v[8:9], v2
	ds_load_b64 v[2:3], v7
	s_wait_dscnt 0x1
	v_div_scale_f64 v[18:19], null, v[8:9], v[8:9], v[0:1]
	s_delay_alu instid0(VALU_DEP_1) | instskip(NEXT) | instid1(TRANS32_DEP_1)
	v_rcp_f64_e32 v[20:21], v[18:19]
	v_fma_f64 v[22:23], -v[18:19], v[20:21], 1.0
	s_delay_alu instid0(VALU_DEP_1) | instskip(NEXT) | instid1(VALU_DEP_1)
	v_fma_f64 v[20:21], v[20:21], v[22:23], v[20:21]
	v_fma_f64 v[22:23], -v[18:19], v[20:21], 1.0
	s_delay_alu instid0(VALU_DEP_1) | instskip(SKIP_1) | instid1(VALU_DEP_1)
	v_fma_f64 v[20:21], v[20:21], v[22:23], v[20:21]
	v_div_scale_f64 v[22:23], vcc_lo, v[0:1], v[8:9], v[0:1]
	v_mul_f64_e32 v[24:25], v[22:23], v[20:21]
	s_delay_alu instid0(VALU_DEP_1) | instskip(SKIP_1) | instid1(VALU_DEP_1)
	v_fma_f64 v[18:19], -v[18:19], v[24:25], v[22:23]
	s_wait_alu 0xfffd
	v_div_fmas_f64 v[18:19], v[18:19], v[20:21], v[24:25]
	s_delay_alu instid0(VALU_DEP_1)
	v_div_fixup_f64 v[8:9], v[18:19], v[8:9], v[0:1]
	v_mov_b32_e32 v0, v13
	ds_store_b64 v6, v[8:9]
	s_cbranch_scc1 .LBB86_61
.LBB86_65:                              ;   Parent Loop BB86_3 Depth=1
                                        ;     Parent Loop BB86_62 Depth=2
                                        ; =>    This Inner Loop Header: Depth=3
	s_wait_alu 0xfffe
	v_mov_b32_e32 v1, s40
	s_add_co_i32 s41, s41, -1
	s_add_co_i32 s40, s40, -8
	s_wait_alu 0xfffe
	s_cmp_gt_u32 s41, s38
	ds_load_b64 v[8:9], v0
	ds_load_b64 v[18:19], v1
	v_add_nc_u32_e32 v0, 0xffffff80, v0
	s_wait_dscnt 0x0
	v_fma_f64 v[2:3], -v[8:9], v[18:19], v[2:3]
	s_cbranch_scc1 .LBB86_65
	s_branch .LBB86_61
.LBB86_66:                              ;   in Loop: Header=BB86_3 Depth=1
	s_mov_b32 s18, 0
.LBB86_67:                              ;   in Loop: Header=BB86_3 Depth=1
	s_wait_alu 0xfffe
	s_and_not1_b32 vcc_lo, exec_lo, s18
	s_wait_alu 0xfffe
	s_cbranch_vccnz .LBB86_79
; %bb.68:                               ;   in Loop: Header=BB86_3 Depth=1
	s_and_not1_b32 vcc_lo, exec_lo, s28
	s_mov_b32 s37, 0
	s_wait_alu 0xfffe
	s_cbranch_vccnz .LBB86_74
; %bb.69:                               ;   in Loop: Header=BB86_3 Depth=1
	s_mov_b32 s18, 0
	s_mov_b32 s19, 0
.LBB86_70:                              ;   Parent Loop BB86_3 Depth=1
                                        ; =>  This Loop Header: Depth=2
                                        ;       Child Loop BB86_71 Depth 3
	s_wait_alu 0xfffe
	s_or_b32 s39, s19, 1
	v_lshl_add_u32 v18, s19, 7, v11
	s_or_b32 s37, s19, 2
	s_or_b32 s38, s19, 3
	s_wait_alu 0xfffe
	v_lshl_add_u32 v19, s39, 7, v11
	v_lshl_add_u32 v20, s37, 7, v11
	v_lshl_add_u32 v21, s38, 7, v11
	ds_load_b64 v[8:9], v18
	ds_load_b64 v[6:7], v19
	;; [unrolled: 1-line block ×4, first 2 shown]
	v_mov_b32_e32 v22, v11
	s_cmp_eq_u32 s19, 0
	s_mov_b32 s40, s18
	s_mov_b32 s41, s19
	s_cbranch_scc1 .LBB86_72
.LBB86_71:                              ;   Parent Loop BB86_3 Depth=1
                                        ;     Parent Loop BB86_70 Depth=2
                                        ; =>    This Inner Loop Header: Depth=3
	s_wait_alu 0xfffe
	v_mov_b32_e32 v27, s40
	s_add_co_i32 s41, s41, -1
	s_add_co_i32 s40, s40, 8
	s_wait_alu 0xfffe
	s_cmp_eq_u32 s41, 0
	ds_load_b64 v[31:32], v22
	ds_load_2addr_b64 v[23:26], v27 offset1:16
	ds_load_2addr_b64 v[27:30], v27 offset0:32 offset1:48
	v_add_nc_u32_e32 v22, 0x80, v22
	s_wait_dscnt 0x1
	v_fma_f64 v[8:9], -v[31:32], v[23:24], v[8:9]
	v_fma_f64 v[6:7], -v[31:32], v[25:26], v[6:7]
	s_wait_dscnt 0x0
	v_fma_f64 v[2:3], -v[31:32], v[27:28], v[2:3]
	v_fma_f64 v[0:1], -v[31:32], v[29:30], v[0:1]
	s_cbranch_scc0 .LBB86_71
.LBB86_72:                              ;   in Loop: Header=BB86_70 Depth=2
	s_mul_i32 s41, s19, 0x88
	s_lshl_b32 s40, s39, 4
	s_wait_alu 0xfffe
	v_mov_b32_e32 v22, s41
	s_lshl_b32 s40, s40, 3
	s_lshl_b32 s41, s19, 3
	;; [unrolled: 1-line block ×3, first 2 shown]
	s_wait_alu 0xfffe
	s_add_co_i32 s40, s40, s41
	ds_load_b64 v[26:27], v22
	s_wait_alu 0xfffe
	v_mov_b32_e32 v22, s40
	s_lshl_b32 s39, s39, 3
	s_lshl_b32 s37, s37, 3
	s_wait_alu 0xfffe
	s_add_co_i32 s40, s39, s41
	s_add_co_i32 s37, s39, s37
	ds_load_b128 v[22:25], v22
	s_lshl_b32 s38, s38, 4
	s_addk_co_i32 s18, 0x200
	s_wait_dscnt 0x1
	v_div_scale_f64 v[28:29], null, v[26:27], v[26:27], v[8:9]
	v_div_scale_f64 v[34:35], vcc_lo, v[8:9], v[26:27], v[8:9]
	s_delay_alu instid0(VALU_DEP_2) | instskip(NEXT) | instid1(TRANS32_DEP_1)
	v_rcp_f64_e32 v[30:31], v[28:29]
	v_fma_f64 v[32:33], -v[28:29], v[30:31], 1.0
	s_delay_alu instid0(VALU_DEP_1) | instskip(NEXT) | instid1(VALU_DEP_1)
	v_fma_f64 v[30:31], v[30:31], v[32:33], v[30:31]
	v_fma_f64 v[32:33], -v[28:29], v[30:31], 1.0
	s_delay_alu instid0(VALU_DEP_1) | instskip(NEXT) | instid1(VALU_DEP_1)
	v_fma_f64 v[30:31], v[30:31], v[32:33], v[30:31]
	v_mul_f64_e32 v[32:33], v[34:35], v[30:31]
	s_delay_alu instid0(VALU_DEP_1) | instskip(SKIP_1) | instid1(VALU_DEP_1)
	v_fma_f64 v[28:29], -v[28:29], v[32:33], v[34:35]
	s_wait_alu 0xfffd
	v_div_fmas_f64 v[28:29], v[28:29], v[30:31], v[32:33]
	s_delay_alu instid0(VALU_DEP_1) | instskip(SKIP_1) | instid1(VALU_DEP_1)
	v_div_fixup_f64 v[26:27], v[28:29], v[26:27], v[8:9]
	s_wait_dscnt 0x0
	v_fma_f64 v[22:23], -v[26:27], v[22:23], v[6:7]
	s_delay_alu instid0(VALU_DEP_1) | instskip(SKIP_1) | instid1(VALU_DEP_2)
	v_div_scale_f64 v[6:7], null, v[24:25], v[24:25], v[22:23]
	v_div_scale_f64 v[30:31], vcc_lo, v[22:23], v[24:25], v[22:23]
	v_rcp_f64_e32 v[8:9], v[6:7]
	s_delay_alu instid0(TRANS32_DEP_1) | instskip(NEXT) | instid1(VALU_DEP_1)
	v_fma_f64 v[28:29], -v[6:7], v[8:9], 1.0
	v_fma_f64 v[8:9], v[8:9], v[28:29], v[8:9]
	s_delay_alu instid0(VALU_DEP_1) | instskip(NEXT) | instid1(VALU_DEP_1)
	v_fma_f64 v[28:29], -v[6:7], v[8:9], 1.0
	v_fma_f64 v[8:9], v[8:9], v[28:29], v[8:9]
	s_delay_alu instid0(VALU_DEP_1) | instskip(NEXT) | instid1(VALU_DEP_1)
	v_mul_f64_e32 v[28:29], v[30:31], v[8:9]
	v_fma_f64 v[6:7], -v[6:7], v[28:29], v[30:31]
	s_wait_alu 0xfffe
	v_mov_b32_e32 v30, s37
	s_lshl_b32 s37, s38, 3
	s_wait_alu 0xfffe
	s_add_co_i32 s37, s37, s41
	ds_load_b64 v[30:31], v30
	s_wait_alu 0xfffd
	v_div_fmas_f64 v[28:29], v[6:7], v[8:9], v[28:29]
	v_mov_b32_e32 v6, s40
	ds_load_b128 v[6:9], v6
	s_wait_dscnt 0x0
	v_fma_f64 v[2:3], -v[26:27], v[6:7], v[2:3]
	v_div_fixup_f64 v[28:29], v[28:29], v[24:25], v[22:23]
	s_delay_alu instid0(VALU_DEP_1) | instskip(NEXT) | instid1(VALU_DEP_1)
	v_fma_f64 v[2:3], -v[28:29], v[8:9], v[2:3]
	v_div_scale_f64 v[6:7], null, v[30:31], v[30:31], v[2:3]
	v_div_scale_f64 v[24:25], vcc_lo, v[2:3], v[30:31], v[2:3]
	s_delay_alu instid0(VALU_DEP_2) | instskip(NEXT) | instid1(TRANS32_DEP_1)
	v_rcp_f64_e32 v[8:9], v[6:7]
	v_fma_f64 v[22:23], -v[6:7], v[8:9], 1.0
	s_delay_alu instid0(VALU_DEP_1) | instskip(NEXT) | instid1(VALU_DEP_1)
	v_fma_f64 v[8:9], v[8:9], v[22:23], v[8:9]
	v_fma_f64 v[22:23], -v[6:7], v[8:9], 1.0
	s_delay_alu instid0(VALU_DEP_1)
	v_fma_f64 v[32:33], v[8:9], v[22:23], v[8:9]
	s_wait_alu 0xfffe
	v_mov_b32_e32 v22, s37
	s_add_co_i32 s37, s19, 4
	s_add_co_i32 s19, s19, 7
	s_wait_alu 0xfffe
	s_cmp_ge_i32 s19, s1
	s_delay_alu instid0(VALU_DEP_2) | instskip(NEXT) | instid1(VALU_DEP_1)
	v_mul_f64_e32 v[34:35], v[24:25], v[32:33]
	v_fma_f64 v[36:37], -v[6:7], v[34:35], v[24:25]
	ds_load_b128 v[6:9], v22
	ds_load_b128 v[22:25], v22 offset:16
	s_wait_dscnt 0x1
	v_fma_f64 v[0:1], -v[26:27], v[6:7], v[0:1]
	s_wait_alu 0xfffd
	v_div_fmas_f64 v[6:7], v[36:37], v[32:33], v[34:35]
	s_delay_alu instid0(VALU_DEP_2) | instskip(NEXT) | instid1(VALU_DEP_2)
	v_fma_f64 v[0:1], -v[28:29], v[8:9], v[0:1]
	v_div_fixup_f64 v[2:3], v[6:7], v[30:31], v[2:3]
	s_wait_dscnt 0x0
	s_delay_alu instid0(VALU_DEP_1) | instskip(NEXT) | instid1(VALU_DEP_1)
	v_fma_f64 v[0:1], -v[2:3], v[22:23], v[0:1]
	v_div_scale_f64 v[6:7], null, v[24:25], v[24:25], v[0:1]
	s_delay_alu instid0(VALU_DEP_1) | instskip(NEXT) | instid1(TRANS32_DEP_1)
	v_rcp_f64_e32 v[8:9], v[6:7]
	v_fma_f64 v[22:23], -v[6:7], v[8:9], 1.0
	s_delay_alu instid0(VALU_DEP_1) | instskip(NEXT) | instid1(VALU_DEP_1)
	v_fma_f64 v[8:9], v[8:9], v[22:23], v[8:9]
	v_fma_f64 v[22:23], -v[6:7], v[8:9], 1.0
	s_delay_alu instid0(VALU_DEP_1) | instskip(SKIP_1) | instid1(VALU_DEP_1)
	v_fma_f64 v[8:9], v[8:9], v[22:23], v[8:9]
	v_div_scale_f64 v[22:23], vcc_lo, v[0:1], v[24:25], v[0:1]
	v_mul_f64_e32 v[30:31], v[22:23], v[8:9]
	s_delay_alu instid0(VALU_DEP_1) | instskip(SKIP_1) | instid1(VALU_DEP_1)
	v_fma_f64 v[6:7], -v[6:7], v[30:31], v[22:23]
	s_wait_alu 0xfffd
	v_div_fmas_f64 v[6:7], v[6:7], v[8:9], v[30:31]
	s_delay_alu instid0(VALU_DEP_1)
	v_div_fixup_f64 v[0:1], v[6:7], v[24:25], v[0:1]
	ds_store_b64 v18, v[26:27]
	ds_store_b64 v19, v[28:29]
	;; [unrolled: 1-line block ×4, first 2 shown]
	s_cbranch_scc1 .LBB86_74
; %bb.73:                               ;   in Loop: Header=BB86_70 Depth=2
	s_mov_b32 s19, s37
	s_branch .LBB86_70
.LBB86_74:                              ;   in Loop: Header=BB86_3 Depth=1
	s_cmp_ge_i32 s37, s1
	s_cbranch_scc1 .LBB86_79
; %bb.75:                               ;   in Loop: Header=BB86_3 Depth=1
	s_lshl_b32 s18, s37, 7
	s_branch .LBB86_77
.LBB86_76:                              ;   in Loop: Header=BB86_77 Depth=2
	s_mul_i32 s19, s37, 0x88
	s_add_co_i32 s37, s37, 1
	s_wait_alu 0xfffe
	v_mov_b32_e32 v3, s19
	s_addk_co_i32 s18, 0x80
	s_cmp_ge_i32 s37, s1
	ds_load_b64 v[6:7], v3
	s_wait_dscnt 0x0
	v_div_scale_f64 v[8:9], null, v[6:7], v[6:7], v[0:1]
	s_delay_alu instid0(VALU_DEP_1) | instskip(NEXT) | instid1(TRANS32_DEP_1)
	v_rcp_f64_e32 v[18:19], v[8:9]
	v_fma_f64 v[20:21], -v[8:9], v[18:19], 1.0
	s_delay_alu instid0(VALU_DEP_1) | instskip(NEXT) | instid1(VALU_DEP_1)
	v_fma_f64 v[18:19], v[18:19], v[20:21], v[18:19]
	v_fma_f64 v[20:21], -v[8:9], v[18:19], 1.0
	s_delay_alu instid0(VALU_DEP_1) | instskip(SKIP_1) | instid1(VALU_DEP_1)
	v_fma_f64 v[18:19], v[18:19], v[20:21], v[18:19]
	v_div_scale_f64 v[20:21], vcc_lo, v[0:1], v[6:7], v[0:1]
	v_mul_f64_e32 v[22:23], v[20:21], v[18:19]
	s_delay_alu instid0(VALU_DEP_1) | instskip(SKIP_1) | instid1(VALU_DEP_1)
	v_fma_f64 v[8:9], -v[8:9], v[22:23], v[20:21]
	s_wait_alu 0xfffd
	v_div_fmas_f64 v[8:9], v[8:9], v[18:19], v[22:23]
	s_delay_alu instid0(VALU_DEP_1)
	v_div_fixup_f64 v[0:1], v[8:9], v[6:7], v[0:1]
	ds_store_b64 v2, v[0:1]
	s_cbranch_scc1 .LBB86_79
.LBB86_77:                              ;   Parent Loop BB86_3 Depth=1
                                        ; =>  This Loop Header: Depth=2
                                        ;       Child Loop BB86_78 Depth 3
	v_lshl_add_u32 v2, s37, 7, v11
	v_mov_b32_e32 v3, v11
	s_cmp_eq_u32 s37, 0
	s_wait_alu 0xfffe
	s_mov_b32 s19, s18
	s_mov_b32 s38, s37
	ds_load_b64 v[0:1], v2
	s_cbranch_scc1 .LBB86_76
.LBB86_78:                              ;   Parent Loop BB86_3 Depth=1
                                        ;     Parent Loop BB86_77 Depth=2
                                        ; =>    This Inner Loop Header: Depth=3
	s_wait_alu 0xfffe
	v_mov_b32_e32 v8, s19
	s_add_co_i32 s38, s38, -1
	s_add_co_i32 s19, s19, 8
	s_wait_alu 0xfffe
	s_cmp_eq_u32 s38, 0
	ds_load_b64 v[6:7], v3
	ds_load_b64 v[8:9], v8
	v_add_nc_u32_e32 v3, 0x80, v3
	s_wait_dscnt 0x0
	v_fma_f64 v[0:1], -v[6:7], v[8:9], v[0:1]
	s_cbranch_scc0 .LBB86_78
	s_branch .LBB86_76
.LBB86_79:                              ;   in Loop: Header=BB86_3 Depth=1
	s_and_saveexec_b32 s18, s29
	s_cbranch_execz .LBB86_2
; %bb.80:                               ;   in Loop: Header=BB86_3 Depth=1
	v_add_co_u32 v0, vcc_lo, v16, v15
	s_wait_alu 0xfffd
	v_add_co_ci_u32_e64 v1, null, 0, v17, vcc_lo
	v_mov_b32_e32 v2, v11
	s_mov_b32 s19, s23
.LBB86_81:                              ;   Parent Loop BB86_3 Depth=1
                                        ; =>  This Inner Loop Header: Depth=2
	ds_load_b64 v[6:7], v2
	v_add_nc_u32_e32 v2, 0x80, v2
	s_wait_alu 0xfffe
	s_add_co_i32 s19, s19, -1
	s_wait_alu 0xfffe
	s_cmp_lg_u32 s19, 0
	s_wait_dscnt 0x0
	flat_store_b64 v[0:1], v[6:7]
	v_add_co_u32 v0, vcc_lo, v0, s14
	s_wait_alu 0xfffd
	v_add_co_ci_u32_e64 v1, null, s15, v1, vcc_lo
	s_cbranch_scc1 .LBB86_81
	s_branch .LBB86_2
.LBB86_82:
	s_endpgm
	.section	.rodata,"a",@progbits
	.p2align	6, 0x0
	.amdhsa_kernel _ZL31rocblas_trsm_small_right_deviceIddPKPKdPKPdLi16EEv13rocblas_fill_18rocblas_operation_17rocblas_diagonal_iiT0_T1_lilT2_lili
		.amdhsa_group_segment_fixed_size 4096
		.amdhsa_private_segment_fixed_size 0
		.amdhsa_kernarg_size 360
		.amdhsa_user_sgpr_count 2
		.amdhsa_user_sgpr_dispatch_ptr 0
		.amdhsa_user_sgpr_queue_ptr 0
		.amdhsa_user_sgpr_kernarg_segment_ptr 1
		.amdhsa_user_sgpr_dispatch_id 0
		.amdhsa_user_sgpr_private_segment_size 0
		.amdhsa_wavefront_size32 1
		.amdhsa_uses_dynamic_stack 0
		.amdhsa_enable_private_segment 0
		.amdhsa_system_sgpr_workgroup_id_x 1
		.amdhsa_system_sgpr_workgroup_id_y 0
		.amdhsa_system_sgpr_workgroup_id_z 1
		.amdhsa_system_sgpr_workgroup_info 0
		.amdhsa_system_vgpr_workitem_id 0
		.amdhsa_next_free_vgpr 169
		.amdhsa_next_free_sgpr 44
		.amdhsa_reserve_vcc 1
		.amdhsa_float_round_mode_32 0
		.amdhsa_float_round_mode_16_64 0
		.amdhsa_float_denorm_mode_32 3
		.amdhsa_float_denorm_mode_16_64 3
		.amdhsa_fp16_overflow 0
		.amdhsa_workgroup_processor_mode 1
		.amdhsa_memory_ordered 1
		.amdhsa_forward_progress 1
		.amdhsa_inst_pref_size 55
		.amdhsa_round_robin_scheduling 0
		.amdhsa_exception_fp_ieee_invalid_op 0
		.amdhsa_exception_fp_denorm_src 0
		.amdhsa_exception_fp_ieee_div_zero 0
		.amdhsa_exception_fp_ieee_overflow 0
		.amdhsa_exception_fp_ieee_underflow 0
		.amdhsa_exception_fp_ieee_inexact 0
		.amdhsa_exception_int_div_zero 0
	.end_amdhsa_kernel
	.section	.text._ZL31rocblas_trsm_small_right_deviceIddPKPKdPKPdLi16EEv13rocblas_fill_18rocblas_operation_17rocblas_diagonal_iiT0_T1_lilT2_lili,"axG",@progbits,_ZL31rocblas_trsm_small_right_deviceIddPKPKdPKPdLi16EEv13rocblas_fill_18rocblas_operation_17rocblas_diagonal_iiT0_T1_lilT2_lili,comdat
.Lfunc_end86:
	.size	_ZL31rocblas_trsm_small_right_deviceIddPKPKdPKPdLi16EEv13rocblas_fill_18rocblas_operation_17rocblas_diagonal_iiT0_T1_lilT2_lili, .Lfunc_end86-_ZL31rocblas_trsm_small_right_deviceIddPKPKdPKPdLi16EEv13rocblas_fill_18rocblas_operation_17rocblas_diagonal_iiT0_T1_lilT2_lili
                                        ; -- End function
	.set _ZL31rocblas_trsm_small_right_deviceIddPKPKdPKPdLi16EEv13rocblas_fill_18rocblas_operation_17rocblas_diagonal_iiT0_T1_lilT2_lili.num_vgpr, 43
	.set _ZL31rocblas_trsm_small_right_deviceIddPKPKdPKPdLi16EEv13rocblas_fill_18rocblas_operation_17rocblas_diagonal_iiT0_T1_lilT2_lili.num_agpr, 0
	.set _ZL31rocblas_trsm_small_right_deviceIddPKPKdPKPdLi16EEv13rocblas_fill_18rocblas_operation_17rocblas_diagonal_iiT0_T1_lilT2_lili.numbered_sgpr, 44
	.set _ZL31rocblas_trsm_small_right_deviceIddPKPKdPKPdLi16EEv13rocblas_fill_18rocblas_operation_17rocblas_diagonal_iiT0_T1_lilT2_lili.num_named_barrier, 0
	.set _ZL31rocblas_trsm_small_right_deviceIddPKPKdPKPdLi16EEv13rocblas_fill_18rocblas_operation_17rocblas_diagonal_iiT0_T1_lilT2_lili.private_seg_size, 0
	.set _ZL31rocblas_trsm_small_right_deviceIddPKPKdPKPdLi16EEv13rocblas_fill_18rocblas_operation_17rocblas_diagonal_iiT0_T1_lilT2_lili.uses_vcc, 1
	.set _ZL31rocblas_trsm_small_right_deviceIddPKPKdPKPdLi16EEv13rocblas_fill_18rocblas_operation_17rocblas_diagonal_iiT0_T1_lilT2_lili.uses_flat_scratch, 0
	.set _ZL31rocblas_trsm_small_right_deviceIddPKPKdPKPdLi16EEv13rocblas_fill_18rocblas_operation_17rocblas_diagonal_iiT0_T1_lilT2_lili.has_dyn_sized_stack, 0
	.set _ZL31rocblas_trsm_small_right_deviceIddPKPKdPKPdLi16EEv13rocblas_fill_18rocblas_operation_17rocblas_diagonal_iiT0_T1_lilT2_lili.has_recursion, 0
	.set _ZL31rocblas_trsm_small_right_deviceIddPKPKdPKPdLi16EEv13rocblas_fill_18rocblas_operation_17rocblas_diagonal_iiT0_T1_lilT2_lili.has_indirect_call, 0
	.section	.AMDGPU.csdata,"",@progbits
; Kernel info:
; codeLenInByte = 6992
; TotalNumSgprs: 46
; NumVgprs: 43
; ScratchSize: 0
; MemoryBound: 0
; FloatMode: 240
; IeeeMode: 1
; LDSByteSize: 4096 bytes/workgroup (compile time only)
; SGPRBlocks: 0
; VGPRBlocks: 21
; NumSGPRsForWavesPerEU: 46
; NumVGPRsForWavesPerEU: 169
; Occupancy: 8
; WaveLimiterHint : 0
; COMPUTE_PGM_RSRC2:SCRATCH_EN: 0
; COMPUTE_PGM_RSRC2:USER_SGPR: 2
; COMPUTE_PGM_RSRC2:TRAP_HANDLER: 0
; COMPUTE_PGM_RSRC2:TGID_X_EN: 1
; COMPUTE_PGM_RSRC2:TGID_Y_EN: 0
; COMPUTE_PGM_RSRC2:TGID_Z_EN: 1
; COMPUTE_PGM_RSRC2:TIDIG_COMP_CNT: 0
	.section	.text._ZL38rocblas_trsm_small_left_device_sharedBILi20ELi20ELb0EddPKPKdPKPdEv13rocblas_fill_18rocblas_operation_17rocblas_diagonal_iiT3_T4_lilT5_lili,"axG",@progbits,_ZL38rocblas_trsm_small_left_device_sharedBILi20ELi20ELb0EddPKPKdPKPdEv13rocblas_fill_18rocblas_operation_17rocblas_diagonal_iiT3_T4_lilT5_lili,comdat
	.globl	_ZL38rocblas_trsm_small_left_device_sharedBILi20ELi20ELb0EddPKPKdPKPdEv13rocblas_fill_18rocblas_operation_17rocblas_diagonal_iiT3_T4_lilT5_lili ; -- Begin function _ZL38rocblas_trsm_small_left_device_sharedBILi20ELi20ELb0EddPKPKdPKPdEv13rocblas_fill_18rocblas_operation_17rocblas_diagonal_iiT3_T4_lilT5_lili
	.p2align	8
	.type	_ZL38rocblas_trsm_small_left_device_sharedBILi20ELi20ELb0EddPKPKdPKPdEv13rocblas_fill_18rocblas_operation_17rocblas_diagonal_iiT3_T4_lilT5_lili,@function
_ZL38rocblas_trsm_small_left_device_sharedBILi20ELi20ELb0EddPKPKdPKPdEv13rocblas_fill_18rocblas_operation_17rocblas_diagonal_iiT3_T4_lilT5_lili: ; @_ZL38rocblas_trsm_small_left_device_sharedBILi20ELi20ELb0EddPKPKdPKPdEv13rocblas_fill_18rocblas_operation_17rocblas_diagonal_iiT3_T4_lilT5_lili
; %bb.0:
	s_load_b32 s22, s[0:1], 0x60
	s_lshr_b32 s2, ttmp7, 16
	s_wait_kmcnt 0x0
	s_cmp_ge_u32 s2, s22
	s_cbranch_scc1 .LBB87_57
; %bb.1:
	s_clause 0x5
	s_load_b96 s[16:18], s[0:1], 0x28
	s_load_b32 s20, s[0:1], 0x50
	s_load_b128 s[12:15], s[0:1], 0x4
	s_load_b32 s3, s[0:1], 0x68
	s_load_b128 s[4:7], s[0:1], 0x18
	s_load_b128 s[8:11], s[0:1], 0x40
	s_mul_i32 s0, ttmp9, 0xffffffec
	s_mul_i32 s24, ttmp9, 20
	v_dual_mov_b32 v9, 0 :: v_dual_lshlrev_b32 v8, 3, v0
	v_mul_u32_u24_e32 v4, 0xa0, v0
	s_mov_b32 s19, 0
	s_delay_alu instid0(VALU_DEP_2) | instskip(NEXT) | instid1(VALU_DEP_2)
	v_add_nc_u32_e32 v1, 0xc80, v8
	v_add_nc_u32_e32 v10, v8, v4
	s_wait_kmcnt 0x0
	s_ashr_i32 s29, s18, 31
	v_mad_co_i64_i32 v[2:3], null, s20, v0, 0
	s_min_i32 s1, s14, 20
	s_add_co_i32 s3, s3, -1
	s_ashr_i32 s21, s20, 31
	s_add_co_i32 s15, s15, s0
	s_add_co_i32 s23, s1, -1
	s_cmp_ge_u32 ttmp9, s3
	v_lshlrev_b64_e32 v[2:3], 3, v[2:3]
	s_cselect_b32 s3, s15, 20
	s_ashr_i32 s25, s24, 31
	s_cmp_lg_u32 s13, 0x84
	v_cmp_gt_i32_e32 vcc_lo, s3, v0
	s_wait_alu 0xfffe
	s_mul_u64 s[20:21], s[20:21], s[24:25]
	s_cselect_b32 s24, -1, 0
	s_cmp_gt_i32 s14, 0
	v_cmp_gt_i32_e64 s0, s1, v0
	v_lshlrev_b32_e32 v0, 3, v0
	s_mov_b32 s28, s18
	s_cselect_b32 s3, -1, 0
	s_cmp_lg_u32 s12, 0x6f
	s_mul_i32 s27, s1, 0xa0
	s_cselect_b32 s25, -1, 0
	s_wait_alu 0xfffe
	s_and_b32 s26, vcc_lo, s3
	s_lshl_b64 s[12:13], s[28:29], 3
	s_addk_co_i32 s27, 0xff60
	s_lshl_b64 s[14:15], s[16:17], 3
	s_lshl_b64 s[10:11], s[10:11], 3
	;; [unrolled: 1-line block ×3, first 2 shown]
	s_branch .LBB87_3
.LBB87_2:                               ;   in Loop: Header=BB87_3 Depth=1
	s_wait_alu 0xfffe
	s_or_b32 exec_lo, exec_lo, s3
	s_add_co_i32 s2, s2, 0x10000
	s_wait_alu 0xfffe
	s_cmp_lt_u32 s2, s22
	s_cbranch_scc0 .LBB87_57
.LBB87_3:                               ; =>This Loop Header: Depth=1
                                        ;     Child Loop BB87_5 Depth 2
                                        ;     Child Loop BB87_11 Depth 2
	;; [unrolled: 1-line block ×3, first 2 shown]
                                        ;       Child Loop BB87_18 Depth 3
                                        ;         Child Loop BB87_19 Depth 4
                                        ;         Child Loop BB87_22 Depth 4
                                        ;           Child Loop BB87_23 Depth 5
                                        ;         Child Loop BB87_27 Depth 4
                                        ;           Child Loop BB87_29 Depth 5
                                        ;     Child Loop BB87_37 Depth 2
                                        ;       Child Loop BB87_40 Depth 3
                                        ;         Child Loop BB87_41 Depth 4
                                        ;         Child Loop BB87_43 Depth 4
                                        ;           Child Loop BB87_44 Depth 5
                                        ;         Child Loop BB87_48 Depth 4
                                        ;           Child Loop BB87_50 Depth 5
                                        ;     Child Loop BB87_56 Depth 2
	s_mov_b32 s3, s19
	s_wait_alu 0xfffe
	s_lshl_b64 s[20:21], s[2:3], 3
	s_wait_alu 0xfffe
	s_add_nc_u64 s[28:29], s[8:9], s[20:21]
	global_load_b64 v[4:5], v9, s[28:29]
	s_and_saveexec_b32 s3, s0
	s_cbranch_execz .LBB87_9
; %bb.4:                                ;   in Loop: Header=BB87_3 Depth=1
	s_add_nc_u64 s[20:21], s[6:7], s[20:21]
	v_mov_b32_e32 v11, v8
	global_load_b64 v[6:7], v9, s[20:21]
	s_mov_b32 s18, s1
	s_wait_loadcnt 0x0
	v_add_co_u32 v6, vcc_lo, v6, s14
	s_wait_alu 0xfffd
	v_add_co_ci_u32_e64 v7, null, s15, v7, vcc_lo
	s_delay_alu instid0(VALU_DEP_2) | instskip(SKIP_1) | instid1(VALU_DEP_2)
	v_add_co_u32 v6, vcc_lo, v6, v0
	s_wait_alu 0xfffd
	v_add_co_ci_u32_e64 v7, null, 0, v7, vcc_lo
.LBB87_5:                               ;   Parent Loop BB87_3 Depth=1
                                        ; =>  This Inner Loop Header: Depth=2
	flat_load_b64 v[12:13], v[6:7]
	v_add_co_u32 v6, vcc_lo, v6, s12
	s_wait_alu 0xfffd
	v_add_co_ci_u32_e64 v7, null, s13, v7, vcc_lo
	s_add_co_i32 s18, s18, -1
	s_delay_alu instid0(SALU_CYCLE_1)
	s_cmp_eq_u32 s18, 0
	s_wait_loadcnt_dscnt 0x0
	ds_store_b64 v11, v[12:13]
	v_add_nc_u32_e32 v11, 0xa0, v11
	s_cbranch_scc0 .LBB87_5
; %bb.6:                                ;   in Loop: Header=BB87_3 Depth=1
	v_mov_b32_e32 v6, 0
	v_mov_b32_e32 v7, 0x3ff00000
	s_and_b32 vcc_lo, exec_lo, s24
	s_wait_alu 0xfffe
	s_cbranch_vccz .LBB87_8
; %bb.7:                                ;   in Loop: Header=BB87_3 Depth=1
	ds_load_b64 v[6:7], v10
	s_wait_dscnt 0x0
	v_div_scale_f64 v[11:12], null, v[6:7], v[6:7], 1.0
	s_delay_alu instid0(VALU_DEP_1) | instskip(NEXT) | instid1(TRANS32_DEP_1)
	v_rcp_f64_e32 v[13:14], v[11:12]
	v_fma_f64 v[15:16], -v[11:12], v[13:14], 1.0
	s_delay_alu instid0(VALU_DEP_1) | instskip(NEXT) | instid1(VALU_DEP_1)
	v_fma_f64 v[13:14], v[13:14], v[15:16], v[13:14]
	v_fma_f64 v[15:16], -v[11:12], v[13:14], 1.0
	s_delay_alu instid0(VALU_DEP_1) | instskip(SKIP_1) | instid1(VALU_DEP_1)
	v_fma_f64 v[13:14], v[13:14], v[15:16], v[13:14]
	v_div_scale_f64 v[15:16], vcc_lo, 1.0, v[6:7], 1.0
	v_mul_f64_e32 v[17:18], v[15:16], v[13:14]
	s_delay_alu instid0(VALU_DEP_1) | instskip(SKIP_1) | instid1(VALU_DEP_1)
	v_fma_f64 v[11:12], -v[11:12], v[17:18], v[15:16]
	s_wait_alu 0xfffd
	v_div_fmas_f64 v[11:12], v[11:12], v[13:14], v[17:18]
	s_delay_alu instid0(VALU_DEP_1)
	v_div_fixup_f64 v[6:7], v[11:12], v[6:7], 1.0
.LBB87_8:                               ;   in Loop: Header=BB87_3 Depth=1
	ds_store_b64 v10, v[6:7]
.LBB87_9:                               ;   in Loop: Header=BB87_3 Depth=1
	s_wait_alu 0xfffe
	s_or_b32 exec_lo, exec_lo, s3
	s_wait_loadcnt 0x0
	v_add_co_u32 v4, vcc_lo, v4, s10
	s_wait_alu 0xfffd
	v_add_co_ci_u32_e64 v5, null, s11, v5, vcc_lo
	s_delay_alu instid0(VALU_DEP_2) | instskip(SKIP_1) | instid1(VALU_DEP_2)
	v_add_co_u32 v7, vcc_lo, v4, s16
	s_wait_alu 0xfffd
	v_add_co_ci_u32_e64 v11, null, s17, v5, vcc_lo
	s_and_saveexec_b32 s3, s26
	s_cbranch_execz .LBB87_12
; %bb.10:                               ;   in Loop: Header=BB87_3 Depth=1
	v_add_co_u32 v4, vcc_lo, v7, v2
	s_wait_alu 0xfffd
	v_add_co_ci_u32_e64 v5, null, v11, v3, vcc_lo
	v_mov_b32_e32 v6, v1
	s_mov_b32 s18, s1
.LBB87_11:                              ;   Parent Loop BB87_3 Depth=1
                                        ; =>  This Inner Loop Header: Depth=2
	flat_load_b64 v[12:13], v[4:5]
	v_add_co_u32 v4, vcc_lo, v4, 8
	s_wait_alu 0xfffd
	v_add_co_ci_u32_e64 v5, null, 0, v5, vcc_lo
	s_add_co_i32 s18, s18, -1
	s_delay_alu instid0(SALU_CYCLE_1)
	s_cmp_lg_u32 s18, 0
	s_wait_loadcnt_dscnt 0x0
	v_mul_f64_e32 v[12:13], s[4:5], v[12:13]
	ds_store_b64 v6, v[12:13]
	v_add_nc_u32_e32 v6, 0xa0, v6
	s_cbranch_scc1 .LBB87_11
.LBB87_12:                              ;   in Loop: Header=BB87_3 Depth=1
	s_wait_alu 0xfffe
	s_or_b32 exec_lo, exec_lo, s3
	s_delay_alu instid0(SALU_CYCLE_1)
	s_and_not1_b32 vcc_lo, exec_lo, s25
	s_mov_b32 s3, -1
	s_wait_dscnt 0x0
	; wave barrier
	global_inv scope:SCOPE_SE
	s_wait_alu 0xfffe
	s_cbranch_vccnz .LBB87_34
; %bb.13:                               ;   in Loop: Header=BB87_3 Depth=1
	s_mov_b32 s18, 0
	s_delay_alu instid0(SALU_CYCLE_1)
	s_mov_b32 s3, s18
	s_branch .LBB87_15
.LBB87_14:                              ;   in Loop: Header=BB87_15 Depth=2
	s_cmp_lt_i32 s3, s1
	s_cselect_b32 s20, -1, 0
	s_add_co_i32 s21, s18, 1
	s_cmp_lt_u32 s18, 2
	s_cselect_b32 s18, -1, 0
	s_wait_alu 0xfffe
	s_and_b32 s18, s20, s18
	s_delay_alu instid0(SALU_CYCLE_1)
	s_and_b32 vcc_lo, exec_lo, s18
	s_mov_b32 s18, s21
	s_wait_alu 0xfffe
	s_cbranch_vccz .LBB87_33
.LBB87_15:                              ;   Parent Loop BB87_3 Depth=1
                                        ; =>  This Loop Header: Depth=2
                                        ;       Child Loop BB87_18 Depth 3
                                        ;         Child Loop BB87_19 Depth 4
                                        ;         Child Loop BB87_22 Depth 4
                                        ;           Child Loop BB87_23 Depth 5
                                        ;         Child Loop BB87_27 Depth 4
                                        ;           Child Loop BB87_29 Depth 5
	s_getpc_b64 s[20:21]
	s_wait_alu 0xfffe
	s_sext_i32_i16 s21, s21
	s_add_co_u32 s20, s20, __const._ZL38rocblas_trsm_small_left_device_sharedBILi20ELi20ELb0EddPKPKdPKPdEv13rocblas_fill_18rocblas_operation_17rocblas_diagonal_iiT3_T4_lilT5_lili.step_sizes@rel32@lo+12
	s_wait_alu 0xfffe
	s_add_co_ci_u32 s21, s21, __const._ZL38rocblas_trsm_small_left_device_sharedBILi20ELi20ELb0EddPKPKdPKPdEv13rocblas_fill_18rocblas_operation_17rocblas_diagonal_iiT3_T4_lilT5_lili.step_sizes@rel32@hi+24
	s_lshl_b64 s[28:29], s[18:19], 2
	s_wait_alu 0xfffe
	s_add_nc_u64 s[20:21], s[20:21], s[28:29]
	s_load_b32 s20, s[20:21], 0x0
	s_wait_kmcnt 0x0
	s_add_co_i32 s21, s20, -1
	s_wait_alu 0xfffe
	s_add_co_i32 s28, s21, s3
	s_wait_alu 0xfffe
	s_cmp_ge_i32 s28, s1
	s_cbranch_scc1 .LBB87_14
; %bb.16:                               ;   in Loop: Header=BB87_15 Depth=2
	s_mul_i32 s28, s3, 0xa0
	s_max_i32 s29, s20, 1
	s_wait_alu 0xfffe
	v_add_nc_u32_e32 v6, s28, v1
	s_mul_i32 s30, s20, 0xa0
	s_mul_i32 s31, s3, 0xa8
	s_mul_i32 s33, s20, 0xa8
	s_branch .LBB87_18
.LBB87_17:                              ;   in Loop: Header=BB87_18 Depth=3
	s_add_co_i32 s3, s3, s20
	v_add_nc_u32_e32 v6, s30, v6
	s_wait_alu 0xfffe
	s_add_co_i32 s34, s21, s3
	s_add_co_i32 s28, s28, s30
	;; [unrolled: 1-line block ×3, first 2 shown]
	s_wait_alu 0xfffe
	s_cmp_ge_i32 s34, s1
	s_cbranch_scc1 .LBB87_14
.LBB87_18:                              ;   Parent Loop BB87_3 Depth=1
                                        ;     Parent Loop BB87_15 Depth=2
                                        ; =>    This Loop Header: Depth=3
                                        ;         Child Loop BB87_19 Depth 4
                                        ;         Child Loop BB87_22 Depth 4
                                        ;           Child Loop BB87_23 Depth 5
                                        ;         Child Loop BB87_27 Depth 4
                                        ;           Child Loop BB87_29 Depth 5
	v_mov_b32_e32 v4, v6
	s_mov_b32 s34, 0
	s_mov_b32 s35, s29
.LBB87_19:                              ;   Parent Loop BB87_3 Depth=1
                                        ;     Parent Loop BB87_15 Depth=2
                                        ;       Parent Loop BB87_18 Depth=3
                                        ; =>      This Inner Loop Header: Depth=4
	ds_load_b64 v[12:13], v4
	v_add_nc_u32_e32 v4, 0xa0, v4
	s_wait_alu 0xfffe
	s_add_co_i32 s35, s35, -1
	s_wait_dscnt 0x0
	scratch_store_b64 off, v[12:13], s34
	s_add_co_i32 s34, s34, 8
	s_wait_alu 0xfffe
	s_cmp_eq_u32 s35, 0
	s_cbranch_scc0 .LBB87_19
; %bb.20:                               ;   in Loop: Header=BB87_18 Depth=3
	s_cmp_lt_i32 s3, 1
	s_cbranch_scc1 .LBB87_25
; %bb.21:                               ;   in Loop: Header=BB87_18 Depth=3
	s_mov_b32 s34, 0
	s_mov_b32 s35, s28
.LBB87_22:                              ;   Parent Loop BB87_3 Depth=1
                                        ;     Parent Loop BB87_15 Depth=2
                                        ;       Parent Loop BB87_18 Depth=3
                                        ; =>      This Loop Header: Depth=4
                                        ;           Child Loop BB87_23 Depth 5
	s_wait_alu 0xfffe
	v_mad_co_u64_u32 v[4:5], null, 0xa0, s34, v[1:2]
	s_mov_b32 s36, 0
	s_mov_b32 s37, s35
	s_mov_b32 s38, s29
	ds_load_b64 v[4:5], v4
.LBB87_23:                              ;   Parent Loop BB87_3 Depth=1
                                        ;     Parent Loop BB87_15 Depth=2
                                        ;       Parent Loop BB87_18 Depth=3
                                        ;         Parent Loop BB87_22 Depth=4
                                        ; =>        This Inner Loop Header: Depth=5
	scratch_load_b64 v[12:13], off, s36
	s_wait_alu 0xfffe
	v_mov_b32_e32 v14, s37
	s_add_co_i32 s38, s38, -1
	s_addk_co_i32 s37, 0xa0
	ds_load_b64 v[14:15], v14
	s_wait_loadcnt_dscnt 0x0
	v_fma_f64 v[12:13], -v[4:5], v[14:15], v[12:13]
	scratch_store_b64 off, v[12:13], s36
	s_add_co_i32 s36, s36, 8
	s_wait_alu 0xfffe
	s_cmp_eq_u32 s38, 0
	s_cbranch_scc0 .LBB87_23
; %bb.24:                               ;   in Loop: Header=BB87_22 Depth=4
	s_add_co_i32 s34, s34, 1
	s_add_co_i32 s35, s35, 8
	s_wait_alu 0xfffe
	s_cmp_eq_u32 s34, s3
	s_cbranch_scc0 .LBB87_22
.LBB87_25:                              ;   in Loop: Header=BB87_18 Depth=3
	s_mul_i32 s34, s3, 0xa0
	s_mov_b32 s35, 0
	s_wait_alu 0xfffe
	s_mov_b32 s36, s31
	s_branch .LBB87_27
.LBB87_26:                              ;   in Loop: Header=BB87_27 Depth=4
	s_wait_alu 0xfffe
	s_mulk_i32 s38, 0xa8
	s_addk_co_i32 s36, 0xa0
	s_wait_alu 0xfffe
	v_mov_b32_e32 v12, s38
	s_lshl_b32 s38, s35, 3
	s_add_co_i32 s35, s35, 1
	s_wait_alu 0xfffe
	s_cmp_eq_u32 s35, s29
	ds_load_b64 v[12:13], v12
	s_wait_loadcnt_dscnt 0x0
	v_mul_f64_e32 v[4:5], v[12:13], v[4:5]
	v_add_nc_u32_e32 v12, s37, v1
	scratch_store_b64 off, v[4:5], s38
	ds_store_b64 v12, v[4:5]
	s_cbranch_scc1 .LBB87_17
.LBB87_27:                              ;   Parent Loop BB87_3 Depth=1
                                        ;     Parent Loop BB87_15 Depth=2
                                        ;       Parent Loop BB87_18 Depth=3
                                        ; =>      This Loop Header: Depth=4
                                        ;           Child Loop BB87_29 Depth 5
	s_cmp_lg_u32 s35, 0
	s_cbranch_scc0 .LBB87_31
; %bb.28:                               ;   in Loop: Header=BB87_27 Depth=4
	s_lshl_b32 s39, s35, 3
	s_add_co_i32 s38, s35, s3
	scratch_load_b64 v[4:5], off, s39
	s_wait_alu 0xfffe
	s_mul_i32 s37, s38, 0xa0
	s_mov_b32 s40, 0
	s_mov_b32 s41, s36
	;; [unrolled: 1-line block ×3, first 2 shown]
.LBB87_29:                              ;   Parent Loop BB87_3 Depth=1
                                        ;     Parent Loop BB87_15 Depth=2
                                        ;       Parent Loop BB87_18 Depth=3
                                        ;         Parent Loop BB87_27 Depth=4
                                        ; =>        This Inner Loop Header: Depth=5
	scratch_load_b64 v[12:13], off, s40
	s_wait_alu 0xfffe
	v_mov_b32_e32 v14, s41
	s_add_co_i32 s42, s42, -1
	s_add_co_i32 s40, s40, 8
	s_add_co_i32 s41, s41, 8
	s_cmp_eq_u32 s42, 0
	ds_load_b64 v[14:15], v14
	s_wait_loadcnt_dscnt 0x0
	v_fma_f64 v[4:5], -v[12:13], v[14:15], v[4:5]
	scratch_store_b64 off, v[4:5], s39
	s_cbranch_scc0 .LBB87_29
; %bb.30:                               ;   in Loop: Header=BB87_27 Depth=4
	s_branch .LBB87_26
.LBB87_31:                              ;   in Loop: Header=BB87_27 Depth=4
                                        ; implicit-def: $vgpr4_vgpr5
                                        ; implicit-def: $sgpr38
                                        ; implicit-def: $sgpr37
	s_cbranch_execz .LBB87_26
; %bb.32:                               ;   in Loop: Header=BB87_27 Depth=4
	scratch_load_b64 v[4:5], off, off
	s_mov_b32 s37, s34
	s_mov_b32 s38, s3
	s_branch .LBB87_26
.LBB87_33:                              ;   in Loop: Header=BB87_3 Depth=1
	s_mov_b32 s3, 0
.LBB87_34:                              ;   in Loop: Header=BB87_3 Depth=1
	s_wait_alu 0xfffe
	s_and_b32 vcc_lo, exec_lo, s3
	s_wait_alu 0xfffe
	s_cbranch_vccz .LBB87_54
; %bb.35:                               ;   in Loop: Header=BB87_3 Depth=1
	s_mov_b32 s18, 0
	s_mov_b32 s3, s23
	s_branch .LBB87_37
.LBB87_36:                              ;   in Loop: Header=BB87_37 Depth=2
	s_cmp_gt_i32 s3, -1
	s_cselect_b32 s20, -1, 0
	s_add_co_i32 s21, s18, 1
	s_cmp_lt_u32 s18, 2
	s_cselect_b32 s18, -1, 0
	s_wait_alu 0xfffe
	s_and_b32 s18, s20, s18
	s_delay_alu instid0(SALU_CYCLE_1)
	s_and_not1_b32 vcc_lo, exec_lo, s18
	s_mov_b32 s18, s21
	s_wait_alu 0xfffe
	s_cbranch_vccnz .LBB87_54
.LBB87_37:                              ;   Parent Loop BB87_3 Depth=1
                                        ; =>  This Loop Header: Depth=2
                                        ;       Child Loop BB87_40 Depth 3
                                        ;         Child Loop BB87_41 Depth 4
                                        ;         Child Loop BB87_43 Depth 4
                                        ;           Child Loop BB87_44 Depth 5
                                        ;         Child Loop BB87_48 Depth 4
                                        ;           Child Loop BB87_50 Depth 5
	s_getpc_b64 s[20:21]
	s_wait_alu 0xfffe
	s_sext_i32_i16 s21, s21
	s_add_co_u32 s20, s20, __const._ZL38rocblas_trsm_small_left_device_sharedBILi20ELi20ELb0EddPKPKdPKPdEv13rocblas_fill_18rocblas_operation_17rocblas_diagonal_iiT3_T4_lilT5_lili.step_sizes@rel32@lo+12
	s_wait_alu 0xfffe
	s_add_co_ci_u32 s21, s21, __const._ZL38rocblas_trsm_small_left_device_sharedBILi20ELi20ELb0EddPKPKdPKPdEv13rocblas_fill_18rocblas_operation_17rocblas_diagonal_iiT3_T4_lilT5_lili.step_sizes@rel32@hi+24
	s_lshl_b64 s[28:29], s[18:19], 2
	s_wait_alu 0xfffe
	s_add_nc_u64 s[20:21], s[20:21], s[28:29]
	s_load_b32 s20, s[20:21], 0x0
	s_wait_kmcnt 0x0
	s_add_co_i32 s21, s20, -1
	s_wait_alu 0xfffe
	s_cmp_lt_i32 s3, s21
	s_cbranch_scc1 .LBB87_36
; %bb.38:                               ;   in Loop: Header=BB87_37 Depth=2
	v_mad_co_u64_u32 v[4:5], null, 0xa0, s3, v[1:2]
	s_lshl_b32 s30, s3, 3
	s_lshl_b32 s31, s20, 3
	s_max_i32 s28, s20, 1
	s_mul_i32 s29, s20, 0xffffff60
	s_wait_alu 0xfffe
	s_add_co_i32 s30, s27, s30
	s_sub_co_i32 s31, 0, s31
	s_mul_i32 s33, s3, 0xa8
	s_mul_i32 s34, s20, 0xffffff58
	s_branch .LBB87_40
.LBB87_39:                              ;   in Loop: Header=BB87_40 Depth=3
	v_add_nc_u32_e32 v4, s29, v4
	s_sub_co_i32 s3, s3, s20
	s_add_co_i32 s30, s30, s31
	s_add_co_i32 s33, s33, s34
	s_wait_alu 0xfffe
	s_cmp_lt_i32 s3, s21
	s_cbranch_scc1 .LBB87_36
.LBB87_40:                              ;   Parent Loop BB87_3 Depth=1
                                        ;     Parent Loop BB87_37 Depth=2
                                        ; =>    This Loop Header: Depth=3
                                        ;         Child Loop BB87_41 Depth 4
                                        ;         Child Loop BB87_43 Depth 4
                                        ;           Child Loop BB87_44 Depth 5
                                        ;         Child Loop BB87_48 Depth 4
                                        ;           Child Loop BB87_50 Depth 5
	v_mov_b32_e32 v5, v4
	s_mov_b32 s35, 0
	s_mov_b32 s36, s28
.LBB87_41:                              ;   Parent Loop BB87_3 Depth=1
                                        ;     Parent Loop BB87_37 Depth=2
                                        ;       Parent Loop BB87_40 Depth=3
                                        ; =>      This Inner Loop Header: Depth=4
	ds_load_b64 v[12:13], v5
	v_add_nc_u32_e32 v5, 0xffffff60, v5
	s_wait_alu 0xfffe
	s_add_co_i32 s36, s36, -1
	s_wait_dscnt 0x0
	scratch_store_b64 off, v[12:13], s35
	s_add_co_i32 s35, s35, 8
	s_wait_alu 0xfffe
	s_cmp_eq_u32 s36, 0
	s_cbranch_scc0 .LBB87_41
; %bb.42:                               ;   in Loop: Header=BB87_40 Depth=3
	s_cmp_le_i32 s23, s3
	s_mov_b32 s35, s30
	s_mov_b32 s36, s23
	s_cbranch_scc1 .LBB87_46
.LBB87_43:                              ;   Parent Loop BB87_3 Depth=1
                                        ;     Parent Loop BB87_37 Depth=2
                                        ;       Parent Loop BB87_40 Depth=3
                                        ; =>      This Loop Header: Depth=4
                                        ;           Child Loop BB87_44 Depth 5
	s_wait_alu 0xfffe
	v_mad_co_u64_u32 v[5:6], null, 0xa0, s36, v[1:2]
	s_mov_b32 s37, 0
	s_mov_b32 s38, s35
	;; [unrolled: 1-line block ×3, first 2 shown]
	ds_load_b64 v[5:6], v5
.LBB87_44:                              ;   Parent Loop BB87_3 Depth=1
                                        ;     Parent Loop BB87_37 Depth=2
                                        ;       Parent Loop BB87_40 Depth=3
                                        ;         Parent Loop BB87_43 Depth=4
                                        ; =>        This Inner Loop Header: Depth=5
	scratch_load_b64 v[12:13], off, s37
	s_wait_alu 0xfffe
	v_mov_b32_e32 v14, s38
	s_add_co_i32 s39, s39, -1
	s_add_co_i32 s38, s38, -8
	ds_load_b64 v[14:15], v14
	s_wait_loadcnt_dscnt 0x0
	v_fma_f64 v[12:13], -v[5:6], v[14:15], v[12:13]
	scratch_store_b64 off, v[12:13], s37
	s_add_co_i32 s37, s37, 8
	s_wait_alu 0xfffe
	s_cmp_eq_u32 s39, 0
	s_cbranch_scc0 .LBB87_44
; %bb.45:                               ;   in Loop: Header=BB87_43 Depth=4
	s_add_co_i32 s36, s36, -1
	s_addk_co_i32 s35, 0xff60
	s_wait_alu 0xfffe
	s_cmp_le_i32 s36, s3
	s_cbranch_scc0 .LBB87_43
.LBB87_46:                              ;   in Loop: Header=BB87_40 Depth=3
	s_mov_b32 s35, 0
	s_mov_b32 s36, s33
	s_branch .LBB87_48
.LBB87_47:                              ;   in Loop: Header=BB87_48 Depth=4
	s_wait_alu 0xfffe
	s_mul_i32 s38, s37, 0xa8
	s_add_co_i32 s36, s36, -8
	s_wait_alu 0xfffe
	v_mov_b32_e32 v12, s38
	ds_load_b64 v[12:13], v12
	s_wait_loadcnt_dscnt 0x0
	v_mul_f64_e32 v[5:6], v[12:13], v[5:6]
	v_mad_co_u64_u32 v[12:13], null, 0xa0, s37, v[1:2]
	s_lshl_b32 s37, s35, 3
	s_add_co_i32 s35, s35, 1
	s_wait_alu 0xfffe
	s_cmp_eq_u32 s35, s28
	scratch_store_b64 off, v[5:6], s37
	ds_store_b64 v12, v[5:6]
	s_cbranch_scc1 .LBB87_39
.LBB87_48:                              ;   Parent Loop BB87_3 Depth=1
                                        ;     Parent Loop BB87_37 Depth=2
                                        ;       Parent Loop BB87_40 Depth=3
                                        ; =>      This Loop Header: Depth=4
                                        ;           Child Loop BB87_50 Depth 5
	s_wait_alu 0xfffe
	s_cmp_lg_u32 s35, 0
	s_cbranch_scc0 .LBB87_52
; %bb.49:                               ;   in Loop: Header=BB87_48 Depth=4
	s_lshl_b32 s38, s35, 3
	s_sub_co_i32 s37, s3, s35
	scratch_load_b64 v[5:6], off, s38
	s_mov_b32 s39, 0
	s_mov_b32 s40, s36
	;; [unrolled: 1-line block ×3, first 2 shown]
.LBB87_50:                              ;   Parent Loop BB87_3 Depth=1
                                        ;     Parent Loop BB87_37 Depth=2
                                        ;       Parent Loop BB87_40 Depth=3
                                        ;         Parent Loop BB87_48 Depth=4
                                        ; =>        This Inner Loop Header: Depth=5
	scratch_load_b64 v[12:13], off, s39
	s_wait_alu 0xfffe
	v_mov_b32_e32 v14, s40
	s_add_co_i32 s41, s41, -1
	s_addk_co_i32 s40, 0xff60
	s_add_co_i32 s39, s39, 8
	s_wait_alu 0xfffe
	s_cmp_eq_u32 s41, 0
	ds_load_b64 v[14:15], v14
	s_wait_loadcnt_dscnt 0x0
	v_fma_f64 v[5:6], -v[12:13], v[14:15], v[5:6]
	scratch_store_b64 off, v[5:6], s38
	s_cbranch_scc0 .LBB87_50
; %bb.51:                               ;   in Loop: Header=BB87_48 Depth=4
	s_branch .LBB87_47
.LBB87_52:                              ;   in Loop: Header=BB87_48 Depth=4
                                        ; implicit-def: $vgpr5_vgpr6
                                        ; implicit-def: $sgpr37
	s_cbranch_execz .LBB87_47
; %bb.53:                               ;   in Loop: Header=BB87_48 Depth=4
	scratch_load_b64 v[5:6], off, off
	s_mov_b32 s37, s3
	s_branch .LBB87_47
.LBB87_54:                              ;   in Loop: Header=BB87_3 Depth=1
	s_wait_storecnt 0x0
	; wave barrier
	s_wait_loadcnt_dscnt 0x0
	global_inv scope:SCOPE_SE
	s_and_saveexec_b32 s3, s26
	s_cbranch_execz .LBB87_2
; %bb.55:                               ;   in Loop: Header=BB87_3 Depth=1
	v_add_co_u32 v4, vcc_lo, v7, v2
	s_wait_alu 0xfffd
	v_add_co_ci_u32_e64 v5, null, v11, v3, vcc_lo
	v_mov_b32_e32 v6, v1
	s_mov_b32 s18, s1
.LBB87_56:                              ;   Parent Loop BB87_3 Depth=1
                                        ; =>  This Inner Loop Header: Depth=2
	ds_load_b64 v[11:12], v6
	v_add_nc_u32_e32 v6, 0xa0, v6
	s_add_co_i32 s18, s18, -1
	s_delay_alu instid0(SALU_CYCLE_1)
	s_cmp_lg_u32 s18, 0
	s_wait_dscnt 0x0
	flat_store_b64 v[4:5], v[11:12]
	v_add_co_u32 v4, vcc_lo, v4, 8
	s_wait_alu 0xfffd
	v_add_co_ci_u32_e64 v5, null, 0, v5, vcc_lo
	s_cbranch_scc1 .LBB87_56
	s_branch .LBB87_2
.LBB87_57:
	s_endpgm
	.section	.rodata,"a",@progbits
	.p2align	6, 0x0
	.amdhsa_kernel _ZL38rocblas_trsm_small_left_device_sharedBILi20ELi20ELb0EddPKPKdPKPdEv13rocblas_fill_18rocblas_operation_17rocblas_diagonal_iiT3_T4_lilT5_lili
		.amdhsa_group_segment_fixed_size 6400
		.amdhsa_private_segment_fixed_size 176
		.amdhsa_kernarg_size 360
		.amdhsa_user_sgpr_count 2
		.amdhsa_user_sgpr_dispatch_ptr 0
		.amdhsa_user_sgpr_queue_ptr 0
		.amdhsa_user_sgpr_kernarg_segment_ptr 1
		.amdhsa_user_sgpr_dispatch_id 0
		.amdhsa_user_sgpr_private_segment_size 0
		.amdhsa_wavefront_size32 1
		.amdhsa_uses_dynamic_stack 0
		.amdhsa_enable_private_segment 1
		.amdhsa_system_sgpr_workgroup_id_x 1
		.amdhsa_system_sgpr_workgroup_id_y 0
		.amdhsa_system_sgpr_workgroup_id_z 1
		.amdhsa_system_sgpr_workgroup_info 0
		.amdhsa_system_vgpr_workitem_id 0
		.amdhsa_next_free_vgpr 241
		.amdhsa_next_free_sgpr 43
		.amdhsa_reserve_vcc 1
		.amdhsa_float_round_mode_32 0
		.amdhsa_float_round_mode_16_64 0
		.amdhsa_float_denorm_mode_32 3
		.amdhsa_float_denorm_mode_16_64 3
		.amdhsa_fp16_overflow 0
		.amdhsa_workgroup_processor_mode 1
		.amdhsa_memory_ordered 1
		.amdhsa_forward_progress 1
		.amdhsa_inst_pref_size 19
		.amdhsa_round_robin_scheduling 0
		.amdhsa_exception_fp_ieee_invalid_op 0
		.amdhsa_exception_fp_denorm_src 0
		.amdhsa_exception_fp_ieee_div_zero 0
		.amdhsa_exception_fp_ieee_overflow 0
		.amdhsa_exception_fp_ieee_underflow 0
		.amdhsa_exception_fp_ieee_inexact 0
		.amdhsa_exception_int_div_zero 0
	.end_amdhsa_kernel
	.section	.text._ZL38rocblas_trsm_small_left_device_sharedBILi20ELi20ELb0EddPKPKdPKPdEv13rocblas_fill_18rocblas_operation_17rocblas_diagonal_iiT3_T4_lilT5_lili,"axG",@progbits,_ZL38rocblas_trsm_small_left_device_sharedBILi20ELi20ELb0EddPKPKdPKPdEv13rocblas_fill_18rocblas_operation_17rocblas_diagonal_iiT3_T4_lilT5_lili,comdat
.Lfunc_end87:
	.size	_ZL38rocblas_trsm_small_left_device_sharedBILi20ELi20ELb0EddPKPKdPKPdEv13rocblas_fill_18rocblas_operation_17rocblas_diagonal_iiT3_T4_lilT5_lili, .Lfunc_end87-_ZL38rocblas_trsm_small_left_device_sharedBILi20ELi20ELb0EddPKPKdPKPdEv13rocblas_fill_18rocblas_operation_17rocblas_diagonal_iiT3_T4_lilT5_lili
                                        ; -- End function
	.set _ZL38rocblas_trsm_small_left_device_sharedBILi20ELi20ELb0EddPKPKdPKPdEv13rocblas_fill_18rocblas_operation_17rocblas_diagonal_iiT3_T4_lilT5_lili.num_vgpr, 19
	.set _ZL38rocblas_trsm_small_left_device_sharedBILi20ELi20ELb0EddPKPKdPKPdEv13rocblas_fill_18rocblas_operation_17rocblas_diagonal_iiT3_T4_lilT5_lili.num_agpr, 0
	.set _ZL38rocblas_trsm_small_left_device_sharedBILi20ELi20ELb0EddPKPKdPKPdEv13rocblas_fill_18rocblas_operation_17rocblas_diagonal_iiT3_T4_lilT5_lili.numbered_sgpr, 43
	.set _ZL38rocblas_trsm_small_left_device_sharedBILi20ELi20ELb0EddPKPKdPKPdEv13rocblas_fill_18rocblas_operation_17rocblas_diagonal_iiT3_T4_lilT5_lili.num_named_barrier, 0
	.set _ZL38rocblas_trsm_small_left_device_sharedBILi20ELi20ELb0EddPKPKdPKPdEv13rocblas_fill_18rocblas_operation_17rocblas_diagonal_iiT3_T4_lilT5_lili.private_seg_size, 176
	.set _ZL38rocblas_trsm_small_left_device_sharedBILi20ELi20ELb0EddPKPKdPKPdEv13rocblas_fill_18rocblas_operation_17rocblas_diagonal_iiT3_T4_lilT5_lili.uses_vcc, 1
	.set _ZL38rocblas_trsm_small_left_device_sharedBILi20ELi20ELb0EddPKPKdPKPdEv13rocblas_fill_18rocblas_operation_17rocblas_diagonal_iiT3_T4_lilT5_lili.uses_flat_scratch, 0
	.set _ZL38rocblas_trsm_small_left_device_sharedBILi20ELi20ELb0EddPKPKdPKPdEv13rocblas_fill_18rocblas_operation_17rocblas_diagonal_iiT3_T4_lilT5_lili.has_dyn_sized_stack, 0
	.set _ZL38rocblas_trsm_small_left_device_sharedBILi20ELi20ELb0EddPKPKdPKPdEv13rocblas_fill_18rocblas_operation_17rocblas_diagonal_iiT3_T4_lilT5_lili.has_recursion, 0
	.set _ZL38rocblas_trsm_small_left_device_sharedBILi20ELi20ELb0EddPKPKdPKPdEv13rocblas_fill_18rocblas_operation_17rocblas_diagonal_iiT3_T4_lilT5_lili.has_indirect_call, 0
	.section	.AMDGPU.csdata,"",@progbits
; Kernel info:
; codeLenInByte = 2388
; TotalNumSgprs: 45
; NumVgprs: 19
; ScratchSize: 176
; MemoryBound: 0
; FloatMode: 240
; IeeeMode: 1
; LDSByteSize: 6400 bytes/workgroup (compile time only)
; SGPRBlocks: 0
; VGPRBlocks: 30
; NumSGPRsForWavesPerEU: 45
; NumVGPRsForWavesPerEU: 241
; Occupancy: 5
; WaveLimiterHint : 0
; COMPUTE_PGM_RSRC2:SCRATCH_EN: 1
; COMPUTE_PGM_RSRC2:USER_SGPR: 2
; COMPUTE_PGM_RSRC2:TRAP_HANDLER: 0
; COMPUTE_PGM_RSRC2:TGID_X_EN: 1
; COMPUTE_PGM_RSRC2:TGID_Y_EN: 0
; COMPUTE_PGM_RSRC2:TGID_Z_EN: 1
; COMPUTE_PGM_RSRC2:TIDIG_COMP_CNT: 0
	.section	.text._ZL30rocblas_trsm_small_left_deviceILi20ELi20ELb0EddPKPKdPKPdEv13rocblas_fill_18rocblas_operation_17rocblas_diagonal_iiT3_T4_lilT5_lili,"axG",@progbits,_ZL30rocblas_trsm_small_left_deviceILi20ELi20ELb0EddPKPKdPKPdEv13rocblas_fill_18rocblas_operation_17rocblas_diagonal_iiT3_T4_lilT5_lili,comdat
	.globl	_ZL30rocblas_trsm_small_left_deviceILi20ELi20ELb0EddPKPKdPKPdEv13rocblas_fill_18rocblas_operation_17rocblas_diagonal_iiT3_T4_lilT5_lili ; -- Begin function _ZL30rocblas_trsm_small_left_deviceILi20ELi20ELb0EddPKPKdPKPdEv13rocblas_fill_18rocblas_operation_17rocblas_diagonal_iiT3_T4_lilT5_lili
	.p2align	8
	.type	_ZL30rocblas_trsm_small_left_deviceILi20ELi20ELb0EddPKPKdPKPdEv13rocblas_fill_18rocblas_operation_17rocblas_diagonal_iiT3_T4_lilT5_lili,@function
_ZL30rocblas_trsm_small_left_deviceILi20ELi20ELb0EddPKPKdPKPdEv13rocblas_fill_18rocblas_operation_17rocblas_diagonal_iiT3_T4_lilT5_lili: ; @_ZL30rocblas_trsm_small_left_deviceILi20ELi20ELb0EddPKPKdPKPdEv13rocblas_fill_18rocblas_operation_17rocblas_diagonal_iiT3_T4_lilT5_lili
; %bb.0:
	s_load_b32 s28, s[0:1], 0x60
	s_lshr_b32 s2, ttmp7, 16
	s_wait_kmcnt 0x0
	s_cmp_ge_u32 s2, s28
	s_cbranch_scc1 .LBB88_54
; %bb.1:
	s_clause 0x5
	s_load_b96 s[16:18], s[0:1], 0x28
	s_load_b128 s[12:15], s[0:1], 0x4
	s_load_b32 s3, s[0:1], 0x68
	s_load_b32 s20, s[0:1], 0x50
	s_load_b128 s[4:7], s[0:1], 0x18
	s_load_b128 s[8:11], s[0:1], 0x40
	v_mad_co_u64_u32 v[1:2], null, ttmp9, 20, v[0:1]
	s_mul_i32 s0, ttmp9, 0xffffffec
	v_dual_mov_b32 v10, 0 :: v_dual_lshlrev_b32 v9, 3, v0
	v_mul_u32_u24_e32 v3, 0xa0, v0
	s_mov_b32 s35, 0
                                        ; implicit-def: $sgpr36
                                        ; implicit-def: $sgpr37
	s_delay_alu instid0(VALU_DEP_1)
	v_add_nc_u32_e32 v13, v9, v3
	s_wait_kmcnt 0x0
	s_ashr_i32 s19, s18, 31
	s_min_i32 s29, s14, 20
	s_add_co_i32 s3, s3, -1
	v_mad_co_i64_i32 v[1:2], null, s20, v1, 0
	s_wait_alu 0xfffe
	s_add_co_i32 s1, s15, s0
	s_add_co_i32 s30, s29, -1
	s_cmp_ge_u32 ttmp9, s3
	v_cmp_gt_i32_e64 s0, s29, v0
	s_wait_alu 0xfffe
	s_cselect_b32 s1, s1, 20
	s_cmp_lg_u32 s13, 0x84
	v_lshlrev_b64_e32 v[1:2], 3, v[1:2]
	s_cselect_b32 s31, -1, 0
	s_cmp_lg_u32 s12, 0x6f
	s_wait_alu 0xfffe
	v_cmp_gt_i32_e64 s1, s1, v0
	s_cselect_b32 s33, -1, 0
	s_lshl_b64 s[10:11], s[10:11], 3
	v_lshlrev_b32_e32 v0, 3, v0
	v_add_co_u32 v11, vcc_lo, v1, s10
	s_delay_alu instid0(VALU_DEP_1)
	v_add_co_ci_u32_e64 v12, null, s11, v2, vcc_lo
	s_mul_i32 s34, s29, 0xa0
	s_lshl_b64 s[12:13], s[18:19], 3
	s_addk_co_i32 s34, 0xff60
	s_mov_b32 s15, 0
	s_lshl_b64 s[16:17], s[16:17], 3
	s_branch .LBB88_4
.LBB88_2:                               ;   in Loop: Header=BB88_4 Depth=1
	s_add_co_i32 s2, s2, 0x10000
	s_delay_alu instid0(SALU_CYCLE_1)
	s_cmp_ge_u32 s2, s28
	s_cselect_b32 s14, -1, 0
	s_and_not1_b32 s37, s37, exec_lo
	s_or_not1_b32 s14, s14, exec_lo
.LBB88_3:                               ;   in Loop: Header=BB88_4 Depth=1
	s_or_b32 exec_lo, exec_lo, s3
	s_delay_alu instid0(SALU_CYCLE_1) | instskip(NEXT) | instid1(SALU_CYCLE_1)
	s_and_b32 s3, exec_lo, s14
	s_or_b32 s35, s3, s35
	s_and_not1_b32 s3, s36, exec_lo
	s_and_b32 s14, s37, exec_lo
	s_delay_alu instid0(SALU_CYCLE_1)
	s_or_b32 s36, s3, s14
	s_and_not1_b32 exec_lo, exec_lo, s35
	s_cbranch_execz .LBB88_53
.LBB88_4:                               ; =>This Loop Header: Depth=1
                                        ;     Child Loop BB88_6 Depth 2
                                        ;     Child Loop BB88_14 Depth 2
                                        ;       Child Loop BB88_17 Depth 3
                                        ;         Child Loop BB88_18 Depth 4
                                        ;         Child Loop BB88_21 Depth 4
                                        ;           Child Loop BB88_22 Depth 5
                                        ;         Child Loop BB88_26 Depth 4
                                        ;           Child Loop BB88_28 Depth 5
                                        ;     Child Loop BB88_36 Depth 2
                                        ;       Child Loop BB88_39 Depth 3
                                        ;         Child Loop BB88_40 Depth 4
                                        ;         Child Loop BB88_42 Depth 4
                                        ;           Child Loop BB88_43 Depth 5
                                        ;         Child Loop BB88_47 Depth 4
                                        ;           Child Loop BB88_49 Depth 5
	s_mov_b32 s3, s15
	s_delay_alu instid0(SALU_CYCLE_1) | instskip(NEXT) | instid1(SALU_CYCLE_1)
	s_lshl_b64 s[18:19], s[2:3], 3
	s_add_nc_u64 s[20:21], s[8:9], s[18:19]
	global_load_b64 v[3:4], v10, s[20:21]
	s_and_saveexec_b32 s3, s0
	s_cbranch_execz .LBB88_10
; %bb.5:                                ;   in Loop: Header=BB88_4 Depth=1
	s_add_nc_u64 s[18:19], s[6:7], s[18:19]
	v_mov_b32_e32 v7, v9
	global_load_b64 v[5:6], v10, s[18:19]
	s_mov_b32 s14, s29
	s_wait_loadcnt 0x0
	v_add_co_u32 v5, vcc_lo, v5, s16
	s_wait_alu 0xfffd
	v_add_co_ci_u32_e64 v6, null, s17, v6, vcc_lo
	s_delay_alu instid0(VALU_DEP_2) | instskip(SKIP_1) | instid1(VALU_DEP_2)
	v_add_co_u32 v5, vcc_lo, v5, v0
	s_wait_alu 0xfffd
	v_add_co_ci_u32_e64 v6, null, 0, v6, vcc_lo
.LBB88_6:                               ;   Parent Loop BB88_4 Depth=1
                                        ; =>  This Inner Loop Header: Depth=2
	flat_load_b64 v[14:15], v[5:6]
	v_add_co_u32 v5, vcc_lo, v5, s12
	s_wait_alu 0xfffd
	v_add_co_ci_u32_e64 v6, null, s13, v6, vcc_lo
	s_add_co_i32 s14, s14, -1
	s_delay_alu instid0(SALU_CYCLE_1)
	s_cmp_eq_u32 s14, 0
	s_wait_loadcnt_dscnt 0x0
	ds_store_b64 v7, v[14:15]
	v_add_nc_u32_e32 v7, 0xa0, v7
	s_cbranch_scc0 .LBB88_6
; %bb.7:                                ;   in Loop: Header=BB88_4 Depth=1
	v_mov_b32_e32 v5, 0
	v_mov_b32_e32 v6, 0x3ff00000
	s_and_b32 vcc_lo, exec_lo, s31
	s_wait_alu 0xfffe
	s_cbranch_vccz .LBB88_9
; %bb.8:                                ;   in Loop: Header=BB88_4 Depth=1
	ds_load_b64 v[5:6], v13
	s_wait_dscnt 0x0
	v_div_scale_f64 v[7:8], null, v[5:6], v[5:6], 1.0
	s_delay_alu instid0(VALU_DEP_1) | instskip(NEXT) | instid1(TRANS32_DEP_1)
	v_rcp_f64_e32 v[14:15], v[7:8]
	v_fma_f64 v[16:17], -v[7:8], v[14:15], 1.0
	s_delay_alu instid0(VALU_DEP_1) | instskip(NEXT) | instid1(VALU_DEP_1)
	v_fma_f64 v[14:15], v[14:15], v[16:17], v[14:15]
	v_fma_f64 v[16:17], -v[7:8], v[14:15], 1.0
	s_delay_alu instid0(VALU_DEP_1) | instskip(SKIP_1) | instid1(VALU_DEP_1)
	v_fma_f64 v[14:15], v[14:15], v[16:17], v[14:15]
	v_div_scale_f64 v[16:17], vcc_lo, 1.0, v[5:6], 1.0
	v_mul_f64_e32 v[18:19], v[16:17], v[14:15]
	s_delay_alu instid0(VALU_DEP_1) | instskip(SKIP_1) | instid1(VALU_DEP_1)
	v_fma_f64 v[7:8], -v[7:8], v[18:19], v[16:17]
	s_wait_alu 0xfffd
	v_div_fmas_f64 v[7:8], v[7:8], v[14:15], v[18:19]
	s_delay_alu instid0(VALU_DEP_1)
	v_div_fixup_f64 v[5:6], v[7:8], v[5:6], 1.0
.LBB88_9:                               ;   in Loop: Header=BB88_4 Depth=1
	ds_store_b64 v13, v[5:6]
.LBB88_10:                              ;   in Loop: Header=BB88_4 Depth=1
	s_or_b32 exec_lo, exec_lo, s3
	s_mov_b32 s14, -1
	s_or_b32 s37, s37, exec_lo
	; wave barrier
	s_wait_loadcnt_dscnt 0x0
	global_inv scope:SCOPE_SE
	s_and_saveexec_b32 s3, s1
	s_cbranch_execz .LBB88_3
; %bb.11:                               ;   in Loop: Header=BB88_4 Depth=1
	v_add_co_u32 v5, vcc_lo, v3, s10
	s_wait_alu 0xfffd
	v_add_co_ci_u32_e64 v6, null, s11, v4, vcc_lo
	s_delay_alu instid0(VALU_DEP_2) | instskip(SKIP_1) | instid1(VALU_DEP_2)
	v_add_co_u32 v14, vcc_lo, v5, v1
	s_wait_alu 0xfffd
	v_add_co_ci_u32_e64 v15, null, v6, v2, vcc_lo
	s_and_not1_b32 vcc_lo, exec_lo, s33
	s_wait_alu 0xfffe
	s_cbranch_vccnz .LBB88_33
; %bb.12:                               ;   in Loop: Header=BB88_4 Depth=1
	v_add_co_u32 v16, vcc_lo, v3, v11
	s_wait_alu 0xfffd
	v_add_co_ci_u32_e64 v17, null, v4, v12, vcc_lo
	s_mov_b32 s20, 0
	s_mov_b32 s18, 0
	s_branch .LBB88_14
.LBB88_13:                              ;   in Loop: Header=BB88_14 Depth=2
	s_cmp_lt_i32 s18, s29
	s_cselect_b32 s14, -1, 0
	s_add_co_i32 s19, s20, 1
	s_cmp_lt_u32 s20, 2
	s_cselect_b32 s20, -1, 0
	s_wait_alu 0xfffe
	s_and_b32 s14, s14, s20
	s_mov_b32 s20, s19
	s_and_b32 vcc_lo, exec_lo, s14
	s_wait_alu 0xfffe
	s_cbranch_vccz .LBB88_32
.LBB88_14:                              ;   Parent Loop BB88_4 Depth=1
                                        ; =>  This Loop Header: Depth=2
                                        ;       Child Loop BB88_17 Depth 3
                                        ;         Child Loop BB88_18 Depth 4
                                        ;         Child Loop BB88_21 Depth 4
                                        ;           Child Loop BB88_22 Depth 5
                                        ;         Child Loop BB88_26 Depth 4
                                        ;           Child Loop BB88_28 Depth 5
	s_mov_b32 s21, s15
	s_getpc_b64 s[22:23]
	s_wait_alu 0xfffe
	s_sext_i32_i16 s23, s23
	s_add_co_u32 s22, s22, __const._ZL30rocblas_trsm_small_left_deviceILi20ELi20ELb0EddPKPKdPKPdEv13rocblas_fill_18rocblas_operation_17rocblas_diagonal_iiT3_T4_lilT5_lili.step_sizes@rel32@lo+12
	s_wait_alu 0xfffe
	s_add_co_ci_u32 s23, s23, __const._ZL30rocblas_trsm_small_left_deviceILi20ELi20ELb0EddPKPKdPKPdEv13rocblas_fill_18rocblas_operation_17rocblas_diagonal_iiT3_T4_lilT5_lili.step_sizes@rel32@hi+24
	s_lshl_b64 s[24:25], s[20:21], 2
	s_wait_alu 0xfffe
	s_add_nc_u64 s[22:23], s[22:23], s[24:25]
	s_load_b32 s22, s[22:23], 0x0
	s_wait_kmcnt 0x0
	s_add_co_i32 s21, s22, -1
	s_wait_alu 0xfffe
	s_add_co_i32 s14, s21, s18
	s_delay_alu instid0(SALU_CYCLE_1)
	s_cmp_ge_i32 s14, s29
	s_cbranch_scc1 .LBB88_13
; %bb.15:                               ;   in Loop: Header=BB88_14 Depth=2
	s_ashr_i32 s19, s18, 31
	s_ashr_i32 s23, s22, 31
	s_lshl_b64 s[24:25], s[18:19], 3
	s_max_i32 s38, s22, 1
	s_wait_alu 0xfffe
	v_add_co_u32 v5, vcc_lo, v16, s24
	s_wait_alu 0xfffd
	v_add_co_ci_u32_e64 v6, null, s25, v17, vcc_lo
	s_lshl_b64 s[24:25], s[22:23], 3
	s_mul_i32 s19, s18, 0xa0
	s_mul_i32 s23, s22, 0xa0
	;; [unrolled: 1-line block ×4, first 2 shown]
	s_branch .LBB88_17
.LBB88_16:                              ;   in Loop: Header=BB88_17 Depth=3
	v_add_co_u32 v5, vcc_lo, v5, s24
	s_add_co_i32 s18, s18, s22
	s_wait_alu 0xfffd
	v_add_co_ci_u32_e64 v6, null, s25, v6, vcc_lo
	s_add_co_i32 s14, s21, s18
	s_add_co_i32 s19, s19, s23
	;; [unrolled: 1-line block ×3, first 2 shown]
	s_cmp_ge_i32 s14, s29
	s_cbranch_scc1 .LBB88_13
.LBB88_17:                              ;   Parent Loop BB88_4 Depth=1
                                        ;     Parent Loop BB88_14 Depth=2
                                        ; =>    This Loop Header: Depth=3
                                        ;         Child Loop BB88_18 Depth 4
                                        ;         Child Loop BB88_21 Depth 4
                                        ;           Child Loop BB88_22 Depth 5
                                        ;         Child Loop BB88_26 Depth 4
                                        ;           Child Loop BB88_28 Depth 5
	v_dual_mov_b32 v8, v6 :: v_dual_mov_b32 v7, v5
	s_mov_b32 s14, 0
	s_mov_b32 s26, s38
.LBB88_18:                              ;   Parent Loop BB88_4 Depth=1
                                        ;     Parent Loop BB88_14 Depth=2
                                        ;       Parent Loop BB88_17 Depth=3
                                        ; =>      This Inner Loop Header: Depth=4
	flat_load_b64 v[18:19], v[7:8]
	v_add_co_u32 v7, vcc_lo, v7, 8
	s_wait_alu 0xfffd
	v_add_co_ci_u32_e64 v8, null, 0, v8, vcc_lo
	s_wait_alu 0xfffe
	s_add_co_i32 s26, s26, -1
	s_wait_loadcnt_dscnt 0x0
	v_mul_f64_e32 v[18:19], s[4:5], v[18:19]
	scratch_store_b64 off, v[18:19], s14
	s_add_co_i32 s14, s14, 8
	s_wait_alu 0xfffe
	s_cmp_eq_u32 s26, 0
	s_cbranch_scc0 .LBB88_18
; %bb.19:                               ;   in Loop: Header=BB88_17 Depth=3
	s_cmp_lt_i32 s18, 1
	s_cbranch_scc1 .LBB88_24
; %bb.20:                               ;   in Loop: Header=BB88_17 Depth=3
	s_mov_b32 s14, 0
	s_mov_b32 s26, s19
.LBB88_21:                              ;   Parent Loop BB88_4 Depth=1
                                        ;     Parent Loop BB88_14 Depth=2
                                        ;       Parent Loop BB88_17 Depth=3
                                        ; =>      This Loop Header: Depth=4
                                        ;           Child Loop BB88_22 Depth 5
	s_lshl_b64 s[42:43], s[14:15], 3
	s_mov_b32 s27, 0
	s_wait_alu 0xfffe
	v_add_co_u32 v7, vcc_lo, v14, s42
	s_wait_alu 0xfffd
	v_add_co_ci_u32_e64 v8, null, s43, v15, vcc_lo
	s_mov_b32 s41, s26
	s_mov_b32 s42, s38
	flat_load_b64 v[7:8], v[7:8]
.LBB88_22:                              ;   Parent Loop BB88_4 Depth=1
                                        ;     Parent Loop BB88_14 Depth=2
                                        ;       Parent Loop BB88_17 Depth=3
                                        ;         Parent Loop BB88_21 Depth=4
                                        ; =>        This Inner Loop Header: Depth=5
	scratch_load_b64 v[18:19], off, s27
	s_wait_alu 0xfffe
	v_mov_b32_e32 v20, s41
	s_add_co_i32 s42, s42, -1
	s_addk_co_i32 s41, 0xa0
	ds_load_b64 v[20:21], v20
	s_wait_loadcnt_dscnt 0x0
	v_fma_f64 v[18:19], -v[7:8], v[20:21], v[18:19]
	scratch_store_b64 off, v[18:19], s27
	s_add_co_i32 s27, s27, 8
	s_wait_alu 0xfffe
	s_cmp_eq_u32 s42, 0
	s_cbranch_scc0 .LBB88_22
; %bb.23:                               ;   in Loop: Header=BB88_21 Depth=4
	s_add_co_i32 s14, s14, 1
	s_add_co_i32 s26, s26, 8
	s_cmp_eq_u32 s14, s18
	s_cbranch_scc0 .LBB88_21
.LBB88_24:                              ;   in Loop: Header=BB88_17 Depth=3
	s_mov_b32 s14, 0
	s_mov_b32 s41, s39
	s_branch .LBB88_26
.LBB88_25:                              ;   in Loop: Header=BB88_26 Depth=4
	s_wait_alu 0xfffe
	s_mul_i32 s27, s26, 0xa8
	s_lshl_b32 s42, s14, 3
	s_wait_alu 0xfffe
	v_mov_b32_e32 v18, s27
	s_ashr_i32 s27, s26, 31
	s_add_co_i32 s14, s14, 1
	s_wait_alu 0xfffe
	s_lshl_b64 s[26:27], s[26:27], 3
	s_addk_co_i32 s41, 0xa0
	ds_load_b64 v[18:19], v18
	s_cmp_eq_u32 s14, s38
	s_wait_loadcnt_dscnt 0x0
	v_mul_f64_e32 v[7:8], v[18:19], v[7:8]
	s_wait_alu 0xfffe
	v_add_co_u32 v18, vcc_lo, v14, s26
	s_wait_alu 0xfffd
	v_add_co_ci_u32_e64 v19, null, s27, v15, vcc_lo
	scratch_store_b64 off, v[7:8], s42
	flat_store_b64 v[18:19], v[7:8]
	s_cbranch_scc1 .LBB88_16
.LBB88_26:                              ;   Parent Loop BB88_4 Depth=1
                                        ;     Parent Loop BB88_14 Depth=2
                                        ;       Parent Loop BB88_17 Depth=3
                                        ; =>      This Loop Header: Depth=4
                                        ;           Child Loop BB88_28 Depth 5
	s_cmp_lg_u32 s14, 0
	s_cbranch_scc0 .LBB88_30
; %bb.27:                               ;   in Loop: Header=BB88_26 Depth=4
	s_lshl_b32 s27, s14, 3
	s_add_co_i32 s26, s14, s18
	scratch_load_b64 v[7:8], off, s27
	s_mov_b32 s42, 0
	s_wait_alu 0xfffe
	s_mov_b32 s43, s41
	s_mov_b32 s44, s14
.LBB88_28:                              ;   Parent Loop BB88_4 Depth=1
                                        ;     Parent Loop BB88_14 Depth=2
                                        ;       Parent Loop BB88_17 Depth=3
                                        ;         Parent Loop BB88_26 Depth=4
                                        ; =>        This Inner Loop Header: Depth=5
	scratch_load_b64 v[18:19], off, s42
	s_wait_alu 0xfffe
	v_mov_b32_e32 v20, s43
	s_add_co_i32 s44, s44, -1
	s_add_co_i32 s42, s42, 8
	s_add_co_i32 s43, s43, 8
	s_cmp_eq_u32 s44, 0
	ds_load_b64 v[20:21], v20
	s_wait_loadcnt_dscnt 0x0
	v_fma_f64 v[7:8], -v[18:19], v[20:21], v[7:8]
	scratch_store_b64 off, v[7:8], s27
	s_cbranch_scc0 .LBB88_28
; %bb.29:                               ;   in Loop: Header=BB88_26 Depth=4
	s_branch .LBB88_25
.LBB88_30:                              ;   in Loop: Header=BB88_26 Depth=4
                                        ; implicit-def: $vgpr7_vgpr8
                                        ; implicit-def: $sgpr26
	s_cbranch_execz .LBB88_25
; %bb.31:                               ;   in Loop: Header=BB88_26 Depth=4
	scratch_load_b64 v[7:8], off, off
	s_mov_b32 s26, s18
	s_branch .LBB88_25
.LBB88_32:                              ;   in Loop: Header=BB88_4 Depth=1
	s_mov_b32 s14, 0
.LBB88_33:                              ;   in Loop: Header=BB88_4 Depth=1
	s_delay_alu instid0(SALU_CYCLE_1)
	s_and_b32 vcc_lo, exec_lo, s14
	s_wait_alu 0xfffe
	s_cbranch_vccz .LBB88_2
; %bb.34:                               ;   in Loop: Header=BB88_4 Depth=1
	v_add_co_u32 v5, vcc_lo, v3, v11
	s_wait_alu 0xfffd
	v_add_co_ci_u32_e64 v6, null, v4, v12, vcc_lo
	s_mov_b32 s14, 0
	s_mov_b32 s18, s30
	s_branch .LBB88_36
.LBB88_35:                              ;   in Loop: Header=BB88_36 Depth=2
	s_cmp_gt_i32 s18, -1
	s_cselect_b32 s19, -1, 0
	s_add_co_i32 s20, s14, 1
	s_cmp_lt_u32 s14, 2
	s_cselect_b32 s14, -1, 0
	s_delay_alu instid0(SALU_CYCLE_1) | instskip(NEXT) | instid1(SALU_CYCLE_1)
	s_and_b32 s14, s19, s14
	s_and_not1_b32 vcc_lo, exec_lo, s14
	s_wait_alu 0xfffe
	s_mov_b32 s14, s20
	s_cbranch_vccnz .LBB88_2
.LBB88_36:                              ;   Parent Loop BB88_4 Depth=1
                                        ; =>  This Loop Header: Depth=2
                                        ;       Child Loop BB88_39 Depth 3
                                        ;         Child Loop BB88_40 Depth 4
                                        ;         Child Loop BB88_42 Depth 4
                                        ;           Child Loop BB88_43 Depth 5
                                        ;         Child Loop BB88_47 Depth 4
                                        ;           Child Loop BB88_49 Depth 5
	s_getpc_b64 s[20:21]
	s_wait_alu 0xfffe
	s_sext_i32_i16 s21, s21
	s_add_co_u32 s20, s20, __const._ZL30rocblas_trsm_small_left_deviceILi20ELi20ELb0EddPKPKdPKPdEv13rocblas_fill_18rocblas_operation_17rocblas_diagonal_iiT3_T4_lilT5_lili.step_sizes@rel32@lo+12
	s_wait_alu 0xfffe
	s_add_co_ci_u32 s21, s21, __const._ZL30rocblas_trsm_small_left_deviceILi20ELi20ELb0EddPKPKdPKPdEv13rocblas_fill_18rocblas_operation_17rocblas_diagonal_iiT3_T4_lilT5_lili.step_sizes@rel32@hi+24
	s_lshl_b64 s[22:23], s[14:15], 2
	s_wait_alu 0xfffe
	s_add_nc_u64 s[20:21], s[20:21], s[22:23]
	s_load_b32 s24, s[20:21], 0x0
	s_wait_kmcnt 0x0
	s_add_co_i32 s25, s24, -1
	s_wait_alu 0xfffe
	s_cmp_lt_i32 s18, s25
	s_cbranch_scc1 .LBB88_35
; %bb.37:                               ;   in Loop: Header=BB88_36 Depth=2
	s_lshl_b32 s19, s18, 3
	s_lshl_b32 s20, s24, 3
	s_max_i32 s26, s24, 1
	s_add_co_i32 s27, s34, s19
	s_wait_alu 0xfffe
	s_sub_co_i32 s38, 0, s20
	s_mul_i32 s39, s18, 0xa8
	s_mul_i32 s40, s24, 0xffffff58
	s_branch .LBB88_39
.LBB88_38:                              ;   in Loop: Header=BB88_39 Depth=3
	s_sub_co_i32 s18, s18, s24
	s_add_co_i32 s27, s27, s38
	s_add_co_i32 s39, s39, s40
	s_cmp_lt_i32 s18, s25
	s_cbranch_scc1 .LBB88_35
.LBB88_39:                              ;   Parent Loop BB88_4 Depth=1
                                        ;     Parent Loop BB88_36 Depth=2
                                        ; =>    This Loop Header: Depth=3
                                        ;         Child Loop BB88_40 Depth 4
                                        ;         Child Loop BB88_42 Depth 4
                                        ;           Child Loop BB88_43 Depth 5
                                        ;         Child Loop BB88_47 Depth 4
                                        ;           Child Loop BB88_49 Depth 5
	s_ashr_i32 s19, s18, 31
	s_delay_alu instid0(SALU_CYCLE_1)
	s_lshl_b64 s[20:21], s[18:19], 3
	s_wait_alu 0xfffe
	v_add_co_u32 v3, vcc_lo, v5, s20
	s_wait_alu 0xfffd
	v_add_co_ci_u32_e64 v4, null, s21, v6, vcc_lo
	s_mov_b32 s20, 0
	s_mov_b32 s21, s26
.LBB88_40:                              ;   Parent Loop BB88_4 Depth=1
                                        ;     Parent Loop BB88_36 Depth=2
                                        ;       Parent Loop BB88_39 Depth=3
                                        ; =>      This Inner Loop Header: Depth=4
	flat_load_b64 v[7:8], v[3:4]
	v_add_co_u32 v3, vcc_lo, v3, -8
	s_wait_alu 0xfffd
	v_add_co_ci_u32_e64 v4, null, -1, v4, vcc_lo
	s_wait_alu 0xfffe
	s_add_co_i32 s21, s21, -1
	s_wait_loadcnt_dscnt 0x0
	v_mul_f64_e32 v[7:8], s[4:5], v[7:8]
	scratch_store_b64 off, v[7:8], s20
	s_add_co_i32 s20, s20, 8
	s_wait_alu 0xfffe
	s_cmp_eq_u32 s21, 0
	s_cbranch_scc0 .LBB88_40
; %bb.41:                               ;   in Loop: Header=BB88_39 Depth=3
	s_cmp_le_i32 s30, s18
	s_mov_b32 s22, s27
	s_mov_b32 s20, s30
	s_cbranch_scc1 .LBB88_45
.LBB88_42:                              ;   Parent Loop BB88_4 Depth=1
                                        ;     Parent Loop BB88_36 Depth=2
                                        ;       Parent Loop BB88_39 Depth=3
                                        ; =>      This Loop Header: Depth=4
                                        ;           Child Loop BB88_43 Depth 5
	s_wait_alu 0xfffe
	s_ashr_i32 s21, s20, 31
	s_mov_b32 s23, s22
	s_wait_alu 0xfffe
	s_lshl_b64 s[42:43], s[20:21], 3
	s_mov_b32 s21, 0
	s_wait_alu 0xfffe
	v_add_co_u32 v3, vcc_lo, v14, s42
	s_wait_alu 0xfffd
	v_add_co_ci_u32_e64 v4, null, s43, v15, vcc_lo
	s_mov_b32 s41, s26
	flat_load_b64 v[3:4], v[3:4]
.LBB88_43:                              ;   Parent Loop BB88_4 Depth=1
                                        ;     Parent Loop BB88_36 Depth=2
                                        ;       Parent Loop BB88_39 Depth=3
                                        ;         Parent Loop BB88_42 Depth=4
                                        ; =>        This Inner Loop Header: Depth=5
	scratch_load_b64 v[7:8], off, s21
	v_mov_b32_e32 v16, s23
	s_wait_alu 0xfffe
	s_add_co_i32 s41, s41, -1
	s_add_co_i32 s23, s23, -8
	ds_load_b64 v[16:17], v16
	s_wait_loadcnt_dscnt 0x0
	v_fma_f64 v[7:8], -v[3:4], v[16:17], v[7:8]
	scratch_store_b64 off, v[7:8], s21
	s_add_co_i32 s21, s21, 8
	s_wait_alu 0xfffe
	s_cmp_eq_u32 s41, 0
	s_cbranch_scc0 .LBB88_43
; %bb.44:                               ;   in Loop: Header=BB88_42 Depth=4
	s_add_co_i32 s20, s20, -1
	s_addk_co_i32 s22, 0xff60
	s_wait_alu 0xfffe
	s_cmp_le_i32 s20, s18
	s_cbranch_scc0 .LBB88_42
.LBB88_45:                              ;   in Loop: Header=BB88_39 Depth=3
	s_mov_b32 s41, 0
	s_mov_b32 s42, s39
	s_branch .LBB88_47
.LBB88_46:                              ;   in Loop: Header=BB88_47 Depth=4
	s_wait_alu 0xfffe
	s_mulk_i32 s22, 0xa8
	s_lshl_b64 s[20:21], s[20:21], 3
	s_wait_alu 0xfffe
	v_mov_b32_e32 v7, s22
	s_lshl_b32 s22, s41, 3
	s_add_co_i32 s41, s41, 1
	s_add_co_i32 s42, s42, -8
	s_wait_alu 0xfffe
	s_cmp_eq_u32 s41, s26
	ds_load_b64 v[7:8], v7
	s_wait_loadcnt_dscnt 0x0
	v_mul_f64_e32 v[3:4], v[7:8], v[3:4]
	v_add_co_u32 v7, vcc_lo, v14, s20
	s_wait_alu 0xfffd
	v_add_co_ci_u32_e64 v8, null, s21, v15, vcc_lo
	scratch_store_b64 off, v[3:4], s22
	flat_store_b64 v[7:8], v[3:4]
	s_cbranch_scc1 .LBB88_38
.LBB88_47:                              ;   Parent Loop BB88_4 Depth=1
                                        ;     Parent Loop BB88_36 Depth=2
                                        ;       Parent Loop BB88_39 Depth=3
                                        ; =>      This Loop Header: Depth=4
                                        ;           Child Loop BB88_49 Depth 5
	s_wait_alu 0xfffe
	s_cmp_lg_u32 s41, 0
	s_cbranch_scc0 .LBB88_51
; %bb.48:                               ;   in Loop: Header=BB88_47 Depth=4
	s_lshl_b32 s20, s41, 3
	s_mov_b32 s21, 0
	scratch_load_b64 v[3:4], off, s20
	s_mov_b32 s22, s42
	s_mov_b32 s23, s41
.LBB88_49:                              ;   Parent Loop BB88_4 Depth=1
                                        ;     Parent Loop BB88_36 Depth=2
                                        ;       Parent Loop BB88_39 Depth=3
                                        ;         Parent Loop BB88_47 Depth=4
                                        ; =>        This Inner Loop Header: Depth=5
	scratch_load_b64 v[7:8], off, s21
	s_wait_alu 0xfffe
	v_mov_b32_e32 v16, s22
	s_add_co_i32 s23, s23, -1
	s_addk_co_i32 s22, 0xff60
	s_add_co_i32 s21, s21, 8
	s_wait_alu 0xfffe
	s_cmp_eq_u32 s23, 0
	ds_load_b64 v[16:17], v16
	s_wait_loadcnt_dscnt 0x0
	v_fma_f64 v[3:4], -v[7:8], v[16:17], v[3:4]
	scratch_store_b64 off, v[3:4], s20
	s_cbranch_scc0 .LBB88_49
; %bb.50:                               ;   in Loop: Header=BB88_47 Depth=4
	s_sub_co_i32 s22, s18, s41
	s_wait_alu 0xfffe
	s_ashr_i32 s23, s22, 31
	s_wait_alu 0xfffe
	s_mov_b64 s[20:21], s[22:23]
	s_branch .LBB88_46
.LBB88_51:                              ;   in Loop: Header=BB88_47 Depth=4
                                        ; implicit-def: $vgpr3_vgpr4
                                        ; implicit-def: $sgpr22
                                        ; implicit-def: $sgpr20_sgpr21
	s_cbranch_execz .LBB88_46
; %bb.52:                               ;   in Loop: Header=BB88_47 Depth=4
	scratch_load_b64 v[3:4], off, off
	s_mov_b64 s[20:21], s[18:19]
	s_mov_b32 s22, s18
	s_branch .LBB88_46
.LBB88_53:
	s_or_b32 exec_lo, exec_lo, s35
	s_and_saveexec_b32 s0, s36
	s_wait_alu 0xfffe
	s_xor_b32 s0, exec_lo, s0
.LBB88_54:
	s_endpgm
	.section	.rodata,"a",@progbits
	.p2align	6, 0x0
	.amdhsa_kernel _ZL30rocblas_trsm_small_left_deviceILi20ELi20ELb0EddPKPKdPKPdEv13rocblas_fill_18rocblas_operation_17rocblas_diagonal_iiT3_T4_lilT5_lili
		.amdhsa_group_segment_fixed_size 3200
		.amdhsa_private_segment_fixed_size 176
		.amdhsa_kernarg_size 360
		.amdhsa_user_sgpr_count 2
		.amdhsa_user_sgpr_dispatch_ptr 0
		.amdhsa_user_sgpr_queue_ptr 0
		.amdhsa_user_sgpr_kernarg_segment_ptr 1
		.amdhsa_user_sgpr_dispatch_id 0
		.amdhsa_user_sgpr_private_segment_size 0
		.amdhsa_wavefront_size32 1
		.amdhsa_uses_dynamic_stack 0
		.amdhsa_enable_private_segment 1
		.amdhsa_system_sgpr_workgroup_id_x 1
		.amdhsa_system_sgpr_workgroup_id_y 0
		.amdhsa_system_sgpr_workgroup_id_z 1
		.amdhsa_system_sgpr_workgroup_info 0
		.amdhsa_system_vgpr_workitem_id 0
		.amdhsa_next_free_vgpr 121
		.amdhsa_next_free_sgpr 45
		.amdhsa_reserve_vcc 1
		.amdhsa_float_round_mode_32 0
		.amdhsa_float_round_mode_16_64 0
		.amdhsa_float_denorm_mode_32 3
		.amdhsa_float_denorm_mode_16_64 3
		.amdhsa_fp16_overflow 0
		.amdhsa_workgroup_processor_mode 1
		.amdhsa_memory_ordered 1
		.amdhsa_forward_progress 1
		.amdhsa_inst_pref_size 19
		.amdhsa_round_robin_scheduling 0
		.amdhsa_exception_fp_ieee_invalid_op 0
		.amdhsa_exception_fp_denorm_src 0
		.amdhsa_exception_fp_ieee_div_zero 0
		.amdhsa_exception_fp_ieee_overflow 0
		.amdhsa_exception_fp_ieee_underflow 0
		.amdhsa_exception_fp_ieee_inexact 0
		.amdhsa_exception_int_div_zero 0
	.end_amdhsa_kernel
	.section	.text._ZL30rocblas_trsm_small_left_deviceILi20ELi20ELb0EddPKPKdPKPdEv13rocblas_fill_18rocblas_operation_17rocblas_diagonal_iiT3_T4_lilT5_lili,"axG",@progbits,_ZL30rocblas_trsm_small_left_deviceILi20ELi20ELb0EddPKPKdPKPdEv13rocblas_fill_18rocblas_operation_17rocblas_diagonal_iiT3_T4_lilT5_lili,comdat
.Lfunc_end88:
	.size	_ZL30rocblas_trsm_small_left_deviceILi20ELi20ELb0EddPKPKdPKPdEv13rocblas_fill_18rocblas_operation_17rocblas_diagonal_iiT3_T4_lilT5_lili, .Lfunc_end88-_ZL30rocblas_trsm_small_left_deviceILi20ELi20ELb0EddPKPKdPKPdEv13rocblas_fill_18rocblas_operation_17rocblas_diagonal_iiT3_T4_lilT5_lili
                                        ; -- End function
	.set _ZL30rocblas_trsm_small_left_deviceILi20ELi20ELb0EddPKPKdPKPdEv13rocblas_fill_18rocblas_operation_17rocblas_diagonal_iiT3_T4_lilT5_lili.num_vgpr, 22
	.set _ZL30rocblas_trsm_small_left_deviceILi20ELi20ELb0EddPKPKdPKPdEv13rocblas_fill_18rocblas_operation_17rocblas_diagonal_iiT3_T4_lilT5_lili.num_agpr, 0
	.set _ZL30rocblas_trsm_small_left_deviceILi20ELi20ELb0EddPKPKdPKPdEv13rocblas_fill_18rocblas_operation_17rocblas_diagonal_iiT3_T4_lilT5_lili.numbered_sgpr, 45
	.set _ZL30rocblas_trsm_small_left_deviceILi20ELi20ELb0EddPKPKdPKPdEv13rocblas_fill_18rocblas_operation_17rocblas_diagonal_iiT3_T4_lilT5_lili.num_named_barrier, 0
	.set _ZL30rocblas_trsm_small_left_deviceILi20ELi20ELb0EddPKPKdPKPdEv13rocblas_fill_18rocblas_operation_17rocblas_diagonal_iiT3_T4_lilT5_lili.private_seg_size, 176
	.set _ZL30rocblas_trsm_small_left_deviceILi20ELi20ELb0EddPKPKdPKPdEv13rocblas_fill_18rocblas_operation_17rocblas_diagonal_iiT3_T4_lilT5_lili.uses_vcc, 1
	.set _ZL30rocblas_trsm_small_left_deviceILi20ELi20ELb0EddPKPKdPKPdEv13rocblas_fill_18rocblas_operation_17rocblas_diagonal_iiT3_T4_lilT5_lili.uses_flat_scratch, 0
	.set _ZL30rocblas_trsm_small_left_deviceILi20ELi20ELb0EddPKPKdPKPdEv13rocblas_fill_18rocblas_operation_17rocblas_diagonal_iiT3_T4_lilT5_lili.has_dyn_sized_stack, 0
	.set _ZL30rocblas_trsm_small_left_deviceILi20ELi20ELb0EddPKPKdPKPdEv13rocblas_fill_18rocblas_operation_17rocblas_diagonal_iiT3_T4_lilT5_lili.has_recursion, 0
	.set _ZL30rocblas_trsm_small_left_deviceILi20ELi20ELb0EddPKPKdPKPdEv13rocblas_fill_18rocblas_operation_17rocblas_diagonal_iiT3_T4_lilT5_lili.has_indirect_call, 0
	.section	.AMDGPU.csdata,"",@progbits
; Kernel info:
; codeLenInByte = 2396
; TotalNumSgprs: 47
; NumVgprs: 22
; ScratchSize: 176
; MemoryBound: 0
; FloatMode: 240
; IeeeMode: 1
; LDSByteSize: 3200 bytes/workgroup (compile time only)
; SGPRBlocks: 0
; VGPRBlocks: 15
; NumSGPRsForWavesPerEU: 47
; NumVGPRsForWavesPerEU: 121
; Occupancy: 10
; WaveLimiterHint : 1
; COMPUTE_PGM_RSRC2:SCRATCH_EN: 1
; COMPUTE_PGM_RSRC2:USER_SGPR: 2
; COMPUTE_PGM_RSRC2:TRAP_HANDLER: 0
; COMPUTE_PGM_RSRC2:TGID_X_EN: 1
; COMPUTE_PGM_RSRC2:TGID_Y_EN: 0
; COMPUTE_PGM_RSRC2:TGID_Z_EN: 1
; COMPUTE_PGM_RSRC2:TIDIG_COMP_CNT: 0
	.section	.text._ZL38rocblas_trsm_small_left_device_sharedBILi20ELi20ELb1EddPKPKdPKPdEv13rocblas_fill_18rocblas_operation_17rocblas_diagonal_iiT3_T4_lilT5_lili,"axG",@progbits,_ZL38rocblas_trsm_small_left_device_sharedBILi20ELi20ELb1EddPKPKdPKPdEv13rocblas_fill_18rocblas_operation_17rocblas_diagonal_iiT3_T4_lilT5_lili,comdat
	.globl	_ZL38rocblas_trsm_small_left_device_sharedBILi20ELi20ELb1EddPKPKdPKPdEv13rocblas_fill_18rocblas_operation_17rocblas_diagonal_iiT3_T4_lilT5_lili ; -- Begin function _ZL38rocblas_trsm_small_left_device_sharedBILi20ELi20ELb1EddPKPKdPKPdEv13rocblas_fill_18rocblas_operation_17rocblas_diagonal_iiT3_T4_lilT5_lili
	.p2align	8
	.type	_ZL38rocblas_trsm_small_left_device_sharedBILi20ELi20ELb1EddPKPKdPKPdEv13rocblas_fill_18rocblas_operation_17rocblas_diagonal_iiT3_T4_lilT5_lili,@function
_ZL38rocblas_trsm_small_left_device_sharedBILi20ELi20ELb1EddPKPKdPKPdEv13rocblas_fill_18rocblas_operation_17rocblas_diagonal_iiT3_T4_lilT5_lili: ; @_ZL38rocblas_trsm_small_left_device_sharedBILi20ELi20ELb1EddPKPKdPKPdEv13rocblas_fill_18rocblas_operation_17rocblas_diagonal_iiT3_T4_lilT5_lili
; %bb.0:
	s_load_b32 s22, s[0:1], 0x60
	s_lshr_b32 s2, ttmp7, 16
	s_wait_kmcnt 0x0
	s_cmp_ge_u32 s2, s22
	s_cbranch_scc1 .LBB89_57
; %bb.1:
	s_clause 0x5
	s_load_b96 s[16:18], s[0:1], 0x28
	s_load_b32 s20, s[0:1], 0x50
	s_load_b128 s[12:15], s[0:1], 0x4
	s_load_b32 s3, s[0:1], 0x68
	s_load_b128 s[4:7], s[0:1], 0x18
	s_load_b128 s[8:11], s[0:1], 0x40
	s_mul_i32 s0, ttmp9, 0xffffffec
	s_mul_i32 s24, ttmp9, 20
	v_dual_mov_b32 v9, 0 :: v_dual_lshlrev_b32 v8, 3, v0
	v_mul_u32_u24_e32 v4, 0xa0, v0
	s_mov_b32 s19, 0
	s_delay_alu instid0(VALU_DEP_2) | instskip(NEXT) | instid1(VALU_DEP_2)
	v_add_nc_u32_e32 v1, 0xc80, v8
	v_add_nc_u32_e32 v10, v8, v4
	s_wait_kmcnt 0x0
	s_ashr_i32 s29, s18, 31
	s_ashr_i32 s21, s20, 31
	s_min_i32 s1, s14, 20
	s_add_co_i32 s3, s3, -1
	s_add_co_i32 s15, s15, s0
	v_mad_co_i64_i32 v[2:3], null, s20, v0, 0
	s_add_co_i32 s23, s1, -1
	s_cmp_ge_u32 ttmp9, s3
	v_cmp_gt_i32_e64 s0, s1, v0
	s_cselect_b32 s3, s15, 20
	s_ashr_i32 s25, s24, 31
	s_cmp_lg_u32 s13, 0x84
	s_mul_u64 s[20:21], s[20:21], s[24:25]
	s_cselect_b32 s24, -1, 0
	s_cmp_gt_i32 s14, 0
	v_cmp_gt_i32_e32 vcc_lo, s3, v0
	s_cselect_b32 s3, -1, 0
	s_cmp_lg_u32 s12, 0x6f
	v_lshlrev_b64_e32 v[2:3], 3, v[2:3]
	v_lshlrev_b32_e32 v0, 3, v0
	s_mov_b32 s28, s18
	s_cselect_b32 s25, -1, 0
	s_lshl_b32 s27, s1, 3
	s_wait_alu 0xfffe
	s_and_b32 s26, vcc_lo, s3
	s_lshl_b64 s[12:13], s[28:29], 3
	s_add_co_i32 s27, s27, -8
	s_lshl_b64 s[14:15], s[16:17], 3
	s_lshl_b64 s[10:11], s[10:11], 3
	;; [unrolled: 1-line block ×3, first 2 shown]
	s_branch .LBB89_3
.LBB89_2:                               ;   in Loop: Header=BB89_3 Depth=1
	s_wait_alu 0xfffe
	s_or_b32 exec_lo, exec_lo, s3
	s_add_co_i32 s2, s2, 0x10000
	s_wait_alu 0xfffe
	s_cmp_lt_u32 s2, s22
	s_cbranch_scc0 .LBB89_57
.LBB89_3:                               ; =>This Loop Header: Depth=1
                                        ;     Child Loop BB89_5 Depth 2
                                        ;     Child Loop BB89_11 Depth 2
	;; [unrolled: 1-line block ×3, first 2 shown]
                                        ;       Child Loop BB89_18 Depth 3
                                        ;         Child Loop BB89_19 Depth 4
                                        ;         Child Loop BB89_21 Depth 4
                                        ;           Child Loop BB89_22 Depth 5
                                        ;         Child Loop BB89_26 Depth 4
                                        ;           Child Loop BB89_28 Depth 5
                                        ;     Child Loop BB89_36 Depth 2
                                        ;       Child Loop BB89_39 Depth 3
                                        ;         Child Loop BB89_40 Depth 4
                                        ;         Child Loop BB89_43 Depth 4
                                        ;           Child Loop BB89_44 Depth 5
                                        ;         Child Loop BB89_48 Depth 4
                                        ;           Child Loop BB89_50 Depth 5
                                        ;     Child Loop BB89_56 Depth 2
	s_mov_b32 s3, s19
	s_wait_alu 0xfffe
	s_lshl_b64 s[20:21], s[2:3], 3
	s_wait_alu 0xfffe
	s_add_nc_u64 s[28:29], s[8:9], s[20:21]
	global_load_b64 v[4:5], v9, s[28:29]
	s_and_saveexec_b32 s3, s0
	s_cbranch_execz .LBB89_9
; %bb.4:                                ;   in Loop: Header=BB89_3 Depth=1
	s_add_nc_u64 s[20:21], s[6:7], s[20:21]
	v_mov_b32_e32 v11, v8
	global_load_b64 v[6:7], v9, s[20:21]
	s_mov_b32 s18, s1
	s_wait_loadcnt 0x0
	v_add_co_u32 v6, vcc_lo, v6, s14
	s_wait_alu 0xfffd
	v_add_co_ci_u32_e64 v7, null, s15, v7, vcc_lo
	s_delay_alu instid0(VALU_DEP_2) | instskip(SKIP_1) | instid1(VALU_DEP_2)
	v_add_co_u32 v6, vcc_lo, v6, v0
	s_wait_alu 0xfffd
	v_add_co_ci_u32_e64 v7, null, 0, v7, vcc_lo
.LBB89_5:                               ;   Parent Loop BB89_3 Depth=1
                                        ; =>  This Inner Loop Header: Depth=2
	flat_load_b64 v[12:13], v[6:7]
	v_add_co_u32 v6, vcc_lo, v6, s12
	s_wait_alu 0xfffd
	v_add_co_ci_u32_e64 v7, null, s13, v7, vcc_lo
	s_add_co_i32 s18, s18, -1
	s_delay_alu instid0(SALU_CYCLE_1)
	s_cmp_eq_u32 s18, 0
	s_wait_loadcnt_dscnt 0x0
	ds_store_b64 v11, v[12:13]
	v_add_nc_u32_e32 v11, 0xa0, v11
	s_cbranch_scc0 .LBB89_5
; %bb.6:                                ;   in Loop: Header=BB89_3 Depth=1
	v_mov_b32_e32 v6, 0
	v_mov_b32_e32 v7, 0x3ff00000
	s_and_b32 vcc_lo, exec_lo, s24
	s_wait_alu 0xfffe
	s_cbranch_vccz .LBB89_8
; %bb.7:                                ;   in Loop: Header=BB89_3 Depth=1
	ds_load_b64 v[6:7], v10
	s_wait_dscnt 0x0
	v_div_scale_f64 v[11:12], null, v[6:7], v[6:7], 1.0
	s_delay_alu instid0(VALU_DEP_1) | instskip(NEXT) | instid1(TRANS32_DEP_1)
	v_rcp_f64_e32 v[13:14], v[11:12]
	v_fma_f64 v[15:16], -v[11:12], v[13:14], 1.0
	s_delay_alu instid0(VALU_DEP_1) | instskip(NEXT) | instid1(VALU_DEP_1)
	v_fma_f64 v[13:14], v[13:14], v[15:16], v[13:14]
	v_fma_f64 v[15:16], -v[11:12], v[13:14], 1.0
	s_delay_alu instid0(VALU_DEP_1) | instskip(SKIP_1) | instid1(VALU_DEP_1)
	v_fma_f64 v[13:14], v[13:14], v[15:16], v[13:14]
	v_div_scale_f64 v[15:16], vcc_lo, 1.0, v[6:7], 1.0
	v_mul_f64_e32 v[17:18], v[15:16], v[13:14]
	s_delay_alu instid0(VALU_DEP_1) | instskip(SKIP_1) | instid1(VALU_DEP_1)
	v_fma_f64 v[11:12], -v[11:12], v[17:18], v[15:16]
	s_wait_alu 0xfffd
	v_div_fmas_f64 v[11:12], v[11:12], v[13:14], v[17:18]
	s_delay_alu instid0(VALU_DEP_1)
	v_div_fixup_f64 v[6:7], v[11:12], v[6:7], 1.0
.LBB89_8:                               ;   in Loop: Header=BB89_3 Depth=1
	ds_store_b64 v10, v[6:7]
.LBB89_9:                               ;   in Loop: Header=BB89_3 Depth=1
	s_wait_alu 0xfffe
	s_or_b32 exec_lo, exec_lo, s3
	s_wait_loadcnt 0x0
	v_add_co_u32 v4, vcc_lo, v4, s10
	s_wait_alu 0xfffd
	v_add_co_ci_u32_e64 v5, null, s11, v5, vcc_lo
	s_delay_alu instid0(VALU_DEP_2) | instskip(SKIP_1) | instid1(VALU_DEP_2)
	v_add_co_u32 v7, vcc_lo, v4, s16
	s_wait_alu 0xfffd
	v_add_co_ci_u32_e64 v11, null, s17, v5, vcc_lo
	s_and_saveexec_b32 s3, s26
	s_cbranch_execz .LBB89_12
; %bb.10:                               ;   in Loop: Header=BB89_3 Depth=1
	v_add_co_u32 v4, vcc_lo, v7, v2
	s_wait_alu 0xfffd
	v_add_co_ci_u32_e64 v5, null, v11, v3, vcc_lo
	v_mov_b32_e32 v6, v1
	s_mov_b32 s18, s1
.LBB89_11:                              ;   Parent Loop BB89_3 Depth=1
                                        ; =>  This Inner Loop Header: Depth=2
	flat_load_b64 v[12:13], v[4:5]
	v_add_co_u32 v4, vcc_lo, v4, 8
	s_wait_alu 0xfffd
	v_add_co_ci_u32_e64 v5, null, 0, v5, vcc_lo
	s_add_co_i32 s18, s18, -1
	s_delay_alu instid0(SALU_CYCLE_1)
	s_cmp_lg_u32 s18, 0
	s_wait_loadcnt_dscnt 0x0
	v_mul_f64_e32 v[12:13], s[4:5], v[12:13]
	ds_store_b64 v6, v[12:13]
	v_add_nc_u32_e32 v6, 0xa0, v6
	s_cbranch_scc1 .LBB89_11
.LBB89_12:                              ;   in Loop: Header=BB89_3 Depth=1
	s_wait_alu 0xfffe
	s_or_b32 exec_lo, exec_lo, s3
	s_delay_alu instid0(SALU_CYCLE_1)
	s_and_not1_b32 vcc_lo, exec_lo, s25
	s_mov_b32 s3, -1
	s_wait_dscnt 0x0
	; wave barrier
	global_inv scope:SCOPE_SE
	s_wait_alu 0xfffe
	s_cbranch_vccnz .LBB89_33
; %bb.13:                               ;   in Loop: Header=BB89_3 Depth=1
	s_mov_b32 s18, 0
	s_mov_b32 s3, s23
	s_branch .LBB89_15
.LBB89_14:                              ;   in Loop: Header=BB89_15 Depth=2
	s_cmp_gt_i32 s3, -1
	s_cselect_b32 s20, -1, 0
	s_add_co_i32 s21, s18, 1
	s_cmp_lt_u32 s18, 2
	s_cselect_b32 s18, -1, 0
	s_wait_alu 0xfffe
	s_and_b32 s18, s20, s18
	s_delay_alu instid0(SALU_CYCLE_1)
	s_and_b32 vcc_lo, exec_lo, s18
	s_mov_b32 s18, s21
	s_wait_alu 0xfffe
	s_cbranch_vccz .LBB89_32
.LBB89_15:                              ;   Parent Loop BB89_3 Depth=1
                                        ; =>  This Loop Header: Depth=2
                                        ;       Child Loop BB89_18 Depth 3
                                        ;         Child Loop BB89_19 Depth 4
                                        ;         Child Loop BB89_21 Depth 4
                                        ;           Child Loop BB89_22 Depth 5
                                        ;         Child Loop BB89_26 Depth 4
                                        ;           Child Loop BB89_28 Depth 5
	s_getpc_b64 s[20:21]
	s_wait_alu 0xfffe
	s_sext_i32_i16 s21, s21
	s_add_co_u32 s20, s20, __const._ZL38rocblas_trsm_small_left_device_sharedBILi20ELi20ELb1EddPKPKdPKPdEv13rocblas_fill_18rocblas_operation_17rocblas_diagonal_iiT3_T4_lilT5_lili.step_sizes@rel32@lo+12
	s_wait_alu 0xfffe
	s_add_co_ci_u32 s21, s21, __const._ZL38rocblas_trsm_small_left_device_sharedBILi20ELi20ELb1EddPKPKdPKPdEv13rocblas_fill_18rocblas_operation_17rocblas_diagonal_iiT3_T4_lilT5_lili.step_sizes@rel32@hi+24
	s_lshl_b64 s[28:29], s[18:19], 2
	s_wait_alu 0xfffe
	s_add_nc_u64 s[20:21], s[20:21], s[28:29]
	s_load_b32 s20, s[20:21], 0x0
	s_wait_kmcnt 0x0
	s_add_co_i32 s21, s20, -1
	s_wait_alu 0xfffe
	s_cmp_lt_i32 s3, s21
	s_cbranch_scc1 .LBB89_14
; %bb.16:                               ;   in Loop: Header=BB89_15 Depth=2
	s_mul_i32 s30, s3, 0xa0
	s_max_i32 s28, s20, 1
	s_wait_alu 0xfffe
	v_add_nc_u32_e32 v6, s30, v1
	s_mul_i32 s29, s20, 0xffffff60
	s_add_co_i32 s30, s27, s30
	s_mul_i32 s31, s3, 0xa8
	s_mul_i32 s33, s20, 0xffffff58
	s_branch .LBB89_18
.LBB89_17:                              ;   in Loop: Header=BB89_18 Depth=3
	v_add_nc_u32_e32 v6, s29, v6
	s_sub_co_i32 s3, s3, s20
	s_add_co_i32 s30, s30, s29
	s_add_co_i32 s31, s31, s33
	s_wait_alu 0xfffe
	s_cmp_lt_i32 s3, s21
	s_cbranch_scc1 .LBB89_14
.LBB89_18:                              ;   Parent Loop BB89_3 Depth=1
                                        ;     Parent Loop BB89_15 Depth=2
                                        ; =>    This Loop Header: Depth=3
                                        ;         Child Loop BB89_19 Depth 4
                                        ;         Child Loop BB89_21 Depth 4
                                        ;           Child Loop BB89_22 Depth 5
                                        ;         Child Loop BB89_26 Depth 4
                                        ;           Child Loop BB89_28 Depth 5
	v_mov_b32_e32 v4, v6
	s_mov_b32 s34, 0
	s_wait_alu 0xfffe
	s_mov_b32 s35, s28
.LBB89_19:                              ;   Parent Loop BB89_3 Depth=1
                                        ;     Parent Loop BB89_15 Depth=2
                                        ;       Parent Loop BB89_18 Depth=3
                                        ; =>      This Inner Loop Header: Depth=4
	ds_load_b64 v[12:13], v4
	v_add_nc_u32_e32 v4, 0xffffff60, v4
	s_wait_alu 0xfffe
	s_add_co_i32 s35, s35, -1
	s_wait_dscnt 0x0
	scratch_store_b64 off, v[12:13], s34
	s_add_co_i32 s34, s34, 8
	s_wait_alu 0xfffe
	s_cmp_eq_u32 s35, 0
	s_cbranch_scc0 .LBB89_19
; %bb.20:                               ;   in Loop: Header=BB89_18 Depth=3
	s_cmp_le_i32 s23, s3
	s_mov_b32 s34, s30
	s_mov_b32 s35, s23
	s_cbranch_scc1 .LBB89_24
.LBB89_21:                              ;   Parent Loop BB89_3 Depth=1
                                        ;     Parent Loop BB89_15 Depth=2
                                        ;       Parent Loop BB89_18 Depth=3
                                        ; =>      This Loop Header: Depth=4
                                        ;           Child Loop BB89_22 Depth 5
	s_wait_alu 0xfffe
	v_mad_co_u64_u32 v[4:5], null, 0xa0, s35, v[1:2]
	s_mov_b32 s36, 0
	s_mov_b32 s37, s34
	;; [unrolled: 1-line block ×3, first 2 shown]
	ds_load_b64 v[4:5], v4
.LBB89_22:                              ;   Parent Loop BB89_3 Depth=1
                                        ;     Parent Loop BB89_15 Depth=2
                                        ;       Parent Loop BB89_18 Depth=3
                                        ;         Parent Loop BB89_21 Depth=4
                                        ; =>        This Inner Loop Header: Depth=5
	scratch_load_b64 v[12:13], off, s36
	s_wait_alu 0xfffe
	v_mov_b32_e32 v14, s37
	s_add_co_i32 s38, s38, -1
	s_addk_co_i32 s37, 0xff60
	ds_load_b64 v[14:15], v14
	s_wait_loadcnt_dscnt 0x0
	v_fma_f64 v[12:13], -v[4:5], v[14:15], v[12:13]
	scratch_store_b64 off, v[12:13], s36
	s_add_co_i32 s36, s36, 8
	s_wait_alu 0xfffe
	s_cmp_eq_u32 s38, 0
	s_cbranch_scc0 .LBB89_22
; %bb.23:                               ;   in Loop: Header=BB89_21 Depth=4
	s_add_co_i32 s35, s35, -1
	s_add_co_i32 s34, s34, -8
	s_wait_alu 0xfffe
	s_cmp_le_i32 s35, s3
	s_cbranch_scc0 .LBB89_21
.LBB89_24:                              ;   in Loop: Header=BB89_18 Depth=3
	s_mul_i32 s34, s3, 0xa0
	s_mov_b32 s35, 0
	s_mov_b32 s36, s31
	s_branch .LBB89_26
.LBB89_25:                              ;   in Loop: Header=BB89_26 Depth=4
	s_wait_alu 0xfffe
	s_mulk_i32 s38, 0xa8
	s_addk_co_i32 s36, 0xff60
	s_wait_alu 0xfffe
	v_mov_b32_e32 v12, s38
	s_lshl_b32 s38, s35, 3
	s_add_co_i32 s35, s35, 1
	s_wait_alu 0xfffe
	s_cmp_eq_u32 s35, s28
	ds_load_b64 v[12:13], v12
	s_wait_loadcnt_dscnt 0x0
	v_mul_f64_e32 v[4:5], v[12:13], v[4:5]
	v_add_nc_u32_e32 v12, s37, v1
	scratch_store_b64 off, v[4:5], s38
	ds_store_b64 v12, v[4:5]
	s_cbranch_scc1 .LBB89_17
.LBB89_26:                              ;   Parent Loop BB89_3 Depth=1
                                        ;     Parent Loop BB89_15 Depth=2
                                        ;       Parent Loop BB89_18 Depth=3
                                        ; =>      This Loop Header: Depth=4
                                        ;           Child Loop BB89_28 Depth 5
	s_wait_alu 0xfffe
	s_cmp_lg_u32 s35, 0
	s_cbranch_scc0 .LBB89_30
; %bb.27:                               ;   in Loop: Header=BB89_26 Depth=4
	s_lshl_b32 s39, s35, 3
	s_sub_co_i32 s38, s3, s35
	scratch_load_b64 v[4:5], off, s39
	s_wait_alu 0xfffe
	s_mul_i32 s37, s38, 0xa0
	s_mov_b32 s40, 0
	s_mov_b32 s41, s36
	;; [unrolled: 1-line block ×3, first 2 shown]
.LBB89_28:                              ;   Parent Loop BB89_3 Depth=1
                                        ;     Parent Loop BB89_15 Depth=2
                                        ;       Parent Loop BB89_18 Depth=3
                                        ;         Parent Loop BB89_26 Depth=4
                                        ; =>        This Inner Loop Header: Depth=5
	scratch_load_b64 v[12:13], off, s40
	s_wait_alu 0xfffe
	v_mov_b32_e32 v14, s41
	s_add_co_i32 s42, s42, -1
	s_add_co_i32 s41, s41, -8
	s_add_co_i32 s40, s40, 8
	s_cmp_eq_u32 s42, 0
	ds_load_b64 v[14:15], v14
	s_wait_loadcnt_dscnt 0x0
	v_fma_f64 v[4:5], -v[12:13], v[14:15], v[4:5]
	scratch_store_b64 off, v[4:5], s39
	s_cbranch_scc0 .LBB89_28
; %bb.29:                               ;   in Loop: Header=BB89_26 Depth=4
	s_branch .LBB89_25
.LBB89_30:                              ;   in Loop: Header=BB89_26 Depth=4
                                        ; implicit-def: $vgpr4_vgpr5
                                        ; implicit-def: $sgpr38
                                        ; implicit-def: $sgpr37
	s_cbranch_execz .LBB89_25
; %bb.31:                               ;   in Loop: Header=BB89_26 Depth=4
	scratch_load_b64 v[4:5], off, off
	s_mov_b32 s37, s34
	s_mov_b32 s38, s3
	s_branch .LBB89_25
.LBB89_32:                              ;   in Loop: Header=BB89_3 Depth=1
	s_mov_b32 s3, 0
.LBB89_33:                              ;   in Loop: Header=BB89_3 Depth=1
	s_wait_alu 0xfffe
	s_and_b32 vcc_lo, exec_lo, s3
	s_wait_alu 0xfffe
	s_cbranch_vccz .LBB89_54
; %bb.34:                               ;   in Loop: Header=BB89_3 Depth=1
	s_mov_b32 s3, 0
	s_wait_alu 0xfffe
	s_mov_b32 s18, s3
	s_branch .LBB89_36
.LBB89_35:                              ;   in Loop: Header=BB89_36 Depth=2
	s_cmp_lt_i32 s3, s1
	s_cselect_b32 s20, -1, 0
	s_add_co_i32 s21, s18, 1
	s_cmp_lt_u32 s18, 2
	s_cselect_b32 s18, -1, 0
	s_wait_alu 0xfffe
	s_and_b32 s18, s20, s18
	s_delay_alu instid0(SALU_CYCLE_1)
	s_and_not1_b32 vcc_lo, exec_lo, s18
	s_mov_b32 s18, s21
	s_wait_alu 0xfffe
	s_cbranch_vccnz .LBB89_54
.LBB89_36:                              ;   Parent Loop BB89_3 Depth=1
                                        ; =>  This Loop Header: Depth=2
                                        ;       Child Loop BB89_39 Depth 3
                                        ;         Child Loop BB89_40 Depth 4
                                        ;         Child Loop BB89_43 Depth 4
                                        ;           Child Loop BB89_44 Depth 5
                                        ;         Child Loop BB89_48 Depth 4
                                        ;           Child Loop BB89_50 Depth 5
	s_getpc_b64 s[20:21]
	s_wait_alu 0xfffe
	s_sext_i32_i16 s21, s21
	s_add_co_u32 s20, s20, __const._ZL38rocblas_trsm_small_left_device_sharedBILi20ELi20ELb1EddPKPKdPKPdEv13rocblas_fill_18rocblas_operation_17rocblas_diagonal_iiT3_T4_lilT5_lili.step_sizes@rel32@lo+12
	s_wait_alu 0xfffe
	s_add_co_ci_u32 s21, s21, __const._ZL38rocblas_trsm_small_left_device_sharedBILi20ELi20ELb1EddPKPKdPKPdEv13rocblas_fill_18rocblas_operation_17rocblas_diagonal_iiT3_T4_lilT5_lili.step_sizes@rel32@hi+24
	s_lshl_b64 s[28:29], s[18:19], 2
	s_wait_alu 0xfffe
	s_add_nc_u64 s[20:21], s[20:21], s[28:29]
	s_load_b32 s20, s[20:21], 0x0
	s_wait_kmcnt 0x0
	s_add_co_i32 s21, s20, -1
	s_wait_alu 0xfffe
	s_add_co_i32 s28, s21, s3
	s_wait_alu 0xfffe
	s_cmp_ge_i32 s28, s1
	s_cbranch_scc1 .LBB89_35
; %bb.37:                               ;   in Loop: Header=BB89_36 Depth=2
	v_mad_co_u64_u32 v[4:5], null, 0xa0, s3, v[1:2]
	s_max_i32 s28, s20, 1
	s_mul_i32 s29, s20, 0xa0
	s_lshl_b32 s30, s3, 3
	s_lshl_b32 s31, s20, 3
	s_mul_i32 s33, s3, 0xa8
	s_mul_i32 s34, s20, 0xa8
	s_branch .LBB89_39
.LBB89_38:                              ;   in Loop: Header=BB89_39 Depth=3
	s_add_co_i32 s3, s3, s20
	v_add_nc_u32_e32 v4, s29, v4
	s_wait_alu 0xfffe
	s_add_co_i32 s35, s21, s3
	s_add_co_i32 s30, s30, s31
	;; [unrolled: 1-line block ×3, first 2 shown]
	s_wait_alu 0xfffe
	s_cmp_ge_i32 s35, s1
	s_cbranch_scc1 .LBB89_35
.LBB89_39:                              ;   Parent Loop BB89_3 Depth=1
                                        ;     Parent Loop BB89_36 Depth=2
                                        ; =>    This Loop Header: Depth=3
                                        ;         Child Loop BB89_40 Depth 4
                                        ;         Child Loop BB89_43 Depth 4
                                        ;           Child Loop BB89_44 Depth 5
                                        ;         Child Loop BB89_48 Depth 4
                                        ;           Child Loop BB89_50 Depth 5
	v_mov_b32_e32 v5, v4
	s_mov_b32 s35, 0
	s_wait_alu 0xfffe
	s_mov_b32 s36, s28
.LBB89_40:                              ;   Parent Loop BB89_3 Depth=1
                                        ;     Parent Loop BB89_36 Depth=2
                                        ;       Parent Loop BB89_39 Depth=3
                                        ; =>      This Inner Loop Header: Depth=4
	ds_load_b64 v[12:13], v5
	v_add_nc_u32_e32 v5, 0xa0, v5
	s_wait_alu 0xfffe
	s_add_co_i32 s36, s36, -1
	s_wait_dscnt 0x0
	scratch_store_b64 off, v[12:13], s35
	s_add_co_i32 s35, s35, 8
	s_wait_alu 0xfffe
	s_cmp_eq_u32 s36, 0
	s_cbranch_scc0 .LBB89_40
; %bb.41:                               ;   in Loop: Header=BB89_39 Depth=3
	s_cmp_lt_i32 s3, 1
	s_cbranch_scc1 .LBB89_46
; %bb.42:                               ;   in Loop: Header=BB89_39 Depth=3
	s_mov_b32 s35, 0
	s_mov_b32 s36, s30
.LBB89_43:                              ;   Parent Loop BB89_3 Depth=1
                                        ;     Parent Loop BB89_36 Depth=2
                                        ;       Parent Loop BB89_39 Depth=3
                                        ; =>      This Loop Header: Depth=4
                                        ;           Child Loop BB89_44 Depth 5
	s_wait_alu 0xfffe
	v_mad_co_u64_u32 v[5:6], null, 0xa0, s35, v[1:2]
	s_mov_b32 s37, 0
	s_mov_b32 s38, s36
	;; [unrolled: 1-line block ×3, first 2 shown]
	ds_load_b64 v[5:6], v5
.LBB89_44:                              ;   Parent Loop BB89_3 Depth=1
                                        ;     Parent Loop BB89_36 Depth=2
                                        ;       Parent Loop BB89_39 Depth=3
                                        ;         Parent Loop BB89_43 Depth=4
                                        ; =>        This Inner Loop Header: Depth=5
	scratch_load_b64 v[12:13], off, s37
	s_wait_alu 0xfffe
	v_mov_b32_e32 v14, s38
	s_add_co_i32 s39, s39, -1
	s_add_co_i32 s38, s38, 8
	ds_load_b64 v[14:15], v14
	s_wait_loadcnt_dscnt 0x0
	v_fma_f64 v[12:13], -v[5:6], v[14:15], v[12:13]
	scratch_store_b64 off, v[12:13], s37
	s_add_co_i32 s37, s37, 8
	s_wait_alu 0xfffe
	s_cmp_eq_u32 s39, 0
	s_cbranch_scc0 .LBB89_44
; %bb.45:                               ;   in Loop: Header=BB89_43 Depth=4
	s_add_co_i32 s35, s35, 1
	s_addk_co_i32 s36, 0xa0
	s_wait_alu 0xfffe
	s_cmp_eq_u32 s35, s3
	s_cbranch_scc0 .LBB89_43
.LBB89_46:                              ;   in Loop: Header=BB89_39 Depth=3
	s_mov_b32 s35, 0
	s_mov_b32 s36, s33
	s_branch .LBB89_48
.LBB89_47:                              ;   in Loop: Header=BB89_48 Depth=4
	s_add_co_i32 s37, s35, s3
	s_add_co_i32 s36, s36, 8
	s_wait_alu 0xfffe
	s_mul_i32 s38, s37, 0xa8
	s_wait_alu 0xfffe
	v_mov_b32_e32 v12, s38
	ds_load_b64 v[12:13], v12
	s_wait_loadcnt_dscnt 0x0
	v_mul_f64_e32 v[5:6], v[12:13], v[5:6]
	v_mad_co_u64_u32 v[12:13], null, 0xa0, s37, v[1:2]
	s_lshl_b32 s37, s35, 3
	s_add_co_i32 s35, s35, 1
	s_wait_alu 0xfffe
	s_cmp_eq_u32 s35, s28
	scratch_store_b64 off, v[5:6], s37
	ds_store_b64 v12, v[5:6]
	s_cbranch_scc1 .LBB89_38
.LBB89_48:                              ;   Parent Loop BB89_3 Depth=1
                                        ;     Parent Loop BB89_36 Depth=2
                                        ;       Parent Loop BB89_39 Depth=3
                                        ; =>      This Loop Header: Depth=4
                                        ;           Child Loop BB89_50 Depth 5
	s_wait_alu 0xfffe
	s_cmp_lg_u32 s35, 0
	s_cbranch_scc0 .LBB89_52
; %bb.49:                               ;   in Loop: Header=BB89_48 Depth=4
	s_lshl_b32 s37, s35, 3
	s_mov_b32 s38, 0
	scratch_load_b64 v[5:6], off, s37
	s_mov_b32 s39, s36
	s_mov_b32 s40, s35
.LBB89_50:                              ;   Parent Loop BB89_3 Depth=1
                                        ;     Parent Loop BB89_36 Depth=2
                                        ;       Parent Loop BB89_39 Depth=3
                                        ;         Parent Loop BB89_48 Depth=4
                                        ; =>        This Inner Loop Header: Depth=5
	scratch_load_b64 v[12:13], off, s38
	s_wait_alu 0xfffe
	v_mov_b32_e32 v14, s39
	s_add_co_i32 s40, s40, -1
	s_addk_co_i32 s39, 0xa0
	s_add_co_i32 s38, s38, 8
	s_wait_alu 0xfffe
	s_cmp_eq_u32 s40, 0
	ds_load_b64 v[14:15], v14
	s_wait_loadcnt_dscnt 0x0
	v_fma_f64 v[5:6], -v[12:13], v[14:15], v[5:6]
	scratch_store_b64 off, v[5:6], s37
	s_cbranch_scc0 .LBB89_50
; %bb.51:                               ;   in Loop: Header=BB89_48 Depth=4
	s_branch .LBB89_47
.LBB89_52:                              ;   in Loop: Header=BB89_48 Depth=4
                                        ; implicit-def: $vgpr5_vgpr6
	s_cbranch_execz .LBB89_47
; %bb.53:                               ;   in Loop: Header=BB89_48 Depth=4
	scratch_load_b64 v[5:6], off, off
	s_branch .LBB89_47
.LBB89_54:                              ;   in Loop: Header=BB89_3 Depth=1
	s_wait_storecnt 0x0
	; wave barrier
	s_wait_loadcnt_dscnt 0x0
	global_inv scope:SCOPE_SE
	s_and_saveexec_b32 s3, s26
	s_cbranch_execz .LBB89_2
; %bb.55:                               ;   in Loop: Header=BB89_3 Depth=1
	v_add_co_u32 v4, vcc_lo, v7, v2
	s_wait_alu 0xfffd
	v_add_co_ci_u32_e64 v5, null, v11, v3, vcc_lo
	v_mov_b32_e32 v6, v1
	s_mov_b32 s18, s1
.LBB89_56:                              ;   Parent Loop BB89_3 Depth=1
                                        ; =>  This Inner Loop Header: Depth=2
	ds_load_b64 v[11:12], v6
	v_add_nc_u32_e32 v6, 0xa0, v6
	s_add_co_i32 s18, s18, -1
	s_delay_alu instid0(SALU_CYCLE_1)
	s_cmp_lg_u32 s18, 0
	s_wait_dscnt 0x0
	flat_store_b64 v[4:5], v[11:12]
	v_add_co_u32 v4, vcc_lo, v4, 8
	s_wait_alu 0xfffd
	v_add_co_ci_u32_e64 v5, null, 0, v5, vcc_lo
	s_cbranch_scc1 .LBB89_56
	s_branch .LBB89_2
.LBB89_57:
	s_endpgm
	.section	.rodata,"a",@progbits
	.p2align	6, 0x0
	.amdhsa_kernel _ZL38rocblas_trsm_small_left_device_sharedBILi20ELi20ELb1EddPKPKdPKPdEv13rocblas_fill_18rocblas_operation_17rocblas_diagonal_iiT3_T4_lilT5_lili
		.amdhsa_group_segment_fixed_size 6400
		.amdhsa_private_segment_fixed_size 176
		.amdhsa_kernarg_size 360
		.amdhsa_user_sgpr_count 2
		.amdhsa_user_sgpr_dispatch_ptr 0
		.amdhsa_user_sgpr_queue_ptr 0
		.amdhsa_user_sgpr_kernarg_segment_ptr 1
		.amdhsa_user_sgpr_dispatch_id 0
		.amdhsa_user_sgpr_private_segment_size 0
		.amdhsa_wavefront_size32 1
		.amdhsa_uses_dynamic_stack 0
		.amdhsa_enable_private_segment 1
		.amdhsa_system_sgpr_workgroup_id_x 1
		.amdhsa_system_sgpr_workgroup_id_y 0
		.amdhsa_system_sgpr_workgroup_id_z 1
		.amdhsa_system_sgpr_workgroup_info 0
		.amdhsa_system_vgpr_workitem_id 0
		.amdhsa_next_free_vgpr 241
		.amdhsa_next_free_sgpr 43
		.amdhsa_reserve_vcc 1
		.amdhsa_float_round_mode_32 0
		.amdhsa_float_round_mode_16_64 0
		.amdhsa_float_denorm_mode_32 3
		.amdhsa_float_denorm_mode_16_64 3
		.amdhsa_fp16_overflow 0
		.amdhsa_workgroup_processor_mode 1
		.amdhsa_memory_ordered 1
		.amdhsa_forward_progress 1
		.amdhsa_inst_pref_size 19
		.amdhsa_round_robin_scheduling 0
		.amdhsa_exception_fp_ieee_invalid_op 0
		.amdhsa_exception_fp_denorm_src 0
		.amdhsa_exception_fp_ieee_div_zero 0
		.amdhsa_exception_fp_ieee_overflow 0
		.amdhsa_exception_fp_ieee_underflow 0
		.amdhsa_exception_fp_ieee_inexact 0
		.amdhsa_exception_int_div_zero 0
	.end_amdhsa_kernel
	.section	.text._ZL38rocblas_trsm_small_left_device_sharedBILi20ELi20ELb1EddPKPKdPKPdEv13rocblas_fill_18rocblas_operation_17rocblas_diagonal_iiT3_T4_lilT5_lili,"axG",@progbits,_ZL38rocblas_trsm_small_left_device_sharedBILi20ELi20ELb1EddPKPKdPKPdEv13rocblas_fill_18rocblas_operation_17rocblas_diagonal_iiT3_T4_lilT5_lili,comdat
.Lfunc_end89:
	.size	_ZL38rocblas_trsm_small_left_device_sharedBILi20ELi20ELb1EddPKPKdPKPdEv13rocblas_fill_18rocblas_operation_17rocblas_diagonal_iiT3_T4_lilT5_lili, .Lfunc_end89-_ZL38rocblas_trsm_small_left_device_sharedBILi20ELi20ELb1EddPKPKdPKPdEv13rocblas_fill_18rocblas_operation_17rocblas_diagonal_iiT3_T4_lilT5_lili
                                        ; -- End function
	.set _ZL38rocblas_trsm_small_left_device_sharedBILi20ELi20ELb1EddPKPKdPKPdEv13rocblas_fill_18rocblas_operation_17rocblas_diagonal_iiT3_T4_lilT5_lili.num_vgpr, 19
	.set _ZL38rocblas_trsm_small_left_device_sharedBILi20ELi20ELb1EddPKPKdPKPdEv13rocblas_fill_18rocblas_operation_17rocblas_diagonal_iiT3_T4_lilT5_lili.num_agpr, 0
	.set _ZL38rocblas_trsm_small_left_device_sharedBILi20ELi20ELb1EddPKPKdPKPdEv13rocblas_fill_18rocblas_operation_17rocblas_diagonal_iiT3_T4_lilT5_lili.numbered_sgpr, 43
	.set _ZL38rocblas_trsm_small_left_device_sharedBILi20ELi20ELb1EddPKPKdPKPdEv13rocblas_fill_18rocblas_operation_17rocblas_diagonal_iiT3_T4_lilT5_lili.num_named_barrier, 0
	.set _ZL38rocblas_trsm_small_left_device_sharedBILi20ELi20ELb1EddPKPKdPKPdEv13rocblas_fill_18rocblas_operation_17rocblas_diagonal_iiT3_T4_lilT5_lili.private_seg_size, 176
	.set _ZL38rocblas_trsm_small_left_device_sharedBILi20ELi20ELb1EddPKPKdPKPdEv13rocblas_fill_18rocblas_operation_17rocblas_diagonal_iiT3_T4_lilT5_lili.uses_vcc, 1
	.set _ZL38rocblas_trsm_small_left_device_sharedBILi20ELi20ELb1EddPKPKdPKPdEv13rocblas_fill_18rocblas_operation_17rocblas_diagonal_iiT3_T4_lilT5_lili.uses_flat_scratch, 0
	.set _ZL38rocblas_trsm_small_left_device_sharedBILi20ELi20ELb1EddPKPKdPKPdEv13rocblas_fill_18rocblas_operation_17rocblas_diagonal_iiT3_T4_lilT5_lili.has_dyn_sized_stack, 0
	.set _ZL38rocblas_trsm_small_left_device_sharedBILi20ELi20ELb1EddPKPKdPKPdEv13rocblas_fill_18rocblas_operation_17rocblas_diagonal_iiT3_T4_lilT5_lili.has_recursion, 0
	.set _ZL38rocblas_trsm_small_left_device_sharedBILi20ELi20ELb1EddPKPKdPKPdEv13rocblas_fill_18rocblas_operation_17rocblas_diagonal_iiT3_T4_lilT5_lili.has_indirect_call, 0
	.section	.AMDGPU.csdata,"",@progbits
; Kernel info:
; codeLenInByte = 2376
; TotalNumSgprs: 45
; NumVgprs: 19
; ScratchSize: 176
; MemoryBound: 0
; FloatMode: 240
; IeeeMode: 1
; LDSByteSize: 6400 bytes/workgroup (compile time only)
; SGPRBlocks: 0
; VGPRBlocks: 30
; NumSGPRsForWavesPerEU: 45
; NumVGPRsForWavesPerEU: 241
; Occupancy: 5
; WaveLimiterHint : 0
; COMPUTE_PGM_RSRC2:SCRATCH_EN: 1
; COMPUTE_PGM_RSRC2:USER_SGPR: 2
; COMPUTE_PGM_RSRC2:TRAP_HANDLER: 0
; COMPUTE_PGM_RSRC2:TGID_X_EN: 1
; COMPUTE_PGM_RSRC2:TGID_Y_EN: 0
; COMPUTE_PGM_RSRC2:TGID_Z_EN: 1
; COMPUTE_PGM_RSRC2:TIDIG_COMP_CNT: 0
	.section	.text._ZL30rocblas_trsm_small_left_deviceILi20ELi20ELb1EddPKPKdPKPdEv13rocblas_fill_18rocblas_operation_17rocblas_diagonal_iiT3_T4_lilT5_lili,"axG",@progbits,_ZL30rocblas_trsm_small_left_deviceILi20ELi20ELb1EddPKPKdPKPdEv13rocblas_fill_18rocblas_operation_17rocblas_diagonal_iiT3_T4_lilT5_lili,comdat
	.globl	_ZL30rocblas_trsm_small_left_deviceILi20ELi20ELb1EddPKPKdPKPdEv13rocblas_fill_18rocblas_operation_17rocblas_diagonal_iiT3_T4_lilT5_lili ; -- Begin function _ZL30rocblas_trsm_small_left_deviceILi20ELi20ELb1EddPKPKdPKPdEv13rocblas_fill_18rocblas_operation_17rocblas_diagonal_iiT3_T4_lilT5_lili
	.p2align	8
	.type	_ZL30rocblas_trsm_small_left_deviceILi20ELi20ELb1EddPKPKdPKPdEv13rocblas_fill_18rocblas_operation_17rocblas_diagonal_iiT3_T4_lilT5_lili,@function
_ZL30rocblas_trsm_small_left_deviceILi20ELi20ELb1EddPKPKdPKPdEv13rocblas_fill_18rocblas_operation_17rocblas_diagonal_iiT3_T4_lilT5_lili: ; @_ZL30rocblas_trsm_small_left_deviceILi20ELi20ELb1EddPKPKdPKPdEv13rocblas_fill_18rocblas_operation_17rocblas_diagonal_iiT3_T4_lilT5_lili
; %bb.0:
	s_load_b32 s26, s[0:1], 0x60
	s_lshr_b32 s2, ttmp7, 16
	s_wait_kmcnt 0x0
	s_cmp_ge_u32 s2, s26
	s_cbranch_scc1 .LBB90_54
; %bb.1:
	s_clause 0x5
	s_load_b96 s[16:18], s[0:1], 0x28
	s_load_b128 s[12:15], s[0:1], 0x4
	s_load_b32 s3, s[0:1], 0x68
	s_load_b32 s20, s[0:1], 0x50
	s_load_b128 s[4:7], s[0:1], 0x18
	s_load_b128 s[8:11], s[0:1], 0x40
	v_mad_co_u64_u32 v[1:2], null, ttmp9, 20, v[0:1]
	s_mul_i32 s0, ttmp9, 0xffffffec
	v_dual_mov_b32 v8, 0 :: v_dual_lshlrev_b32 v7, 3, v0
	v_mul_u32_u24_e32 v3, 0xa0, v0
	s_mov_b32 s33, 0
                                        ; implicit-def: $sgpr34
                                        ; implicit-def: $sgpr35
	s_delay_alu instid0(VALU_DEP_1)
	v_add_nc_u32_e32 v11, v7, v3
	s_wait_kmcnt 0x0
	s_ashr_i32 s19, s18, 31
	s_min_i32 s27, s14, 20
	s_add_co_i32 s3, s3, -1
	v_mad_co_i64_i32 v[1:2], null, s20, v1, 0
	s_wait_alu 0xfffe
	s_add_co_i32 s0, s15, s0
	s_add_co_i32 s28, s27, -1
	s_wait_alu 0xfffe
	s_cmp_ge_u32 ttmp9, s3
	s_mov_b32 s15, 0
	s_cselect_b32 s1, s0, 20
	s_cmp_lg_u32 s13, 0x84
	v_lshlrev_b64_e32 v[1:2], 3, v[1:2]
	s_cselect_b32 s29, -1, 0
	s_cmp_lg_u32 s12, 0x6f
	v_cmp_gt_i32_e64 s0, s27, v0
	s_cselect_b32 s30, -1, 0
	s_lshl_b64 s[10:11], s[10:11], 3
	s_wait_alu 0xfffe
	v_cmp_gt_i32_e64 s1, s1, v0
	v_add_co_u32 v9, vcc_lo, v1, s10
	s_delay_alu instid0(VALU_DEP_1)
	v_add_co_ci_u32_e64 v10, null, s11, v2, vcc_lo
	v_lshlrev_b32_e32 v0, 3, v0
	s_lshl_b32 s31, s27, 3
	s_lshl_b64 s[12:13], s[18:19], 3
	s_add_co_i32 s31, s31, -8
	s_lshl_b64 s[16:17], s[16:17], 3
	s_branch .LBB90_4
.LBB90_2:                               ;   in Loop: Header=BB90_4 Depth=1
	s_add_co_i32 s2, s2, 0x10000
	s_delay_alu instid0(SALU_CYCLE_1)
	s_cmp_ge_u32 s2, s26
	s_cselect_b32 s14, -1, 0
	s_and_not1_b32 s35, s35, exec_lo
	s_or_not1_b32 s14, s14, exec_lo
.LBB90_3:                               ;   in Loop: Header=BB90_4 Depth=1
	s_or_b32 exec_lo, exec_lo, s3
	s_delay_alu instid0(SALU_CYCLE_1) | instskip(NEXT) | instid1(SALU_CYCLE_1)
	s_and_b32 s3, exec_lo, s14
	s_or_b32 s33, s3, s33
	s_and_not1_b32 s3, s34, exec_lo
	s_and_b32 s14, s35, exec_lo
	s_delay_alu instid0(SALU_CYCLE_1)
	s_or_b32 s34, s3, s14
	s_and_not1_b32 exec_lo, exec_lo, s33
	s_cbranch_execz .LBB90_53
.LBB90_4:                               ; =>This Loop Header: Depth=1
                                        ;     Child Loop BB90_6 Depth 2
                                        ;     Child Loop BB90_14 Depth 2
                                        ;       Child Loop BB90_17 Depth 3
                                        ;         Child Loop BB90_18 Depth 4
                                        ;         Child Loop BB90_20 Depth 4
                                        ;           Child Loop BB90_21 Depth 5
                                        ;         Child Loop BB90_25 Depth 4
                                        ;           Child Loop BB90_27 Depth 5
                                        ;     Child Loop BB90_35 Depth 2
                                        ;       Child Loop BB90_38 Depth 3
                                        ;         Child Loop BB90_39 Depth 4
                                        ;         Child Loop BB90_42 Depth 4
                                        ;           Child Loop BB90_43 Depth 5
                                        ;         Child Loop BB90_47 Depth 4
                                        ;           Child Loop BB90_49 Depth 5
	s_mov_b32 s3, s15
	s_delay_alu instid0(SALU_CYCLE_1) | instskip(NEXT) | instid1(SALU_CYCLE_1)
	s_lshl_b64 s[18:19], s[2:3], 3
	s_add_nc_u64 s[20:21], s[8:9], s[18:19]
	global_load_b64 v[3:4], v8, s[20:21]
	s_and_saveexec_b32 s3, s0
	s_cbranch_execz .LBB90_10
; %bb.5:                                ;   in Loop: Header=BB90_4 Depth=1
	s_add_nc_u64 s[18:19], s[6:7], s[18:19]
	v_mov_b32_e32 v12, v7
	global_load_b64 v[5:6], v8, s[18:19]
	s_mov_b32 s14, s27
	s_wait_loadcnt 0x0
	v_add_co_u32 v5, vcc_lo, v5, s16
	s_wait_alu 0xfffd
	v_add_co_ci_u32_e64 v6, null, s17, v6, vcc_lo
	s_delay_alu instid0(VALU_DEP_2) | instskip(SKIP_1) | instid1(VALU_DEP_2)
	v_add_co_u32 v5, vcc_lo, v5, v0
	s_wait_alu 0xfffd
	v_add_co_ci_u32_e64 v6, null, 0, v6, vcc_lo
.LBB90_6:                               ;   Parent Loop BB90_4 Depth=1
                                        ; =>  This Inner Loop Header: Depth=2
	flat_load_b64 v[13:14], v[5:6]
	v_add_co_u32 v5, vcc_lo, v5, s12
	s_wait_alu 0xfffd
	v_add_co_ci_u32_e64 v6, null, s13, v6, vcc_lo
	s_add_co_i32 s14, s14, -1
	s_delay_alu instid0(SALU_CYCLE_1)
	s_cmp_eq_u32 s14, 0
	s_wait_loadcnt_dscnt 0x0
	ds_store_b64 v12, v[13:14]
	v_add_nc_u32_e32 v12, 0xa0, v12
	s_cbranch_scc0 .LBB90_6
; %bb.7:                                ;   in Loop: Header=BB90_4 Depth=1
	v_mov_b32_e32 v5, 0
	v_mov_b32_e32 v6, 0x3ff00000
	s_and_b32 vcc_lo, exec_lo, s29
	s_wait_alu 0xfffe
	s_cbranch_vccz .LBB90_9
; %bb.8:                                ;   in Loop: Header=BB90_4 Depth=1
	ds_load_b64 v[5:6], v11
	s_wait_dscnt 0x0
	v_div_scale_f64 v[12:13], null, v[5:6], v[5:6], 1.0
	s_delay_alu instid0(VALU_DEP_1) | instskip(NEXT) | instid1(TRANS32_DEP_1)
	v_rcp_f64_e32 v[14:15], v[12:13]
	v_fma_f64 v[16:17], -v[12:13], v[14:15], 1.0
	s_delay_alu instid0(VALU_DEP_1) | instskip(NEXT) | instid1(VALU_DEP_1)
	v_fma_f64 v[14:15], v[14:15], v[16:17], v[14:15]
	v_fma_f64 v[16:17], -v[12:13], v[14:15], 1.0
	s_delay_alu instid0(VALU_DEP_1) | instskip(SKIP_1) | instid1(VALU_DEP_1)
	v_fma_f64 v[14:15], v[14:15], v[16:17], v[14:15]
	v_div_scale_f64 v[16:17], vcc_lo, 1.0, v[5:6], 1.0
	v_mul_f64_e32 v[18:19], v[16:17], v[14:15]
	s_delay_alu instid0(VALU_DEP_1) | instskip(SKIP_1) | instid1(VALU_DEP_1)
	v_fma_f64 v[12:13], -v[12:13], v[18:19], v[16:17]
	s_wait_alu 0xfffd
	v_div_fmas_f64 v[12:13], v[12:13], v[14:15], v[18:19]
	s_delay_alu instid0(VALU_DEP_1)
	v_div_fixup_f64 v[5:6], v[12:13], v[5:6], 1.0
.LBB90_9:                               ;   in Loop: Header=BB90_4 Depth=1
	ds_store_b64 v11, v[5:6]
.LBB90_10:                              ;   in Loop: Header=BB90_4 Depth=1
	s_or_b32 exec_lo, exec_lo, s3
	s_mov_b32 s14, -1
	s_or_b32 s35, s35, exec_lo
	; wave barrier
	s_wait_loadcnt_dscnt 0x0
	global_inv scope:SCOPE_SE
	s_and_saveexec_b32 s3, s1
	s_cbranch_execz .LBB90_3
; %bb.11:                               ;   in Loop: Header=BB90_4 Depth=1
	v_add_co_u32 v5, vcc_lo, v3, s10
	s_wait_alu 0xfffd
	v_add_co_ci_u32_e64 v6, null, s11, v4, vcc_lo
	s_delay_alu instid0(VALU_DEP_2) | instskip(SKIP_1) | instid1(VALU_DEP_2)
	v_add_co_u32 v12, vcc_lo, v5, v1
	s_wait_alu 0xfffd
	v_add_co_ci_u32_e64 v13, null, v6, v2, vcc_lo
	s_and_not1_b32 vcc_lo, exec_lo, s30
	s_wait_alu 0xfffe
	s_cbranch_vccnz .LBB90_32
; %bb.12:                               ;   in Loop: Header=BB90_4 Depth=1
	v_add_co_u32 v14, vcc_lo, v3, v9
	s_wait_alu 0xfffd
	v_add_co_ci_u32_e64 v15, null, v4, v10, vcc_lo
	s_mov_b32 s14, 0
	s_mov_b32 s18, s28
	s_branch .LBB90_14
.LBB90_13:                              ;   in Loop: Header=BB90_14 Depth=2
	s_cmp_gt_i32 s18, -1
	s_cselect_b32 s19, -1, 0
	s_add_co_i32 s20, s14, 1
	s_cmp_lt_u32 s14, 2
	s_cselect_b32 s14, -1, 0
	s_delay_alu instid0(SALU_CYCLE_1) | instskip(NEXT) | instid1(SALU_CYCLE_1)
	s_and_b32 s14, s19, s14
	s_and_b32 vcc_lo, exec_lo, s14
	s_wait_alu 0xfffe
	s_mov_b32 s14, s20
	s_cbranch_vccz .LBB90_31
.LBB90_14:                              ;   Parent Loop BB90_4 Depth=1
                                        ; =>  This Loop Header: Depth=2
                                        ;       Child Loop BB90_17 Depth 3
                                        ;         Child Loop BB90_18 Depth 4
                                        ;         Child Loop BB90_20 Depth 4
                                        ;           Child Loop BB90_21 Depth 5
                                        ;         Child Loop BB90_25 Depth 4
                                        ;           Child Loop BB90_27 Depth 5
	s_getpc_b64 s[20:21]
	s_wait_alu 0xfffe
	s_sext_i32_i16 s21, s21
	s_add_co_u32 s20, s20, __const._ZL30rocblas_trsm_small_left_deviceILi20ELi20ELb1EddPKPKdPKPdEv13rocblas_fill_18rocblas_operation_17rocblas_diagonal_iiT3_T4_lilT5_lili.step_sizes@rel32@lo+12
	s_wait_alu 0xfffe
	s_add_co_ci_u32 s21, s21, __const._ZL30rocblas_trsm_small_left_deviceILi20ELi20ELb1EddPKPKdPKPdEv13rocblas_fill_18rocblas_operation_17rocblas_diagonal_iiT3_T4_lilT5_lili.step_sizes@rel32@hi+24
	s_lshl_b64 s[22:23], s[14:15], 2
	s_wait_alu 0xfffe
	s_add_nc_u64 s[20:21], s[20:21], s[22:23]
	s_load_b32 s24, s[20:21], 0x0
	s_wait_kmcnt 0x0
	s_add_co_i32 s25, s24, -1
	s_wait_alu 0xfffe
	s_cmp_lt_i32 s18, s25
	s_cbranch_scc1 .LBB90_13
; %bb.15:                               ;   in Loop: Header=BB90_14 Depth=2
	s_mul_i32 s19, s18, 0xa0
	s_max_i32 s36, s24, 1
	s_add_co_i32 s37, s31, s19
	s_mul_i32 s38, s24, 0xffffff60
	s_mul_i32 s39, s18, 0xa8
	;; [unrolled: 1-line block ×3, first 2 shown]
	s_branch .LBB90_17
.LBB90_16:                              ;   in Loop: Header=BB90_17 Depth=3
	s_sub_co_i32 s18, s18, s24
	s_add_co_i32 s37, s37, s38
	s_add_co_i32 s39, s39, s40
	s_cmp_lt_i32 s18, s25
	s_cbranch_scc1 .LBB90_13
.LBB90_17:                              ;   Parent Loop BB90_4 Depth=1
                                        ;     Parent Loop BB90_14 Depth=2
                                        ; =>    This Loop Header: Depth=3
                                        ;         Child Loop BB90_18 Depth 4
                                        ;         Child Loop BB90_20 Depth 4
                                        ;           Child Loop BB90_21 Depth 5
                                        ;         Child Loop BB90_25 Depth 4
                                        ;           Child Loop BB90_27 Depth 5
	s_ashr_i32 s19, s18, 31
	s_delay_alu instid0(SALU_CYCLE_1)
	s_lshl_b64 s[20:21], s[18:19], 3
	s_wait_alu 0xfffe
	v_add_co_u32 v5, vcc_lo, v14, s20
	s_wait_alu 0xfffd
	v_add_co_ci_u32_e64 v6, null, s21, v15, vcc_lo
	s_mov_b32 s20, 0
	s_mov_b32 s21, s36
.LBB90_18:                              ;   Parent Loop BB90_4 Depth=1
                                        ;     Parent Loop BB90_14 Depth=2
                                        ;       Parent Loop BB90_17 Depth=3
                                        ; =>      This Inner Loop Header: Depth=4
	flat_load_b64 v[16:17], v[5:6]
	v_add_co_u32 v5, vcc_lo, v5, -8
	s_wait_alu 0xfffd
	v_add_co_ci_u32_e64 v6, null, -1, v6, vcc_lo
	s_wait_alu 0xfffe
	s_add_co_i32 s21, s21, -1
	s_wait_loadcnt_dscnt 0x0
	v_mul_f64_e32 v[16:17], s[4:5], v[16:17]
	scratch_store_b64 off, v[16:17], s20
	s_add_co_i32 s20, s20, 8
	s_wait_alu 0xfffe
	s_cmp_eq_u32 s21, 0
	s_cbranch_scc0 .LBB90_18
; %bb.19:                               ;   in Loop: Header=BB90_17 Depth=3
	s_cmp_le_i32 s28, s18
	s_mov_b32 s22, s37
	s_mov_b32 s20, s28
	s_cbranch_scc1 .LBB90_23
.LBB90_20:                              ;   Parent Loop BB90_4 Depth=1
                                        ;     Parent Loop BB90_14 Depth=2
                                        ;       Parent Loop BB90_17 Depth=3
                                        ; =>      This Loop Header: Depth=4
                                        ;           Child Loop BB90_21 Depth 5
	s_wait_alu 0xfffe
	s_ashr_i32 s21, s20, 31
	s_mov_b32 s23, s22
	s_wait_alu 0xfffe
	s_lshl_b64 s[42:43], s[20:21], 3
	s_mov_b32 s21, 0
	s_wait_alu 0xfffe
	v_add_co_u32 v5, vcc_lo, v12, s42
	s_wait_alu 0xfffd
	v_add_co_ci_u32_e64 v6, null, s43, v13, vcc_lo
	s_mov_b32 s41, s36
	flat_load_b64 v[5:6], v[5:6]
.LBB90_21:                              ;   Parent Loop BB90_4 Depth=1
                                        ;     Parent Loop BB90_14 Depth=2
                                        ;       Parent Loop BB90_17 Depth=3
                                        ;         Parent Loop BB90_20 Depth=4
                                        ; =>        This Inner Loop Header: Depth=5
	scratch_load_b64 v[16:17], off, s21
	v_mov_b32_e32 v18, s23
	s_wait_alu 0xfffe
	s_add_co_i32 s41, s41, -1
	s_addk_co_i32 s23, 0xff60
	ds_load_b64 v[18:19], v18
	s_wait_loadcnt_dscnt 0x0
	v_fma_f64 v[16:17], -v[5:6], v[18:19], v[16:17]
	scratch_store_b64 off, v[16:17], s21
	s_add_co_i32 s21, s21, 8
	s_wait_alu 0xfffe
	s_cmp_eq_u32 s41, 0
	s_cbranch_scc0 .LBB90_21
; %bb.22:                               ;   in Loop: Header=BB90_20 Depth=4
	s_add_co_i32 s20, s20, -1
	s_add_co_i32 s22, s22, -8
	s_wait_alu 0xfffe
	s_cmp_le_i32 s20, s18
	s_cbranch_scc0 .LBB90_20
.LBB90_23:                              ;   in Loop: Header=BB90_17 Depth=3
	s_mov_b32 s41, 0
	s_mov_b32 s42, s39
	s_branch .LBB90_25
.LBB90_24:                              ;   in Loop: Header=BB90_25 Depth=4
	s_wait_alu 0xfffe
	s_mulk_i32 s22, 0xa8
	s_lshl_b64 s[20:21], s[20:21], 3
	s_wait_alu 0xfffe
	v_mov_b32_e32 v16, s22
	s_lshl_b32 s22, s41, 3
	s_add_co_i32 s41, s41, 1
	s_addk_co_i32 s42, 0xff60
	s_wait_alu 0xfffe
	s_cmp_eq_u32 s41, s36
	ds_load_b64 v[16:17], v16
	s_wait_loadcnt_dscnt 0x0
	v_mul_f64_e32 v[5:6], v[16:17], v[5:6]
	v_add_co_u32 v16, vcc_lo, v12, s20
	s_wait_alu 0xfffd
	v_add_co_ci_u32_e64 v17, null, s21, v13, vcc_lo
	scratch_store_b64 off, v[5:6], s22
	flat_store_b64 v[16:17], v[5:6]
	s_cbranch_scc1 .LBB90_16
.LBB90_25:                              ;   Parent Loop BB90_4 Depth=1
                                        ;     Parent Loop BB90_14 Depth=2
                                        ;       Parent Loop BB90_17 Depth=3
                                        ; =>      This Loop Header: Depth=4
                                        ;           Child Loop BB90_27 Depth 5
	s_wait_alu 0xfffe
	s_cmp_lg_u32 s41, 0
	s_cbranch_scc0 .LBB90_29
; %bb.26:                               ;   in Loop: Header=BB90_25 Depth=4
	s_lshl_b32 s20, s41, 3
	s_mov_b32 s21, 0
	scratch_load_b64 v[5:6], off, s20
	s_mov_b32 s22, s42
	s_mov_b32 s23, s41
.LBB90_27:                              ;   Parent Loop BB90_4 Depth=1
                                        ;     Parent Loop BB90_14 Depth=2
                                        ;       Parent Loop BB90_17 Depth=3
                                        ;         Parent Loop BB90_25 Depth=4
                                        ; =>        This Inner Loop Header: Depth=5
	scratch_load_b64 v[16:17], off, s21
	s_wait_alu 0xfffe
	v_mov_b32_e32 v18, s22
	s_add_co_i32 s23, s23, -1
	s_add_co_i32 s22, s22, -8
	s_add_co_i32 s21, s21, 8
	s_wait_alu 0xfffe
	s_cmp_eq_u32 s23, 0
	ds_load_b64 v[18:19], v18
	s_wait_loadcnt_dscnt 0x0
	v_fma_f64 v[5:6], -v[16:17], v[18:19], v[5:6]
	scratch_store_b64 off, v[5:6], s20
	s_cbranch_scc0 .LBB90_27
; %bb.28:                               ;   in Loop: Header=BB90_25 Depth=4
	s_sub_co_i32 s22, s18, s41
	s_wait_alu 0xfffe
	s_ashr_i32 s23, s22, 31
	s_wait_alu 0xfffe
	s_mov_b64 s[20:21], s[22:23]
	s_branch .LBB90_24
.LBB90_29:                              ;   in Loop: Header=BB90_25 Depth=4
                                        ; implicit-def: $vgpr5_vgpr6
                                        ; implicit-def: $sgpr22
                                        ; implicit-def: $sgpr20_sgpr21
	s_cbranch_execz .LBB90_24
; %bb.30:                               ;   in Loop: Header=BB90_25 Depth=4
	scratch_load_b64 v[5:6], off, off
	s_mov_b64 s[20:21], s[18:19]
	s_mov_b32 s22, s18
	s_branch .LBB90_24
.LBB90_31:                              ;   in Loop: Header=BB90_4 Depth=1
	s_mov_b32 s14, 0
.LBB90_32:                              ;   in Loop: Header=BB90_4 Depth=1
	s_delay_alu instid0(SALU_CYCLE_1)
	s_and_b32 vcc_lo, exec_lo, s14
	s_wait_alu 0xfffe
	s_cbranch_vccz .LBB90_2
; %bb.33:                               ;   in Loop: Header=BB90_4 Depth=1
	v_add_co_u32 v14, vcc_lo, v3, v9
	s_wait_alu 0xfffd
	v_add_co_ci_u32_e64 v15, null, v4, v10, vcc_lo
	s_mov_b32 s18, 0
	s_mov_b32 s20, 0
	s_branch .LBB90_35
.LBB90_34:                              ;   in Loop: Header=BB90_35 Depth=2
	s_cmp_lt_i32 s18, s27
	s_cselect_b32 s14, -1, 0
	s_add_co_i32 s19, s20, 1
	s_cmp_lt_u32 s20, 2
	s_cselect_b32 s20, -1, 0
	s_wait_alu 0xfffe
	s_and_b32 s14, s14, s20
	s_mov_b32 s20, s19
	s_and_not1_b32 vcc_lo, exec_lo, s14
	s_wait_alu 0xfffe
	s_cbranch_vccnz .LBB90_2
.LBB90_35:                              ;   Parent Loop BB90_4 Depth=1
                                        ; =>  This Loop Header: Depth=2
                                        ;       Child Loop BB90_38 Depth 3
                                        ;         Child Loop BB90_39 Depth 4
                                        ;         Child Loop BB90_42 Depth 4
                                        ;           Child Loop BB90_43 Depth 5
                                        ;         Child Loop BB90_47 Depth 4
                                        ;           Child Loop BB90_49 Depth 5
	s_mov_b32 s21, s15
	s_getpc_b64 s[22:23]
	s_wait_alu 0xfffe
	s_sext_i32_i16 s23, s23
	s_add_co_u32 s22, s22, __const._ZL30rocblas_trsm_small_left_deviceILi20ELi20ELb1EddPKPKdPKPdEv13rocblas_fill_18rocblas_operation_17rocblas_diagonal_iiT3_T4_lilT5_lili.step_sizes@rel32@lo+12
	s_wait_alu 0xfffe
	s_add_co_ci_u32 s23, s23, __const._ZL30rocblas_trsm_small_left_deviceILi20ELi20ELb1EddPKPKdPKPdEv13rocblas_fill_18rocblas_operation_17rocblas_diagonal_iiT3_T4_lilT5_lili.step_sizes@rel32@hi+24
	s_lshl_b64 s[24:25], s[20:21], 2
	s_wait_alu 0xfffe
	s_add_nc_u64 s[22:23], s[22:23], s[24:25]
	s_load_b32 s22, s[22:23], 0x0
	s_wait_kmcnt 0x0
	s_add_co_i32 s21, s22, -1
	s_wait_alu 0xfffe
	s_add_co_i32 s14, s21, s18
	s_delay_alu instid0(SALU_CYCLE_1)
	s_cmp_ge_i32 s14, s27
	s_cbranch_scc1 .LBB90_34
; %bb.36:                               ;   in Loop: Header=BB90_35 Depth=2
	s_ashr_i32 s19, s18, 31
	s_ashr_i32 s23, s22, 31
	s_lshl_b64 s[24:25], s[18:19], 3
	s_max_i32 s36, s22, 1
	s_wait_alu 0xfffe
	v_add_co_u32 v3, vcc_lo, v14, s24
	s_wait_alu 0xfffd
	v_add_co_ci_u32_e64 v4, null, s25, v15, vcc_lo
	s_lshl_b64 s[24:25], s[22:23], 3
	s_lshl_b32 s19, s18, 3
	s_lshl_b32 s23, s22, 3
	s_mul_i32 s37, s18, 0xa8
	s_mul_i32 s38, s22, 0xa8
	s_branch .LBB90_38
.LBB90_37:                              ;   in Loop: Header=BB90_38 Depth=3
	v_add_co_u32 v3, vcc_lo, v3, s24
	s_add_co_i32 s18, s18, s22
	s_wait_alu 0xfffd
	v_add_co_ci_u32_e64 v4, null, s25, v4, vcc_lo
	s_add_co_i32 s14, s21, s18
	s_add_co_i32 s19, s19, s23
	;; [unrolled: 1-line block ×3, first 2 shown]
	s_cmp_ge_i32 s14, s27
	s_cbranch_scc1 .LBB90_34
.LBB90_38:                              ;   Parent Loop BB90_4 Depth=1
                                        ;     Parent Loop BB90_35 Depth=2
                                        ; =>    This Loop Header: Depth=3
                                        ;         Child Loop BB90_39 Depth 4
                                        ;         Child Loop BB90_42 Depth 4
                                        ;           Child Loop BB90_43 Depth 5
                                        ;         Child Loop BB90_47 Depth 4
                                        ;           Child Loop BB90_49 Depth 5
	v_dual_mov_b32 v6, v4 :: v_dual_mov_b32 v5, v3
	s_mov_b32 s14, 0
	s_mov_b32 s39, s36
.LBB90_39:                              ;   Parent Loop BB90_4 Depth=1
                                        ;     Parent Loop BB90_35 Depth=2
                                        ;       Parent Loop BB90_38 Depth=3
                                        ; =>      This Inner Loop Header: Depth=4
	flat_load_b64 v[16:17], v[5:6]
	v_add_co_u32 v5, vcc_lo, v5, 8
	s_wait_alu 0xfffd
	v_add_co_ci_u32_e64 v6, null, 0, v6, vcc_lo
	s_add_co_i32 s39, s39, -1
	s_wait_loadcnt_dscnt 0x0
	v_mul_f64_e32 v[16:17], s[4:5], v[16:17]
	scratch_store_b64 off, v[16:17], s14
	s_add_co_i32 s14, s14, 8
	s_cmp_eq_u32 s39, 0
	s_cbranch_scc0 .LBB90_39
; %bb.40:                               ;   in Loop: Header=BB90_38 Depth=3
	s_cmp_lt_i32 s18, 1
	s_cbranch_scc1 .LBB90_45
; %bb.41:                               ;   in Loop: Header=BB90_38 Depth=3
	s_mov_b32 s14, 0
	s_mov_b32 s39, s19
.LBB90_42:                              ;   Parent Loop BB90_4 Depth=1
                                        ;     Parent Loop BB90_35 Depth=2
                                        ;       Parent Loop BB90_38 Depth=3
                                        ; =>      This Loop Header: Depth=4
                                        ;           Child Loop BB90_43 Depth 5
	s_lshl_b64 s[40:41], s[14:15], 3
	s_mov_b32 s42, s36
	s_wait_alu 0xfffe
	v_add_co_u32 v5, vcc_lo, v12, s40
	s_wait_alu 0xfffd
	v_add_co_ci_u32_e64 v6, null, s41, v13, vcc_lo
	s_mov_b32 s40, 0
	s_mov_b32 s41, s39
	flat_load_b64 v[5:6], v[5:6]
.LBB90_43:                              ;   Parent Loop BB90_4 Depth=1
                                        ;     Parent Loop BB90_35 Depth=2
                                        ;       Parent Loop BB90_38 Depth=3
                                        ;         Parent Loop BB90_42 Depth=4
                                        ; =>        This Inner Loop Header: Depth=5
	scratch_load_b64 v[16:17], off, s40
	s_wait_alu 0xfffe
	v_mov_b32_e32 v18, s41
	s_add_co_i32 s42, s42, -1
	s_add_co_i32 s41, s41, 8
	ds_load_b64 v[18:19], v18
	s_wait_loadcnt_dscnt 0x0
	v_fma_f64 v[16:17], -v[5:6], v[18:19], v[16:17]
	scratch_store_b64 off, v[16:17], s40
	s_add_co_i32 s40, s40, 8
	s_wait_alu 0xfffe
	s_cmp_eq_u32 s42, 0
	s_cbranch_scc0 .LBB90_43
; %bb.44:                               ;   in Loop: Header=BB90_42 Depth=4
	s_add_co_i32 s14, s14, 1
	s_addk_co_i32 s39, 0xa0
	s_cmp_eq_u32 s14, s18
	s_cbranch_scc0 .LBB90_42
.LBB90_45:                              ;   in Loop: Header=BB90_38 Depth=3
	s_mov_b32 s14, 0
	s_mov_b32 s39, s37
	s_branch .LBB90_47
.LBB90_46:                              ;   in Loop: Header=BB90_47 Depth=4
	s_add_co_i32 s40, s14, s18
	s_lshl_b32 s42, s14, 3
	s_wait_alu 0xfffe
	s_mul_i32 s41, s40, 0xa8
	s_add_co_i32 s14, s14, 1
	s_wait_alu 0xfffe
	v_mov_b32_e32 v16, s41
	s_ashr_i32 s41, s40, 31
	s_add_co_i32 s39, s39, 8
	s_wait_alu 0xfffe
	s_lshl_b64 s[40:41], s[40:41], 3
	s_cmp_eq_u32 s14, s36
	ds_load_b64 v[16:17], v16
	s_wait_loadcnt_dscnt 0x0
	v_mul_f64_e32 v[5:6], v[16:17], v[5:6]
	s_wait_alu 0xfffe
	v_add_co_u32 v16, vcc_lo, v12, s40
	s_wait_alu 0xfffd
	v_add_co_ci_u32_e64 v17, null, s41, v13, vcc_lo
	scratch_store_b64 off, v[5:6], s42
	flat_store_b64 v[16:17], v[5:6]
	s_cbranch_scc1 .LBB90_37
.LBB90_47:                              ;   Parent Loop BB90_4 Depth=1
                                        ;     Parent Loop BB90_35 Depth=2
                                        ;       Parent Loop BB90_38 Depth=3
                                        ; =>      This Loop Header: Depth=4
                                        ;           Child Loop BB90_49 Depth 5
	s_cmp_lg_u32 s14, 0
	s_cbranch_scc0 .LBB90_51
; %bb.48:                               ;   in Loop: Header=BB90_47 Depth=4
	s_lshl_b32 s40, s14, 3
	s_mov_b32 s41, 0
	scratch_load_b64 v[5:6], off, s40
	s_mov_b32 s42, s39
	s_mov_b32 s43, s14
.LBB90_49:                              ;   Parent Loop BB90_4 Depth=1
                                        ;     Parent Loop BB90_35 Depth=2
                                        ;       Parent Loop BB90_38 Depth=3
                                        ;         Parent Loop BB90_47 Depth=4
                                        ; =>        This Inner Loop Header: Depth=5
	scratch_load_b64 v[16:17], off, s41
	s_wait_alu 0xfffe
	v_mov_b32_e32 v18, s42
	s_add_co_i32 s43, s43, -1
	s_addk_co_i32 s42, 0xa0
	s_add_co_i32 s41, s41, 8
	s_wait_alu 0xfffe
	s_cmp_eq_u32 s43, 0
	ds_load_b64 v[18:19], v18
	s_wait_loadcnt_dscnt 0x0
	v_fma_f64 v[5:6], -v[16:17], v[18:19], v[5:6]
	scratch_store_b64 off, v[5:6], s40
	s_cbranch_scc0 .LBB90_49
; %bb.50:                               ;   in Loop: Header=BB90_47 Depth=4
	s_branch .LBB90_46
.LBB90_51:                              ;   in Loop: Header=BB90_47 Depth=4
                                        ; implicit-def: $vgpr5_vgpr6
	s_cbranch_execz .LBB90_46
; %bb.52:                               ;   in Loop: Header=BB90_47 Depth=4
	scratch_load_b64 v[5:6], off, off
	s_branch .LBB90_46
.LBB90_53:
	s_or_b32 exec_lo, exec_lo, s33
	s_and_saveexec_b32 s0, s34
	s_wait_alu 0xfffe
	s_xor_b32 s0, exec_lo, s0
.LBB90_54:
	s_endpgm
	.section	.rodata,"a",@progbits
	.p2align	6, 0x0
	.amdhsa_kernel _ZL30rocblas_trsm_small_left_deviceILi20ELi20ELb1EddPKPKdPKPdEv13rocblas_fill_18rocblas_operation_17rocblas_diagonal_iiT3_T4_lilT5_lili
		.amdhsa_group_segment_fixed_size 3200
		.amdhsa_private_segment_fixed_size 176
		.amdhsa_kernarg_size 360
		.amdhsa_user_sgpr_count 2
		.amdhsa_user_sgpr_dispatch_ptr 0
		.amdhsa_user_sgpr_queue_ptr 0
		.amdhsa_user_sgpr_kernarg_segment_ptr 1
		.amdhsa_user_sgpr_dispatch_id 0
		.amdhsa_user_sgpr_private_segment_size 0
		.amdhsa_wavefront_size32 1
		.amdhsa_uses_dynamic_stack 0
		.amdhsa_enable_private_segment 1
		.amdhsa_system_sgpr_workgroup_id_x 1
		.amdhsa_system_sgpr_workgroup_id_y 0
		.amdhsa_system_sgpr_workgroup_id_z 1
		.amdhsa_system_sgpr_workgroup_info 0
		.amdhsa_system_vgpr_workitem_id 0
		.amdhsa_next_free_vgpr 121
		.amdhsa_next_free_sgpr 44
		.amdhsa_reserve_vcc 1
		.amdhsa_float_round_mode_32 0
		.amdhsa_float_round_mode_16_64 0
		.amdhsa_float_denorm_mode_32 3
		.amdhsa_float_denorm_mode_16_64 3
		.amdhsa_fp16_overflow 0
		.amdhsa_workgroup_processor_mode 1
		.amdhsa_memory_ordered 1
		.amdhsa_forward_progress 1
		.amdhsa_inst_pref_size 19
		.amdhsa_round_robin_scheduling 0
		.amdhsa_exception_fp_ieee_invalid_op 0
		.amdhsa_exception_fp_denorm_src 0
		.amdhsa_exception_fp_ieee_div_zero 0
		.amdhsa_exception_fp_ieee_overflow 0
		.amdhsa_exception_fp_ieee_underflow 0
		.amdhsa_exception_fp_ieee_inexact 0
		.amdhsa_exception_int_div_zero 0
	.end_amdhsa_kernel
	.section	.text._ZL30rocblas_trsm_small_left_deviceILi20ELi20ELb1EddPKPKdPKPdEv13rocblas_fill_18rocblas_operation_17rocblas_diagonal_iiT3_T4_lilT5_lili,"axG",@progbits,_ZL30rocblas_trsm_small_left_deviceILi20ELi20ELb1EddPKPKdPKPdEv13rocblas_fill_18rocblas_operation_17rocblas_diagonal_iiT3_T4_lilT5_lili,comdat
.Lfunc_end90:
	.size	_ZL30rocblas_trsm_small_left_deviceILi20ELi20ELb1EddPKPKdPKPdEv13rocblas_fill_18rocblas_operation_17rocblas_diagonal_iiT3_T4_lilT5_lili, .Lfunc_end90-_ZL30rocblas_trsm_small_left_deviceILi20ELi20ELb1EddPKPKdPKPdEv13rocblas_fill_18rocblas_operation_17rocblas_diagonal_iiT3_T4_lilT5_lili
                                        ; -- End function
	.set _ZL30rocblas_trsm_small_left_deviceILi20ELi20ELb1EddPKPKdPKPdEv13rocblas_fill_18rocblas_operation_17rocblas_diagonal_iiT3_T4_lilT5_lili.num_vgpr, 20
	.set _ZL30rocblas_trsm_small_left_deviceILi20ELi20ELb1EddPKPKdPKPdEv13rocblas_fill_18rocblas_operation_17rocblas_diagonal_iiT3_T4_lilT5_lili.num_agpr, 0
	.set _ZL30rocblas_trsm_small_left_deviceILi20ELi20ELb1EddPKPKdPKPdEv13rocblas_fill_18rocblas_operation_17rocblas_diagonal_iiT3_T4_lilT5_lili.numbered_sgpr, 44
	.set _ZL30rocblas_trsm_small_left_deviceILi20ELi20ELb1EddPKPKdPKPdEv13rocblas_fill_18rocblas_operation_17rocblas_diagonal_iiT3_T4_lilT5_lili.num_named_barrier, 0
	.set _ZL30rocblas_trsm_small_left_deviceILi20ELi20ELb1EddPKPKdPKPdEv13rocblas_fill_18rocblas_operation_17rocblas_diagonal_iiT3_T4_lilT5_lili.private_seg_size, 176
	.set _ZL30rocblas_trsm_small_left_deviceILi20ELi20ELb1EddPKPKdPKPdEv13rocblas_fill_18rocblas_operation_17rocblas_diagonal_iiT3_T4_lilT5_lili.uses_vcc, 1
	.set _ZL30rocblas_trsm_small_left_deviceILi20ELi20ELb1EddPKPKdPKPdEv13rocblas_fill_18rocblas_operation_17rocblas_diagonal_iiT3_T4_lilT5_lili.uses_flat_scratch, 0
	.set _ZL30rocblas_trsm_small_left_deviceILi20ELi20ELb1EddPKPKdPKPdEv13rocblas_fill_18rocblas_operation_17rocblas_diagonal_iiT3_T4_lilT5_lili.has_dyn_sized_stack, 0
	.set _ZL30rocblas_trsm_small_left_deviceILi20ELi20ELb1EddPKPKdPKPdEv13rocblas_fill_18rocblas_operation_17rocblas_diagonal_iiT3_T4_lilT5_lili.has_recursion, 0
	.set _ZL30rocblas_trsm_small_left_deviceILi20ELi20ELb1EddPKPKdPKPdEv13rocblas_fill_18rocblas_operation_17rocblas_diagonal_iiT3_T4_lilT5_lili.has_indirect_call, 0
	.section	.AMDGPU.csdata,"",@progbits
; Kernel info:
; codeLenInByte = 2372
; TotalNumSgprs: 46
; NumVgprs: 20
; ScratchSize: 176
; MemoryBound: 0
; FloatMode: 240
; IeeeMode: 1
; LDSByteSize: 3200 bytes/workgroup (compile time only)
; SGPRBlocks: 0
; VGPRBlocks: 15
; NumSGPRsForWavesPerEU: 46
; NumVGPRsForWavesPerEU: 121
; Occupancy: 10
; WaveLimiterHint : 1
; COMPUTE_PGM_RSRC2:SCRATCH_EN: 1
; COMPUTE_PGM_RSRC2:USER_SGPR: 2
; COMPUTE_PGM_RSRC2:TRAP_HANDLER: 0
; COMPUTE_PGM_RSRC2:TGID_X_EN: 1
; COMPUTE_PGM_RSRC2:TGID_Y_EN: 0
; COMPUTE_PGM_RSRC2:TGID_Z_EN: 1
; COMPUTE_PGM_RSRC2:TIDIG_COMP_CNT: 0
	.section	.text._ZL31rocblas_trsm_small_right_deviceIddPKPKdPKPdLi20EEv13rocblas_fill_18rocblas_operation_17rocblas_diagonal_iiT0_T1_lilT2_lili,"axG",@progbits,_ZL31rocblas_trsm_small_right_deviceIddPKPKdPKPdLi20EEv13rocblas_fill_18rocblas_operation_17rocblas_diagonal_iiT0_T1_lilT2_lili,comdat
	.globl	_ZL31rocblas_trsm_small_right_deviceIddPKPKdPKPdLi20EEv13rocblas_fill_18rocblas_operation_17rocblas_diagonal_iiT0_T1_lilT2_lili ; -- Begin function _ZL31rocblas_trsm_small_right_deviceIddPKPKdPKPdLi20EEv13rocblas_fill_18rocblas_operation_17rocblas_diagonal_iiT0_T1_lilT2_lili
	.p2align	8
	.type	_ZL31rocblas_trsm_small_right_deviceIddPKPKdPKPdLi20EEv13rocblas_fill_18rocblas_operation_17rocblas_diagonal_iiT0_T1_lilT2_lili,@function
_ZL31rocblas_trsm_small_right_deviceIddPKPKdPKPdLi20EEv13rocblas_fill_18rocblas_operation_17rocblas_diagonal_iiT0_T1_lilT2_lili: ; @_ZL31rocblas_trsm_small_right_deviceIddPKPKdPKPdLi20EEv13rocblas_fill_18rocblas_operation_17rocblas_diagonal_iiT0_T1_lilT2_lili
; %bb.0:
	s_load_b32 s22, s[0:1], 0x60
	s_lshr_b32 s2, ttmp7, 16
	s_wait_kmcnt 0x0
	s_cmp_ge_u32 s2, s22
	s_cbranch_scc1 .LBB91_82
; %bb.1:
	s_clause 0x6
	s_load_b96 s[16:18], s[0:1], 0x28
	s_load_b32 s30, s[0:1], 0x50
	s_load_b128 s[12:15], s[0:1], 0x0
	s_load_b32 s23, s[0:1], 0x10
	s_load_b32 s3, s[0:1], 0x68
	s_load_b128 s[4:7], s[0:1], 0x18
	s_load_b128 s[8:11], s[0:1], 0x40
	s_mul_i32 s0, ttmp9, 0xffffffec
	v_dual_mov_b32 v8, 0 :: v_dual_lshlrev_b32 v13, 3, v0
	v_mul_u32_u24_e32 v1, 0xa0, v0
	v_lshlrev_b32_e32 v17, 3, v0
	v_mov_b32_e32 v9, 0x3ff00000
	s_delay_alu instid0(VALU_DEP_4)
	v_add_nc_u32_e32 v10, 0xc80, v13
	s_mov_b32 s20, ttmp9
	v_add_nc_u32_e32 v16, v13, v1
	s_wait_kmcnt 0x0
	s_ashr_i32 s19, s18, 31
	s_ashr_i32 s31, s30, 31
	s_cmp_lg_u32 s12, 0x7a
	s_cselect_b32 s26, -1, 0
	s_min_i32 s1, s23, 20
	s_add_co_i32 s3, s3, -1
	s_add_co_i32 s0, s15, s0
	s_add_co_i32 s24, s1, -1
	s_cmp_ge_u32 ttmp9, s3
	s_mul_i32 s33, s1, 0xa0
	s_cselect_b32 s15, s0, 20
	s_ashr_i32 s21, ttmp9, 31
	s_cmp_eq_u32 s14, 0x84
	v_cmp_gt_i32_e32 vcc_lo, s15, v0
	s_cselect_b32 s25, -1, 0
	s_cmp_gt_i32 s23, 0
	v_cmp_gt_i32_e64 s0, s1, v0
	s_cselect_b32 s14, -1, 0
	s_cmp_lg_u32 s13, 0x6f
	v_add3_u32 v15, s33, v13, 0xbe0
	s_cselect_b32 s13, -1, 0
	s_cmp_lg_u32 s12, 0x79
	s_mul_i32 s34, s1, 0xa8
	s_cselect_b32 s12, -1, 0
	s_or_b32 s26, s26, s13
	s_or_b32 s27, s12, s13
	s_cmp_gt_i32 s23, 3
	v_cndmask_b32_e64 v14, 0, 1, s12
	s_cselect_b32 s28, -1, 0
	s_lshl_b32 s36, s1, 3
	s_mov_b32 s3, 0
	s_mul_u64 s[12:13], s[20:21], 0xa0
	s_wait_alu 0xfffe
	s_and_b32 s29, vcc_lo, s14
	s_lshl_b64 s[14:15], s[18:19], 3
	s_lshl_b64 s[18:19], s[30:31], 3
	s_add_co_i32 s30, s34, 0xffffff40
	s_add_co_i32 s31, s33, 0xffffff60
	s_addk_co_i32 s33, 0xff58
	s_addk_co_i32 s34, 0xfd78
	s_add_co_i32 s35, s36, -8
	s_addk_co_i32 s36, 0xff58
	s_lshl_b64 s[16:17], s[16:17], 3
	s_lshl_b64 s[10:11], s[10:11], 3
	s_branch .LBB91_3
.LBB91_2:                               ;   in Loop: Header=BB91_3 Depth=1
	s_wait_alu 0xfffe
	s_or_b32 exec_lo, exec_lo, s20
	s_add_co_i32 s2, s2, 0x10000
	s_delay_alu instid0(SALU_CYCLE_1)
	s_cmp_lt_u32 s2, s22
	s_cbranch_scc0 .LBB91_82
.LBB91_3:                               ; =>This Loop Header: Depth=1
                                        ;     Child Loop BB91_5 Depth 2
                                        ;     Child Loop BB91_10 Depth 2
	;; [unrolled: 1-line block ×3, first 2 shown]
                                        ;       Child Loop BB91_17 Depth 3
                                        ;     Child Loop BB91_23 Depth 2
                                        ;       Child Loop BB91_24 Depth 3
                                        ;     Child Loop BB91_28 Depth 2
	;; [unrolled: 2-line block ×3, first 2 shown]
                                        ;     Child Loop BB91_42 Depth 2
                                        ;       Child Loop BB91_43 Depth 3
                                        ;       Child Loop BB91_45 Depth 3
                                        ;     Child Loop BB91_49 Depth 2
                                        ;       Child Loop BB91_50 Depth 3
                                        ;     Child Loop BB91_57 Depth 2
                                        ;     Child Loop BB91_62 Depth 2
                                        ;       Child Loop BB91_63 Depth 3
                                        ;       Child Loop BB91_65 Depth 3
                                        ;     Child Loop BB91_70 Depth 2
                                        ;       Child Loop BB91_71 Depth 3
                                        ;     Child Loop BB91_77 Depth 2
                                        ;       Child Loop BB91_78 Depth 3
                                        ;     Child Loop BB91_81 Depth 2
	s_lshl_b64 s[20:21], s[2:3], 3
	s_wait_alu 0xfffe
	s_add_nc_u64 s[38:39], s[8:9], s[20:21]
	global_load_b64 v[0:1], v8, s[38:39]
	s_and_saveexec_b32 s37, s0
	s_cbranch_execz .LBB91_8
; %bb.4:                                ;   in Loop: Header=BB91_3 Depth=1
	s_add_nc_u64 s[20:21], s[6:7], s[20:21]
	v_mov_b32_e32 v4, v13
	global_load_b64 v[2:3], v8, s[20:21]
	s_mov_b32 s20, s1
	s_wait_loadcnt 0x0
	v_add_co_u32 v2, vcc_lo, v2, s16
	s_wait_alu 0xfffd
	v_add_co_ci_u32_e64 v3, null, s17, v3, vcc_lo
	s_delay_alu instid0(VALU_DEP_2) | instskip(SKIP_1) | instid1(VALU_DEP_2)
	v_add_co_u32 v2, vcc_lo, v2, v17
	s_wait_alu 0xfffd
	v_add_co_ci_u32_e64 v3, null, 0, v3, vcc_lo
.LBB91_5:                               ;   Parent Loop BB91_3 Depth=1
                                        ; =>  This Inner Loop Header: Depth=2
	flat_load_b64 v[5:6], v[2:3]
	s_wait_alu 0xfffe
	v_add_co_u32 v2, vcc_lo, v2, s14
	s_wait_alu 0xfffd
	v_add_co_ci_u32_e64 v3, null, s15, v3, vcc_lo
	s_add_co_i32 s20, s20, -1
	s_wait_alu 0xfffe
	s_cmp_eq_u32 s20, 0
	s_wait_loadcnt_dscnt 0x0
	ds_store_b64 v4, v[5:6]
	v_add_nc_u32_e32 v4, 0xa0, v4
	s_cbranch_scc0 .LBB91_5
; %bb.6:                                ;   in Loop: Header=BB91_3 Depth=1
	s_and_b32 vcc_lo, exec_lo, s25
	s_wait_alu 0xfffe
	s_cbranch_vccz .LBB91_8
; %bb.7:                                ;   in Loop: Header=BB91_3 Depth=1
	ds_store_b64 v16, v[8:9]
.LBB91_8:                               ;   in Loop: Header=BB91_3 Depth=1
	s_wait_alu 0xfffe
	s_or_b32 exec_lo, exec_lo, s37
	s_wait_loadcnt 0x0
	v_add_co_u32 v0, vcc_lo, v0, s10
	s_wait_alu 0xfffd
	v_add_co_ci_u32_e64 v1, null, s11, v1, vcc_lo
	s_delay_alu instid0(VALU_DEP_2) | instskip(SKIP_1) | instid1(VALU_DEP_2)
	v_add_co_u32 v18, vcc_lo, v0, s12
	s_wait_alu 0xfffd
	v_add_co_ci_u32_e64 v19, null, s13, v1, vcc_lo
	s_and_saveexec_b32 s20, s29
	s_cbranch_execz .LBB91_11
; %bb.9:                                ;   in Loop: Header=BB91_3 Depth=1
	v_add_co_u32 v0, vcc_lo, v18, v17
	s_wait_alu 0xfffd
	v_add_co_ci_u32_e64 v1, null, 0, v19, vcc_lo
	v_mov_b32_e32 v2, v10
	s_mov_b32 s21, s23
.LBB91_10:                              ;   Parent Loop BB91_3 Depth=1
                                        ; =>  This Inner Loop Header: Depth=2
	flat_load_b64 v[3:4], v[0:1]
	v_add_co_u32 v0, vcc_lo, v0, s18
	s_wait_alu 0xfffd
	v_add_co_ci_u32_e64 v1, null, s19, v1, vcc_lo
	s_wait_alu 0xfffe
	s_add_co_i32 s21, s21, -1
	s_wait_alu 0xfffe
	s_cmp_lg_u32 s21, 0
	s_wait_loadcnt_dscnt 0x0
	v_mul_f64_e32 v[3:4], s[4:5], v[3:4]
	ds_store_b64 v2, v[3:4]
	v_add_nc_u32_e32 v2, 0xa0, v2
	s_cbranch_scc1 .LBB91_10
.LBB91_11:                              ;   in Loop: Header=BB91_3 Depth=1
	s_wait_alu 0xfffe
	s_or_b32 exec_lo, exec_lo, s20
	s_delay_alu instid0(SALU_CYCLE_1)
	s_and_b32 vcc_lo, exec_lo, s27
	s_mov_b32 s20, -1
	s_wait_dscnt 0x0
	; wave barrier
	global_inv scope:SCOPE_SE
	s_wait_alu 0xfffe
	s_cbranch_vccz .LBB91_67
; %bb.12:                               ;   in Loop: Header=BB91_3 Depth=1
	s_and_b32 vcc_lo, exec_lo, s26
	s_wait_alu 0xfffe
	s_cbranch_vccz .LBB91_47
; %bb.13:                               ;   in Loop: Header=BB91_3 Depth=1
	v_cmp_ne_u32_e32 vcc_lo, 1, v14
	s_cbranch_vccnz .LBB91_26
; %bb.14:                               ;   in Loop: Header=BB91_3 Depth=1
	s_and_not1_b32 vcc_lo, exec_lo, s28
	s_mov_b32 s37, 0
	s_wait_alu 0xfffe
	s_cbranch_vccnz .LBB91_20
; %bb.15:                               ;   in Loop: Header=BB91_3 Depth=1
	s_mov_b32 s20, 0
	s_mov_b32 s21, 0
.LBB91_16:                              ;   Parent Loop BB91_3 Depth=1
                                        ; =>  This Loop Header: Depth=2
                                        ;       Child Loop BB91_17 Depth 3
	s_wait_alu 0xfffe
	v_mad_co_u64_u32 v[4:5], null, 0xa0, s21, v[10:11]
	s_or_b32 s37, s21, 3
	s_cmp_eq_u32 s21, 0
	s_wait_alu 0xfffe
	s_mulk_i32 s37, 0xa0
	s_wait_alu 0xfffe
	v_dual_mov_b32 v20, v10 :: v_dual_add_nc_u32 v7, s37, v10
	s_mov_b32 s37, s20
	ds_load_2addr_b64 v[0:3], v4 offset1:20
	ds_load_b64 v[11:12], v4 offset:320
	ds_load_b64 v[5:6], v7
	s_mov_b32 s38, s21
	s_cbranch_scc1 .LBB91_18
.LBB91_17:                              ;   Parent Loop BB91_3 Depth=1
                                        ;     Parent Loop BB91_16 Depth=2
                                        ; =>    This Inner Loop Header: Depth=3
	s_wait_alu 0xfffe
	v_mov_b32_e32 v25, s37
	s_add_co_i32 s38, s38, -1
	s_addk_co_i32 s37, 0xa0
	s_wait_alu 0xfffe
	s_cmp_eq_u32 s38, 0
	ds_load_b64 v[29:30], v20
	ds_load_b128 v[21:24], v25
	ds_load_b128 v[25:28], v25 offset:16
	v_add_nc_u32_e32 v20, 0xa0, v20
	s_wait_dscnt 0x1
	v_fma_f64 v[0:1], -v[29:30], v[21:22], v[0:1]
	v_fma_f64 v[2:3], -v[29:30], v[23:24], v[2:3]
	s_wait_dscnt 0x0
	v_fma_f64 v[11:12], -v[29:30], v[25:26], v[11:12]
	v_fma_f64 v[5:6], -v[29:30], v[27:28], v[5:6]
	s_cbranch_scc0 .LBB91_17
.LBB91_18:                              ;   in Loop: Header=BB91_16 Depth=2
	s_lshl_b32 s37, s21, 3
	s_mul_i32 s38, s21, 0xa0
	s_wait_alu 0xfffe
	s_or_b32 s39, s37, 8
	s_add_co_i32 s38, s37, s38
	s_add_co_i32 s20, s20, 32
	s_wait_alu 0xfffe
	v_mov_b32_e32 v40, s38
	s_addk_co_i32 s38, 0xa8
	ds_load_b128 v[20:23], v40
	ds_load_b128 v[24:27], v40 offset:16
	s_wait_alu 0xfffe
	s_sub_co_i32 s38, s38, s39
	s_wait_alu 0xfffe
	s_add_co_i32 s37, s38, s37
	s_wait_dscnt 0x1
	v_div_scale_f64 v[28:29], null, v[20:21], v[20:21], v[0:1]
	v_div_scale_f64 v[34:35], vcc_lo, v[0:1], v[20:21], v[0:1]
	s_delay_alu instid0(VALU_DEP_2) | instskip(NEXT) | instid1(TRANS32_DEP_1)
	v_rcp_f64_e32 v[30:31], v[28:29]
	v_fma_f64 v[32:33], -v[28:29], v[30:31], 1.0
	s_delay_alu instid0(VALU_DEP_1) | instskip(NEXT) | instid1(VALU_DEP_1)
	v_fma_f64 v[30:31], v[30:31], v[32:33], v[30:31]
	v_fma_f64 v[32:33], -v[28:29], v[30:31], 1.0
	s_delay_alu instid0(VALU_DEP_1) | instskip(NEXT) | instid1(VALU_DEP_1)
	v_fma_f64 v[30:31], v[30:31], v[32:33], v[30:31]
	v_mul_f64_e32 v[32:33], v[34:35], v[30:31]
	s_delay_alu instid0(VALU_DEP_1) | instskip(SKIP_1) | instid1(VALU_DEP_1)
	v_fma_f64 v[28:29], -v[28:29], v[32:33], v[34:35]
	s_wait_alu 0xfffd
	v_div_fmas_f64 v[28:29], v[28:29], v[30:31], v[32:33]
	s_delay_alu instid0(VALU_DEP_1) | instskip(NEXT) | instid1(VALU_DEP_1)
	v_div_fixup_f64 v[28:29], v[28:29], v[20:21], v[0:1]
	v_fma_f64 v[30:31], -v[28:29], v[22:23], v[2:3]
	ds_load_2addr_b64 v[0:3], v40 offset0:21 offset1:22
	ds_load_b128 v[20:23], v40 offset:336
	s_wait_dscnt 0x2
	v_fma_f64 v[11:12], -v[28:29], v[24:25], v[11:12]
	v_fma_f64 v[5:6], -v[28:29], v[26:27], v[5:6]
	s_wait_dscnt 0x1
	v_div_scale_f64 v[32:33], null, v[0:1], v[0:1], v[30:31]
	v_div_scale_f64 v[38:39], vcc_lo, v[30:31], v[0:1], v[30:31]
	s_delay_alu instid0(VALU_DEP_2) | instskip(NEXT) | instid1(TRANS32_DEP_1)
	v_rcp_f64_e32 v[34:35], v[32:33]
	v_fma_f64 v[36:37], -v[32:33], v[34:35], 1.0
	s_delay_alu instid0(VALU_DEP_1) | instskip(NEXT) | instid1(VALU_DEP_1)
	v_fma_f64 v[34:35], v[34:35], v[36:37], v[34:35]
	v_fma_f64 v[36:37], -v[32:33], v[34:35], 1.0
	s_delay_alu instid0(VALU_DEP_1) | instskip(NEXT) | instid1(VALU_DEP_1)
	v_fma_f64 v[34:35], v[34:35], v[36:37], v[34:35]
	v_mul_f64_e32 v[36:37], v[38:39], v[34:35]
	s_delay_alu instid0(VALU_DEP_1) | instskip(SKIP_1) | instid1(VALU_DEP_1)
	v_fma_f64 v[32:33], -v[32:33], v[36:37], v[38:39]
	s_wait_alu 0xfffd
	v_div_fmas_f64 v[32:33], v[32:33], v[34:35], v[36:37]
	s_delay_alu instid0(VALU_DEP_1) | instskip(NEXT) | instid1(VALU_DEP_1)
	v_div_fixup_f64 v[0:1], v[32:33], v[0:1], v[30:31]
	v_fma_f64 v[2:3], -v[0:1], v[2:3], v[11:12]
	s_wait_dscnt 0x0
	s_delay_alu instid0(VALU_DEP_1) | instskip(SKIP_1) | instid1(VALU_DEP_2)
	v_div_scale_f64 v[11:12], null, v[20:21], v[20:21], v[2:3]
	v_div_scale_f64 v[32:33], vcc_lo, v[2:3], v[20:21], v[2:3]
	v_rcp_f64_e32 v[24:25], v[11:12]
	s_delay_alu instid0(TRANS32_DEP_1) | instskip(NEXT) | instid1(VALU_DEP_1)
	v_fma_f64 v[30:31], -v[11:12], v[24:25], 1.0
	v_fma_f64 v[24:25], v[24:25], v[30:31], v[24:25]
	s_delay_alu instid0(VALU_DEP_1) | instskip(NEXT) | instid1(VALU_DEP_1)
	v_fma_f64 v[30:31], -v[11:12], v[24:25], 1.0
	v_fma_f64 v[24:25], v[24:25], v[30:31], v[24:25]
	s_delay_alu instid0(VALU_DEP_1) | instskip(NEXT) | instid1(VALU_DEP_1)
	v_mul_f64_e32 v[30:31], v[32:33], v[24:25]
	v_fma_f64 v[11:12], -v[11:12], v[30:31], v[32:33]
	s_wait_alu 0xfffd
	s_delay_alu instid0(VALU_DEP_1)
	v_div_fmas_f64 v[11:12], v[11:12], v[24:25], v[30:31]
	s_wait_alu 0xfffe
	v_mov_b32_e32 v24, s37
	s_add_co_i32 s37, s21, 4
	s_add_co_i32 s21, s21, 7
	ds_load_b64 v[24:25], v24 offset:24
	ds_load_b64 v[26:27], v40 offset:504
	s_wait_alu 0xfffe
	s_cmp_ge_i32 s21, s1
	ds_store_2addr_b64 v4, v[28:29], v[0:1] offset1:20
	s_wait_dscnt 0x2
	v_fma_f64 v[5:6], -v[0:1], v[24:25], v[5:6]
	v_div_fixup_f64 v[2:3], v[11:12], v[20:21], v[2:3]
	s_delay_alu instid0(VALU_DEP_1) | instskip(SKIP_1) | instid1(VALU_DEP_1)
	v_fma_f64 v[5:6], -v[2:3], v[22:23], v[5:6]
	s_wait_dscnt 0x1
	v_div_scale_f64 v[11:12], null, v[26:27], v[26:27], v[5:6]
	s_delay_alu instid0(VALU_DEP_1) | instskip(NEXT) | instid1(TRANS32_DEP_1)
	v_rcp_f64_e32 v[20:21], v[11:12]
	v_fma_f64 v[22:23], -v[11:12], v[20:21], 1.0
	s_delay_alu instid0(VALU_DEP_1) | instskip(NEXT) | instid1(VALU_DEP_1)
	v_fma_f64 v[20:21], v[20:21], v[22:23], v[20:21]
	v_fma_f64 v[22:23], -v[11:12], v[20:21], 1.0
	s_delay_alu instid0(VALU_DEP_1) | instskip(SKIP_1) | instid1(VALU_DEP_1)
	v_fma_f64 v[20:21], v[20:21], v[22:23], v[20:21]
	v_div_scale_f64 v[22:23], vcc_lo, v[5:6], v[26:27], v[5:6]
	v_mul_f64_e32 v[24:25], v[22:23], v[20:21]
	s_delay_alu instid0(VALU_DEP_1) | instskip(SKIP_1) | instid1(VALU_DEP_1)
	v_fma_f64 v[11:12], -v[11:12], v[24:25], v[22:23]
	s_wait_alu 0xfffd
	v_div_fmas_f64 v[11:12], v[11:12], v[20:21], v[24:25]
	s_delay_alu instid0(VALU_DEP_1)
	v_div_fixup_f64 v[5:6], v[11:12], v[26:27], v[5:6]
	ds_store_b64 v4, v[2:3] offset:320
	ds_store_b64 v7, v[5:6]
	s_cbranch_scc1 .LBB91_20
; %bb.19:                               ;   in Loop: Header=BB91_16 Depth=2
	s_mov_b32 s21, s37
	s_branch .LBB91_16
.LBB91_20:                              ;   in Loop: Header=BB91_3 Depth=1
	s_cmp_ge_i32 s37, s1
	s_cbranch_scc1 .LBB91_25
; %bb.21:                               ;   in Loop: Header=BB91_3 Depth=1
	s_lshl_b32 s20, s37, 3
	s_branch .LBB91_23
.LBB91_22:                              ;   in Loop: Header=BB91_23 Depth=2
	s_lshl_b32 s38, s37, 3
	s_add_co_i32 s37, s37, 1
	s_wait_alu 0xfffe
	s_add_co_i32 s21, s38, s21
	s_add_co_i32 s20, s20, 8
	s_wait_alu 0xfffe
	v_mov_b32_e32 v3, s21
	s_cmp_ge_i32 s37, s1
	ds_load_b64 v[3:4], v3
	s_wait_dscnt 0x0
	v_div_scale_f64 v[5:6], null, v[3:4], v[3:4], v[0:1]
	s_delay_alu instid0(VALU_DEP_1) | instskip(NEXT) | instid1(TRANS32_DEP_1)
	v_rcp_f64_e32 v[11:12], v[5:6]
	v_fma_f64 v[20:21], -v[5:6], v[11:12], 1.0
	s_delay_alu instid0(VALU_DEP_1) | instskip(NEXT) | instid1(VALU_DEP_1)
	v_fma_f64 v[11:12], v[11:12], v[20:21], v[11:12]
	v_fma_f64 v[20:21], -v[5:6], v[11:12], 1.0
	s_delay_alu instid0(VALU_DEP_1) | instskip(SKIP_1) | instid1(VALU_DEP_1)
	v_fma_f64 v[11:12], v[11:12], v[20:21], v[11:12]
	v_div_scale_f64 v[20:21], vcc_lo, v[0:1], v[3:4], v[0:1]
	v_mul_f64_e32 v[22:23], v[20:21], v[11:12]
	s_delay_alu instid0(VALU_DEP_1) | instskip(SKIP_1) | instid1(VALU_DEP_1)
	v_fma_f64 v[5:6], -v[5:6], v[22:23], v[20:21]
	s_wait_alu 0xfffd
	v_div_fmas_f64 v[5:6], v[5:6], v[11:12], v[22:23]
	s_delay_alu instid0(VALU_DEP_1)
	v_div_fixup_f64 v[0:1], v[5:6], v[3:4], v[0:1]
	ds_store_b64 v2, v[0:1]
	s_cbranch_scc1 .LBB91_25
.LBB91_23:                              ;   Parent Loop BB91_3 Depth=1
                                        ; =>  This Loop Header: Depth=2
                                        ;       Child Loop BB91_24 Depth 3
	s_mul_i32 s21, s37, 0xa0
	s_cmp_eq_u32 s37, 0
	s_wait_alu 0xfffe
	v_dual_mov_b32 v3, v10 :: v_dual_add_nc_u32 v2, s21, v10
	s_mov_b32 s38, s20
	s_mov_b32 s39, s37
	ds_load_b64 v[0:1], v2
	s_cbranch_scc1 .LBB91_22
.LBB91_24:                              ;   Parent Loop BB91_3 Depth=1
                                        ;     Parent Loop BB91_23 Depth=2
                                        ; =>    This Inner Loop Header: Depth=3
	s_wait_alu 0xfffe
	v_mov_b32_e32 v6, s38
	s_add_co_i32 s39, s39, -1
	s_addk_co_i32 s38, 0xa0
	s_wait_alu 0xfffe
	s_cmp_eq_u32 s39, 0
	ds_load_b64 v[4:5], v3
	ds_load_b64 v[6:7], v6
	v_add_nc_u32_e32 v3, 0xa0, v3
	s_wait_dscnt 0x0
	v_fma_f64 v[0:1], -v[4:5], v[6:7], v[0:1]
	s_cbranch_scc0 .LBB91_24
	s_branch .LBB91_22
.LBB91_25:                              ;   in Loop: Header=BB91_3 Depth=1
	s_mov_b32 s20, 0
.LBB91_26:                              ;   in Loop: Header=BB91_3 Depth=1
	s_wait_alu 0xfffe
	s_and_b32 vcc_lo, exec_lo, s20
	s_wait_alu 0xfffe
	s_cbranch_vccz .LBB91_46
; %bb.27:                               ;   in Loop: Header=BB91_3 Depth=1
	s_mov_b32 s37, s24
	s_and_not1_b32 vcc_lo, exec_lo, s28
	s_mov_b32 s20, s30
	s_mov_b32 s21, s24
	s_wait_alu 0xfffe
	s_cbranch_vccnz .LBB91_33
.LBB91_28:                              ;   Parent Loop BB91_3 Depth=1
                                        ; =>  This Loop Header: Depth=2
                                        ;       Child Loop BB91_29 Depth 3
	s_wait_alu 0xfffe
	s_mul_i32 s38, s21, 0xa0
	s_mov_b32 s39, s20
	s_wait_alu 0xfffe
	v_dual_mov_b32 v22, v15 :: v_dual_add_nc_u32 v11, s38, v10
	s_add_co_i32 s37, s38, 0xfffffe20
	s_cmp_le_i32 s24, s21
	s_wait_alu 0xfffe
	v_add_nc_u32_e32 v21, s37, v10
	v_add_nc_u32_e32 v12, 0xffffff60, v11
	;; [unrolled: 1-line block ×3, first 2 shown]
	s_mov_b32 s40, s24
	ds_load_b64 v[6:7], v11
	ds_load_b64 v[4:5], v12
	;; [unrolled: 1-line block ×4, first 2 shown]
	s_cbranch_scc1 .LBB91_30
.LBB91_29:                              ;   Parent Loop BB91_3 Depth=1
                                        ;     Parent Loop BB91_28 Depth=2
                                        ; =>    This Inner Loop Header: Depth=3
	s_wait_alu 0xfffe
	v_mov_b32_e32 v27, s39
	s_add_co_i32 s40, s40, -1
	s_addk_co_i32 s39, 0xff60
	s_wait_alu 0xfffe
	s_cmp_le_i32 s40, s21
	ds_load_b64 v[31:32], v22
	ds_load_2addr_b64 v[23:26], v27 offset0:2 offset1:3
	ds_load_2addr_b64 v[27:30], v27 offset1:1
	v_add_nc_u32_e32 v22, 0xffffff60, v22
	s_wait_dscnt 0x1
	v_fma_f64 v[6:7], -v[31:32], v[25:26], v[6:7]
	v_fma_f64 v[4:5], -v[31:32], v[23:24], v[4:5]
	s_wait_dscnt 0x0
	v_fma_f64 v[2:3], -v[31:32], v[29:30], v[2:3]
	v_fma_f64 v[0:1], -v[31:32], v[27:28], v[0:1]
	s_cbranch_scc0 .LBB91_29
.LBB91_30:                              ;   in Loop: Header=BB91_28 Depth=2
	s_add_co_i32 s39, s21, -3
; %bb.31:                               ;   in Loop: Header=BB91_28 Depth=2
	s_lshl_b32 s40, s21, 3
	s_wait_alu 0xfffe
	s_lshl_b32 s39, s39, 3
	s_add_co_i32 s41, s40, s38
	s_wait_alu 0xfffe
	s_add_co_i32 s38, s38, s39
	s_add_co_i32 s42, s41, -8
	s_wait_alu 0xfffe
	s_add_co_i32 s39, s38, 0xffffff60
	v_mov_b32_e32 v22, s42
	s_add_co_i32 s42, s41, 0xffffff58
	s_sub_co_i32 s41, s41, 24
	s_wait_alu 0xfffe
	v_mov_b32_e32 v26, s42
	s_addk_co_i32 s38, 0xfec0
	ds_load_2addr_b64 v[22:25], v22 offset1:1
	s_add_co_i32 s40, s40, s37
	s_sub_co_i32 s20, s20, 32
	ds_load_b64 v[26:27], v26
	s_wait_alu 0xfffe
	s_sub_co_i32 s37, s40, 24
	s_wait_dscnt 0x1
	v_div_scale_f64 v[28:29], null, v[24:25], v[24:25], v[6:7]
	v_div_scale_f64 v[34:35], vcc_lo, v[6:7], v[24:25], v[6:7]
	s_delay_alu instid0(VALU_DEP_2) | instskip(NEXT) | instid1(TRANS32_DEP_1)
	v_rcp_f64_e32 v[30:31], v[28:29]
	v_fma_f64 v[32:33], -v[28:29], v[30:31], 1.0
	s_delay_alu instid0(VALU_DEP_1) | instskip(NEXT) | instid1(VALU_DEP_1)
	v_fma_f64 v[30:31], v[30:31], v[32:33], v[30:31]
	v_fma_f64 v[32:33], -v[28:29], v[30:31], 1.0
	s_delay_alu instid0(VALU_DEP_1) | instskip(NEXT) | instid1(VALU_DEP_1)
	v_fma_f64 v[30:31], v[30:31], v[32:33], v[30:31]
	v_mul_f64_e32 v[32:33], v[34:35], v[30:31]
	s_delay_alu instid0(VALU_DEP_1) | instskip(SKIP_1) | instid1(VALU_DEP_1)
	v_fma_f64 v[28:29], -v[28:29], v[32:33], v[34:35]
	s_wait_alu 0xfffd
	v_div_fmas_f64 v[28:29], v[28:29], v[30:31], v[32:33]
	s_delay_alu instid0(VALU_DEP_1) | instskip(NEXT) | instid1(VALU_DEP_1)
	v_div_fixup_f64 v[28:29], v[28:29], v[24:25], v[6:7]
	v_fma_f64 v[30:31], -v[28:29], v[22:23], v[4:5]
	s_wait_dscnt 0x0
	s_delay_alu instid0(VALU_DEP_1) | instskip(SKIP_1) | instid1(VALU_DEP_2)
	v_div_scale_f64 v[4:5], null, v[26:27], v[26:27], v[30:31]
	v_div_scale_f64 v[24:25], vcc_lo, v[30:31], v[26:27], v[30:31]
	v_rcp_f64_e32 v[6:7], v[4:5]
	s_delay_alu instid0(TRANS32_DEP_1) | instskip(NEXT) | instid1(VALU_DEP_1)
	v_fma_f64 v[22:23], -v[4:5], v[6:7], 1.0
	v_fma_f64 v[6:7], v[6:7], v[22:23], v[6:7]
	s_delay_alu instid0(VALU_DEP_1) | instskip(NEXT) | instid1(VALU_DEP_1)
	v_fma_f64 v[22:23], -v[4:5], v[6:7], 1.0
	v_fma_f64 v[6:7], v[6:7], v[22:23], v[6:7]
	s_delay_alu instid0(VALU_DEP_1) | instskip(NEXT) | instid1(VALU_DEP_1)
	v_mul_f64_e32 v[22:23], v[24:25], v[6:7]
	v_fma_f64 v[4:5], -v[4:5], v[22:23], v[24:25]
	s_wait_alu 0xfffd
	s_delay_alu instid0(VALU_DEP_1)
	v_div_fmas_f64 v[32:33], v[4:5], v[6:7], v[22:23]
	v_mov_b32_e32 v4, s41
	v_mov_b32_e32 v22, s39
	ds_load_2addr_b64 v[4:7], v4 offset1:1
	ds_load_2addr_b64 v[22:25], v22 offset1:1
	s_wait_dscnt 0x1
	v_fma_f64 v[2:3], -v[28:29], v[6:7], v[2:3]
	v_fma_f64 v[0:1], -v[28:29], v[4:5], v[0:1]
	v_div_fixup_f64 v[6:7], v[32:33], v[26:27], v[30:31]
	s_wait_alu 0xfffe
	v_mov_b32_e32 v30, s37
	s_add_co_i32 s37, s21, -4
	s_cmp_lt_i32 s21, 7
	ds_load_b64 v[30:31], v30
	s_wait_dscnt 0x1
	v_fma_f64 v[2:3], -v[6:7], v[24:25], v[2:3]
	v_mov_b32_e32 v24, s38
	v_fma_f64 v[0:1], -v[6:7], v[22:23], v[0:1]
	ds_load_2addr_b64 v[24:27], v24 offset1:1
	s_wait_dscnt 0x0
	v_div_scale_f64 v[32:33], null, v[26:27], v[26:27], v[2:3]
	v_div_scale_f64 v[38:39], vcc_lo, v[2:3], v[26:27], v[2:3]
	s_delay_alu instid0(VALU_DEP_2) | instskip(NEXT) | instid1(TRANS32_DEP_1)
	v_rcp_f64_e32 v[34:35], v[32:33]
	v_fma_f64 v[36:37], -v[32:33], v[34:35], 1.0
	s_delay_alu instid0(VALU_DEP_1) | instskip(NEXT) | instid1(VALU_DEP_1)
	v_fma_f64 v[34:35], v[34:35], v[36:37], v[34:35]
	v_fma_f64 v[36:37], -v[32:33], v[34:35], 1.0
	s_delay_alu instid0(VALU_DEP_1) | instskip(NEXT) | instid1(VALU_DEP_1)
	v_fma_f64 v[34:35], v[34:35], v[36:37], v[34:35]
	v_mul_f64_e32 v[36:37], v[38:39], v[34:35]
	s_delay_alu instid0(VALU_DEP_1) | instskip(SKIP_1) | instid1(VALU_DEP_1)
	v_fma_f64 v[32:33], -v[32:33], v[36:37], v[38:39]
	s_wait_alu 0xfffd
	v_div_fmas_f64 v[4:5], v[32:33], v[34:35], v[36:37]
	s_delay_alu instid0(VALU_DEP_1) | instskip(NEXT) | instid1(VALU_DEP_1)
	v_div_fixup_f64 v[2:3], v[4:5], v[26:27], v[2:3]
	v_fma_f64 v[0:1], -v[2:3], v[24:25], v[0:1]
	s_delay_alu instid0(VALU_DEP_1) | instskip(NEXT) | instid1(VALU_DEP_1)
	v_div_scale_f64 v[4:5], null, v[30:31], v[30:31], v[0:1]
	v_rcp_f64_e32 v[22:23], v[4:5]
	s_delay_alu instid0(TRANS32_DEP_1) | instskip(NEXT) | instid1(VALU_DEP_1)
	v_fma_f64 v[24:25], -v[4:5], v[22:23], 1.0
	v_fma_f64 v[22:23], v[22:23], v[24:25], v[22:23]
	s_delay_alu instid0(VALU_DEP_1) | instskip(NEXT) | instid1(VALU_DEP_1)
	v_fma_f64 v[24:25], -v[4:5], v[22:23], 1.0
	v_fma_f64 v[22:23], v[22:23], v[24:25], v[22:23]
	v_div_scale_f64 v[24:25], vcc_lo, v[0:1], v[30:31], v[0:1]
	s_delay_alu instid0(VALU_DEP_1) | instskip(NEXT) | instid1(VALU_DEP_1)
	v_mul_f64_e32 v[26:27], v[24:25], v[22:23]
	v_fma_f64 v[4:5], -v[4:5], v[26:27], v[24:25]
	s_wait_alu 0xfffd
	s_delay_alu instid0(VALU_DEP_1) | instskip(NEXT) | instid1(VALU_DEP_1)
	v_div_fmas_f64 v[4:5], v[4:5], v[22:23], v[26:27]
	v_div_fixup_f64 v[0:1], v[4:5], v[30:31], v[0:1]
	ds_store_b64 v11, v[28:29]
	ds_store_b64 v12, v[6:7]
	;; [unrolled: 1-line block ×4, first 2 shown]
	s_cbranch_scc1 .LBB91_33
; %bb.32:                               ;   in Loop: Header=BB91_28 Depth=2
	s_wait_alu 0xfffe
	s_mov_b32 s21, s37
	s_branch .LBB91_28
.LBB91_33:                              ;   in Loop: Header=BB91_3 Depth=1
	s_wait_alu 0xfffe
	s_cmp_lt_i32 s37, 0
	s_cbranch_scc1 .LBB91_46
; %bb.34:                               ;   in Loop: Header=BB91_3 Depth=1
	s_bitcmp1_b32 s37, 0
	s_cselect_b32 s20, -1, 0
	s_wait_alu 0xfffe
	s_and_b32 vcc_lo, exec_lo, s20
	s_mov_b32 s20, s37
	s_wait_alu 0xfffe
	s_cbranch_vccnz .LBB91_39
; %bb.35:                               ;   in Loop: Header=BB91_3 Depth=1
	s_mul_i32 s20, s37, 0xa0
	s_cmp_le_i32 s24, s37
	s_wait_alu 0xfffe
	v_add_nc_u32_e32 v2, s20, v10
	ds_load_b64 v[0:1], v2
	s_cbranch_scc1 .LBB91_38
; %bb.36:                               ;   in Loop: Header=BB91_3 Depth=1
	v_mov_b32_e32 v3, v15
	s_lshl_b32 s21, s37, 3
	s_mov_b32 s38, s24
	s_wait_alu 0xfffe
	s_add_co_i32 s21, s31, s21
.LBB91_37:                              ;   Parent Loop BB91_3 Depth=1
                                        ; =>  This Inner Loop Header: Depth=2
	s_wait_alu 0xfffe
	v_mov_b32_e32 v6, s21
	s_add_co_i32 s38, s38, -1
	s_addk_co_i32 s21, 0xff60
	s_wait_alu 0xfffe
	s_cmp_gt_i32 s38, s37
	ds_load_b64 v[4:5], v3
	ds_load_b64 v[6:7], v6
	v_add_nc_u32_e32 v3, 0xffffff60, v3
	s_wait_dscnt 0x0
	v_fma_f64 v[0:1], -v[4:5], v[6:7], v[0:1]
	s_cbranch_scc1 .LBB91_37
.LBB91_38:                              ;   in Loop: Header=BB91_3 Depth=1
	s_lshl_b32 s21, s37, 3
	s_wait_alu 0xfffe
	s_add_co_i32 s20, s21, s20
	s_wait_alu 0xfffe
	v_mov_b32_e32 v3, s20
	s_add_co_i32 s20, s37, -1
	ds_load_b64 v[3:4], v3
	s_wait_dscnt 0x0
	v_div_scale_f64 v[5:6], null, v[3:4], v[3:4], v[0:1]
	s_delay_alu instid0(VALU_DEP_1) | instskip(NEXT) | instid1(TRANS32_DEP_1)
	v_rcp_f64_e32 v[11:12], v[5:6]
	v_fma_f64 v[20:21], -v[5:6], v[11:12], 1.0
	s_delay_alu instid0(VALU_DEP_1) | instskip(NEXT) | instid1(VALU_DEP_1)
	v_fma_f64 v[11:12], v[11:12], v[20:21], v[11:12]
	v_fma_f64 v[20:21], -v[5:6], v[11:12], 1.0
	s_delay_alu instid0(VALU_DEP_1) | instskip(SKIP_1) | instid1(VALU_DEP_1)
	v_fma_f64 v[11:12], v[11:12], v[20:21], v[11:12]
	v_div_scale_f64 v[20:21], vcc_lo, v[0:1], v[3:4], v[0:1]
	v_mul_f64_e32 v[22:23], v[20:21], v[11:12]
	s_delay_alu instid0(VALU_DEP_1) | instskip(SKIP_1) | instid1(VALU_DEP_1)
	v_fma_f64 v[5:6], -v[5:6], v[22:23], v[20:21]
	s_wait_alu 0xfffd
	v_div_fmas_f64 v[5:6], v[5:6], v[11:12], v[22:23]
	s_delay_alu instid0(VALU_DEP_1)
	v_div_fixup_f64 v[0:1], v[5:6], v[3:4], v[0:1]
	ds_store_b64 v2, v[0:1]
.LBB91_39:                              ;   in Loop: Header=BB91_3 Depth=1
	s_cmp_eq_u32 s37, 0
	s_cbranch_scc1 .LBB91_46
; %bb.40:                               ;   in Loop: Header=BB91_3 Depth=1
	s_wait_alu 0xfffe
	s_lshl_b32 s37, s20, 3
	s_wait_alu 0xfffe
	s_add_co_i32 s21, s31, s37
	s_add_co_i32 s37, s33, s37
	s_branch .LBB91_42
.LBB91_41:                              ;   in Loop: Header=BB91_42 Depth=2
	s_addk_co_i32 s38, 0xff58
	s_add_co_i32 s21, s21, -16
	s_wait_alu 0xfffe
	v_mov_b32_e32 v0, s38
	s_add_co_i32 s38, s20, -2
	s_add_co_i32 s37, s37, -16
	s_cmp_lt_i32 s20, 2
	s_wait_alu 0xfffe
	s_mov_b32 s20, s38
	ds_load_b64 v[0:1], v0
	s_wait_dscnt 0x0
	v_div_scale_f64 v[6:7], null, v[0:1], v[0:1], v[2:3]
	s_delay_alu instid0(VALU_DEP_1) | instskip(NEXT) | instid1(TRANS32_DEP_1)
	v_rcp_f64_e32 v[11:12], v[6:7]
	v_fma_f64 v[20:21], -v[6:7], v[11:12], 1.0
	s_delay_alu instid0(VALU_DEP_1) | instskip(NEXT) | instid1(VALU_DEP_1)
	v_fma_f64 v[11:12], v[11:12], v[20:21], v[11:12]
	v_fma_f64 v[20:21], -v[6:7], v[11:12], 1.0
	s_delay_alu instid0(VALU_DEP_1) | instskip(SKIP_1) | instid1(VALU_DEP_1)
	v_fma_f64 v[11:12], v[11:12], v[20:21], v[11:12]
	v_div_scale_f64 v[20:21], vcc_lo, v[2:3], v[0:1], v[2:3]
	v_mul_f64_e32 v[22:23], v[20:21], v[11:12]
	s_delay_alu instid0(VALU_DEP_1) | instskip(SKIP_1) | instid1(VALU_DEP_1)
	v_fma_f64 v[6:7], -v[6:7], v[22:23], v[20:21]
	s_wait_alu 0xfffd
	v_div_fmas_f64 v[6:7], v[6:7], v[11:12], v[22:23]
	s_delay_alu instid0(VALU_DEP_1)
	v_div_fixup_f64 v[0:1], v[6:7], v[0:1], v[2:3]
	ds_store_b64 v5, v[0:1]
	s_cbranch_scc1 .LBB91_46
.LBB91_42:                              ;   Parent Loop BB91_3 Depth=1
                                        ; =>  This Loop Header: Depth=2
                                        ;       Child Loop BB91_43 Depth 3
                                        ;       Child Loop BB91_45 Depth 3
	s_wait_alu 0xfffe
	s_mul_i32 s39, s20, 0xa0
	v_mov_b32_e32 v2, v15
	s_wait_alu 0xfffe
	v_add_nc_u32_e32 v4, s39, v10
	s_cmp_le_i32 s24, s20
	s_mov_b32 s38, s21
	s_mov_b32 s40, s24
	ds_load_b64 v[0:1], v4
	s_cbranch_scc1 .LBB91_44
.LBB91_43:                              ;   Parent Loop BB91_3 Depth=1
                                        ;     Parent Loop BB91_42 Depth=2
                                        ; =>    This Inner Loop Header: Depth=3
	s_wait_alu 0xfffe
	v_mov_b32_e32 v3, s38
	s_add_co_i32 s40, s40, -1
	s_addk_co_i32 s38, 0xff60
	s_wait_alu 0xfffe
	s_cmp_le_i32 s40, s20
	ds_load_b64 v[5:6], v2
	ds_load_b64 v[11:12], v3
	v_add_nc_u32_e32 v2, 0xffffff60, v2
	s_wait_dscnt 0x0
	v_fma_f64 v[0:1], -v[5:6], v[11:12], v[0:1]
	s_cbranch_scc0 .LBB91_43
.LBB91_44:                              ;   in Loop: Header=BB91_42 Depth=2
	s_lshl_b32 s38, s20, 3
	s_mov_b32 s40, s1
	s_wait_alu 0xfffe
	s_add_co_i32 s38, s38, s39
	s_addk_co_i32 s39, 0xff60
	s_wait_alu 0xfffe
	v_dual_mov_b32 v2, s38 :: v_dual_add_nc_u32 v5, s39, v10
	s_cmp_le_i32 s1, s20
	s_mov_b32 s39, s37
	ds_load_b64 v[6:7], v2
	ds_load_b64 v[2:3], v5
	s_wait_dscnt 0x1
	v_div_scale_f64 v[11:12], null, v[6:7], v[6:7], v[0:1]
	s_delay_alu instid0(VALU_DEP_1) | instskip(NEXT) | instid1(TRANS32_DEP_1)
	v_rcp_f64_e32 v[20:21], v[11:12]
	v_fma_f64 v[22:23], -v[11:12], v[20:21], 1.0
	s_delay_alu instid0(VALU_DEP_1) | instskip(NEXT) | instid1(VALU_DEP_1)
	v_fma_f64 v[20:21], v[20:21], v[22:23], v[20:21]
	v_fma_f64 v[22:23], -v[11:12], v[20:21], 1.0
	s_delay_alu instid0(VALU_DEP_1) | instskip(SKIP_1) | instid1(VALU_DEP_1)
	v_fma_f64 v[20:21], v[20:21], v[22:23], v[20:21]
	v_div_scale_f64 v[22:23], vcc_lo, v[0:1], v[6:7], v[0:1]
	v_mul_f64_e32 v[24:25], v[22:23], v[20:21]
	s_delay_alu instid0(VALU_DEP_1) | instskip(SKIP_1) | instid1(VALU_DEP_1)
	v_fma_f64 v[11:12], -v[11:12], v[24:25], v[22:23]
	s_wait_alu 0xfffd
	v_div_fmas_f64 v[11:12], v[11:12], v[20:21], v[24:25]
	s_delay_alu instid0(VALU_DEP_1)
	v_div_fixup_f64 v[6:7], v[11:12], v[6:7], v[0:1]
	v_mov_b32_e32 v0, v15
	ds_store_b64 v4, v[6:7]
	s_cbranch_scc1 .LBB91_41
.LBB91_45:                              ;   Parent Loop BB91_3 Depth=1
                                        ;     Parent Loop BB91_42 Depth=2
                                        ; =>    This Inner Loop Header: Depth=3
	s_wait_alu 0xfffe
	v_mov_b32_e32 v1, s39
	s_add_co_i32 s40, s40, -1
	s_addk_co_i32 s39, 0xff60
	s_wait_alu 0xfffe
	s_cmp_gt_i32 s40, s20
	ds_load_b64 v[6:7], v0
	ds_load_b64 v[11:12], v1
	v_add_nc_u32_e32 v0, 0xffffff60, v0
	s_wait_dscnt 0x0
	v_fma_f64 v[2:3], -v[6:7], v[11:12], v[2:3]
	s_cbranch_scc1 .LBB91_45
	s_branch .LBB91_41
.LBB91_46:                              ;   in Loop: Header=BB91_3 Depth=1
	s_mov_b32 s20, 0
.LBB91_47:                              ;   in Loop: Header=BB91_3 Depth=1
	s_wait_alu 0xfffe
	s_and_not1_b32 vcc_lo, exec_lo, s20
	s_wait_alu 0xfffe
	s_cbranch_vccnz .LBB91_66
; %bb.48:                               ;   in Loop: Header=BB91_3 Depth=1
	s_mov_b32 s37, s24
	s_and_not1_b32 vcc_lo, exec_lo, s28
	s_mov_b32 s20, s34
	s_mov_b32 s21, s24
	s_wait_alu 0xfffe
	s_cbranch_vccnz .LBB91_53
.LBB91_49:                              ;   Parent Loop BB91_3 Depth=1
                                        ; =>  This Loop Header: Depth=2
                                        ;       Child Loop BB91_50 Depth 3
	s_wait_alu 0xfffe
	s_mul_i32 s37, s21, 20
	s_cmp_le_i32 s24, s21
	s_wait_alu 0xfffe
	v_lshl_add_u32 v11, s37, 3, v10
	s_mov_b32 s38, s20
	s_mov_b32 s39, s24
	s_delay_alu instid0(VALU_DEP_1)
	v_dual_mov_b32 v22, v15 :: v_dual_add_nc_u32 v21, 0xfffffe20, v11
	v_add_nc_u32_e32 v12, 0xffffff60, v11
	v_add_nc_u32_e32 v20, 0xfffffec0, v11
	ds_load_b64 v[6:7], v11
	ds_load_b64 v[4:5], v12
	;; [unrolled: 1-line block ×4, first 2 shown]
	s_cbranch_scc1 .LBB91_51
.LBB91_50:                              ;   Parent Loop BB91_3 Depth=1
                                        ;     Parent Loop BB91_49 Depth=2
                                        ; =>    This Inner Loop Header: Depth=3
	s_wait_alu 0xfffe
	v_mov_b32_e32 v27, s38
	s_add_co_i32 s39, s39, -1
	s_add_co_i32 s38, s38, -8
	s_wait_alu 0xfffe
	s_cmp_le_i32 s39, s21
	ds_load_b64 v[31:32], v22
	ds_load_2addr_b64 v[23:26], v27 offset0:40 offset1:60
	ds_load_2addr_b64 v[27:30], v27 offset1:20
	v_add_nc_u32_e32 v22, 0xffffff60, v22
	s_wait_dscnt 0x1
	v_fma_f64 v[6:7], -v[31:32], v[25:26], v[6:7]
	v_fma_f64 v[4:5], -v[31:32], v[23:24], v[4:5]
	s_wait_dscnt 0x0
	v_fma_f64 v[2:3], -v[31:32], v[29:30], v[2:3]
	v_fma_f64 v[0:1], -v[31:32], v[27:28], v[0:1]
	s_cbranch_scc0 .LBB91_50
.LBB91_51:                              ;   in Loop: Header=BB91_49 Depth=2
	s_mul_i32 s38, s21, 0xa8
	s_lshl_b32 s37, s37, 3
	s_wait_alu 0xfffe
	v_mov_b32_e32 v22, s38
	s_lshl_b32 s38, s21, 3
	s_addk_co_i32 s20, 0xfd80
	s_wait_alu 0xfffe
	s_add_co_i32 s37, s37, s38
	s_wait_alu 0xfffe
	s_add_co_i32 s38, s37, 0xffffff58
	ds_load_b64 v[26:27], v22
	s_wait_alu 0xfffe
	v_mov_b32_e32 v22, s38
	s_add_co_i32 s38, s37, 0xfffffec0
	ds_load_2addr_b64 v[22:25], v22 offset1:1
	s_wait_dscnt 0x1
	v_div_scale_f64 v[28:29], null, v[26:27], v[26:27], v[6:7]
	v_div_scale_f64 v[34:35], vcc_lo, v[6:7], v[26:27], v[6:7]
	s_delay_alu instid0(VALU_DEP_2) | instskip(NEXT) | instid1(TRANS32_DEP_1)
	v_rcp_f64_e32 v[30:31], v[28:29]
	v_fma_f64 v[32:33], -v[28:29], v[30:31], 1.0
	s_delay_alu instid0(VALU_DEP_1) | instskip(NEXT) | instid1(VALU_DEP_1)
	v_fma_f64 v[30:31], v[30:31], v[32:33], v[30:31]
	v_fma_f64 v[32:33], -v[28:29], v[30:31], 1.0
	s_delay_alu instid0(VALU_DEP_1) | instskip(NEXT) | instid1(VALU_DEP_1)
	v_fma_f64 v[30:31], v[30:31], v[32:33], v[30:31]
	v_mul_f64_e32 v[32:33], v[34:35], v[30:31]
	s_delay_alu instid0(VALU_DEP_1) | instskip(SKIP_1) | instid1(VALU_DEP_1)
	v_fma_f64 v[28:29], -v[28:29], v[32:33], v[34:35]
	s_wait_alu 0xfffd
	v_div_fmas_f64 v[28:29], v[28:29], v[30:31], v[32:33]
	s_delay_alu instid0(VALU_DEP_1) | instskip(SKIP_1) | instid1(VALU_DEP_1)
	v_div_fixup_f64 v[30:31], v[28:29], v[26:27], v[6:7]
	s_wait_dscnt 0x0
	v_fma_f64 v[24:25], -v[30:31], v[24:25], v[4:5]
	s_delay_alu instid0(VALU_DEP_1) | instskip(SKIP_1) | instid1(VALU_DEP_2)
	v_div_scale_f64 v[4:5], null, v[22:23], v[22:23], v[24:25]
	v_div_scale_f64 v[28:29], vcc_lo, v[24:25], v[22:23], v[24:25]
	v_rcp_f64_e32 v[6:7], v[4:5]
	s_delay_alu instid0(TRANS32_DEP_1) | instskip(NEXT) | instid1(VALU_DEP_1)
	v_fma_f64 v[26:27], -v[4:5], v[6:7], 1.0
	v_fma_f64 v[6:7], v[6:7], v[26:27], v[6:7]
	s_delay_alu instid0(VALU_DEP_1) | instskip(NEXT) | instid1(VALU_DEP_1)
	v_fma_f64 v[26:27], -v[4:5], v[6:7], 1.0
	v_fma_f64 v[6:7], v[6:7], v[26:27], v[6:7]
	s_delay_alu instid0(VALU_DEP_1) | instskip(NEXT) | instid1(VALU_DEP_1)
	v_mul_f64_e32 v[26:27], v[28:29], v[6:7]
	v_fma_f64 v[4:5], -v[4:5], v[26:27], v[28:29]
	s_wait_alu 0xfffd
	s_delay_alu instid0(VALU_DEP_1)
	v_div_fmas_f64 v[26:27], v[4:5], v[6:7], v[26:27]
	s_wait_alu 0xfffe
	v_mov_b32_e32 v4, s38
	s_add_co_i32 s38, s37, 0xfffffeb0
	ds_load_b64 v[28:29], v4
	s_wait_alu 0xfffe
	v_mov_b32_e32 v4, s38
	s_add_co_i32 s38, s37, 0xfffffe18
	s_addk_co_i32 s37, 0xfe08
	ds_load_2addr_b64 v[4:7], v4 offset1:1
	s_wait_dscnt 0x1
	v_fma_f64 v[2:3], -v[30:31], v[28:29], v[2:3]
	v_div_fixup_f64 v[32:33], v[26:27], v[22:23], v[24:25]
	s_wait_dscnt 0x0
	s_delay_alu instid0(VALU_DEP_1) | instskip(NEXT) | instid1(VALU_DEP_1)
	v_fma_f64 v[2:3], -v[32:33], v[6:7], v[2:3]
	v_div_scale_f64 v[6:7], null, v[4:5], v[4:5], v[2:3]
	v_div_scale_f64 v[26:27], vcc_lo, v[2:3], v[4:5], v[2:3]
	s_delay_alu instid0(VALU_DEP_2) | instskip(NEXT) | instid1(TRANS32_DEP_1)
	v_rcp_f64_e32 v[22:23], v[6:7]
	v_fma_f64 v[24:25], -v[6:7], v[22:23], 1.0
	s_delay_alu instid0(VALU_DEP_1) | instskip(NEXT) | instid1(VALU_DEP_1)
	v_fma_f64 v[22:23], v[22:23], v[24:25], v[22:23]
	v_fma_f64 v[24:25], -v[6:7], v[22:23], 1.0
	s_delay_alu instid0(VALU_DEP_1) | instskip(SKIP_4) | instid1(VALU_DEP_1)
	v_fma_f64 v[34:35], v[22:23], v[24:25], v[22:23]
	s_wait_alu 0xfffe
	v_mov_b32_e32 v22, s38
	ds_load_2addr_b64 v[22:25], v22 offset1:1
	v_mul_f64_e32 v[36:37], v[26:27], v[34:35]
	v_fma_f64 v[6:7], -v[6:7], v[36:37], v[26:27]
	v_mov_b32_e32 v26, s37
	s_add_co_i32 s37, s21, -4
	s_cmp_lt_i32 s21, 7
	ds_load_2addr_b64 v[26:29], v26 offset1:1
	s_wait_dscnt 0x1
	v_fma_f64 v[0:1], -v[30:31], v[24:25], v[0:1]
	s_wait_alu 0xfffd
	v_div_fmas_f64 v[6:7], v[6:7], v[34:35], v[36:37]
	s_delay_alu instid0(VALU_DEP_2) | instskip(NEXT) | instid1(VALU_DEP_2)
	v_fma_f64 v[0:1], -v[32:33], v[22:23], v[0:1]
	v_div_fixup_f64 v[2:3], v[6:7], v[4:5], v[2:3]
	s_wait_dscnt 0x0
	s_delay_alu instid0(VALU_DEP_1) | instskip(NEXT) | instid1(VALU_DEP_1)
	v_fma_f64 v[0:1], -v[2:3], v[28:29], v[0:1]
	v_div_scale_f64 v[4:5], null, v[26:27], v[26:27], v[0:1]
	s_delay_alu instid0(VALU_DEP_1) | instskip(NEXT) | instid1(TRANS32_DEP_1)
	v_rcp_f64_e32 v[6:7], v[4:5]
	v_fma_f64 v[22:23], -v[4:5], v[6:7], 1.0
	s_delay_alu instid0(VALU_DEP_1) | instskip(NEXT) | instid1(VALU_DEP_1)
	v_fma_f64 v[6:7], v[6:7], v[22:23], v[6:7]
	v_fma_f64 v[22:23], -v[4:5], v[6:7], 1.0
	s_delay_alu instid0(VALU_DEP_1) | instskip(SKIP_1) | instid1(VALU_DEP_1)
	v_fma_f64 v[6:7], v[6:7], v[22:23], v[6:7]
	v_div_scale_f64 v[22:23], vcc_lo, v[0:1], v[26:27], v[0:1]
	v_mul_f64_e32 v[24:25], v[22:23], v[6:7]
	s_delay_alu instid0(VALU_DEP_1) | instskip(SKIP_1) | instid1(VALU_DEP_1)
	v_fma_f64 v[4:5], -v[4:5], v[24:25], v[22:23]
	s_wait_alu 0xfffd
	v_div_fmas_f64 v[4:5], v[4:5], v[6:7], v[24:25]
	s_delay_alu instid0(VALU_DEP_1)
	v_div_fixup_f64 v[0:1], v[4:5], v[26:27], v[0:1]
	ds_store_b64 v11, v[30:31]
	ds_store_b64 v12, v[32:33]
	;; [unrolled: 1-line block ×4, first 2 shown]
	s_cbranch_scc1 .LBB91_53
; %bb.52:                               ;   in Loop: Header=BB91_49 Depth=2
	s_wait_alu 0xfffe
	s_mov_b32 s21, s37
	s_branch .LBB91_49
.LBB91_53:                              ;   in Loop: Header=BB91_3 Depth=1
	s_wait_alu 0xfffe
	s_cmp_lt_i32 s37, 0
	s_cbranch_scc1 .LBB91_66
; %bb.54:                               ;   in Loop: Header=BB91_3 Depth=1
	s_bitcmp1_b32 s37, 0
	s_cselect_b32 s20, -1, 0
	s_wait_alu 0xfffe
	s_and_b32 vcc_lo, exec_lo, s20
	s_mov_b32 s20, s37
	s_wait_alu 0xfffe
	s_cbranch_vccnz .LBB91_59
; %bb.55:                               ;   in Loop: Header=BB91_3 Depth=1
	v_mad_co_u64_u32 v[0:1], null, 0xa0, s37, v[10:11]
	s_cmp_le_i32 s24, s37
	ds_load_b64 v[1:2], v0
	s_cbranch_scc1 .LBB91_58
; %bb.56:                               ;   in Loop: Header=BB91_3 Depth=1
	v_mov_b32_e32 v3, v15
	s_mul_i32 s20, s37, 0xa0
	s_mov_b32 s21, s24
	s_wait_alu 0xfffe
	s_add_co_i32 s20, s35, s20
.LBB91_57:                              ;   Parent Loop BB91_3 Depth=1
                                        ; =>  This Inner Loop Header: Depth=2
	s_wait_alu 0xfffe
	v_mov_b32_e32 v6, s20
	s_add_co_i32 s21, s21, -1
	s_add_co_i32 s20, s20, -8
	s_wait_alu 0xfffe
	s_cmp_gt_u32 s21, s37
	ds_load_b64 v[4:5], v3
	ds_load_b64 v[6:7], v6
	v_add_nc_u32_e32 v3, 0xffffff60, v3
	s_wait_dscnt 0x0
	v_fma_f64 v[1:2], -v[4:5], v[6:7], v[1:2]
	s_cbranch_scc1 .LBB91_57
.LBB91_58:                              ;   in Loop: Header=BB91_3 Depth=1
	s_mul_i32 s20, s37, 0xa8
	s_wait_alu 0xfffe
	v_mov_b32_e32 v3, s20
	s_add_co_i32 s20, s37, -1
	ds_load_b64 v[3:4], v3
	s_wait_dscnt 0x0
	v_div_scale_f64 v[5:6], null, v[3:4], v[3:4], v[1:2]
	s_delay_alu instid0(VALU_DEP_1) | instskip(NEXT) | instid1(TRANS32_DEP_1)
	v_rcp_f64_e32 v[11:12], v[5:6]
	v_fma_f64 v[20:21], -v[5:6], v[11:12], 1.0
	s_delay_alu instid0(VALU_DEP_1) | instskip(NEXT) | instid1(VALU_DEP_1)
	v_fma_f64 v[11:12], v[11:12], v[20:21], v[11:12]
	v_fma_f64 v[20:21], -v[5:6], v[11:12], 1.0
	s_delay_alu instid0(VALU_DEP_1) | instskip(SKIP_1) | instid1(VALU_DEP_1)
	v_fma_f64 v[11:12], v[11:12], v[20:21], v[11:12]
	v_div_scale_f64 v[20:21], vcc_lo, v[1:2], v[3:4], v[1:2]
	v_mul_f64_e32 v[22:23], v[20:21], v[11:12]
	s_delay_alu instid0(VALU_DEP_1) | instskip(SKIP_1) | instid1(VALU_DEP_1)
	v_fma_f64 v[5:6], -v[5:6], v[22:23], v[20:21]
	s_wait_alu 0xfffd
	v_div_fmas_f64 v[5:6], v[5:6], v[11:12], v[22:23]
	s_delay_alu instid0(VALU_DEP_1)
	v_div_fixup_f64 v[1:2], v[5:6], v[3:4], v[1:2]
	ds_store_b64 v0, v[1:2]
.LBB91_59:                              ;   in Loop: Header=BB91_3 Depth=1
	s_cmp_eq_u32 s37, 0
	s_cbranch_scc1 .LBB91_66
; %bb.60:                               ;   in Loop: Header=BB91_3 Depth=1
	s_wait_alu 0xfffe
	s_mul_i32 s37, s20, 0xa0
	s_wait_alu 0xfffe
	s_add_co_i32 s21, s35, s37
	s_add_co_i32 s37, s36, s37
	s_branch .LBB91_62
.LBB91_61:                              ;   in Loop: Header=BB91_62 Depth=2
	s_addk_co_i32 s38, 0xff58
	s_add_co_i32 s20, s20, -2
	s_wait_alu 0xfffe
	v_mov_b32_e32 v0, s38
	s_addk_co_i32 s21, 0xfec0
	s_addk_co_i32 s37, 0xfec0
	s_cmp_eq_u32 s39, 0
	ds_load_b64 v[0:1], v0
	s_wait_dscnt 0x0
	v_div_scale_f64 v[6:7], null, v[0:1], v[0:1], v[3:4]
	s_delay_alu instid0(VALU_DEP_1) | instskip(NEXT) | instid1(TRANS32_DEP_1)
	v_rcp_f64_e32 v[11:12], v[6:7]
	v_fma_f64 v[20:21], -v[6:7], v[11:12], 1.0
	s_delay_alu instid0(VALU_DEP_1) | instskip(NEXT) | instid1(VALU_DEP_1)
	v_fma_f64 v[11:12], v[11:12], v[20:21], v[11:12]
	v_fma_f64 v[20:21], -v[6:7], v[11:12], 1.0
	s_delay_alu instid0(VALU_DEP_1) | instskip(SKIP_1) | instid1(VALU_DEP_1)
	v_fma_f64 v[11:12], v[11:12], v[20:21], v[11:12]
	v_div_scale_f64 v[20:21], vcc_lo, v[3:4], v[0:1], v[3:4]
	v_mul_f64_e32 v[22:23], v[20:21], v[11:12]
	s_delay_alu instid0(VALU_DEP_1) | instskip(SKIP_1) | instid1(VALU_DEP_1)
	v_fma_f64 v[6:7], -v[6:7], v[22:23], v[20:21]
	s_wait_alu 0xfffd
	v_div_fmas_f64 v[6:7], v[6:7], v[11:12], v[22:23]
	s_delay_alu instid0(VALU_DEP_1)
	v_div_fixup_f64 v[0:1], v[6:7], v[0:1], v[3:4]
	ds_store_b64 v5, v[0:1]
	s_cbranch_scc1 .LBB91_66
.LBB91_62:                              ;   Parent Loop BB91_3 Depth=1
                                        ; =>  This Loop Header: Depth=2
                                        ;       Child Loop BB91_63 Depth 3
                                        ;       Child Loop BB91_65 Depth 3
	v_mad_co_u64_u32 v[0:1], null, 0xa0, s20, v[10:11]
	v_mov_b32_e32 v3, v15
	s_cmp_le_i32 s24, s20
	s_wait_alu 0xfffe
	s_mov_b32 s38, s21
	s_mov_b32 s39, s24
	ds_load_b64 v[1:2], v0
	s_cbranch_scc1 .LBB91_64
.LBB91_63:                              ;   Parent Loop BB91_3 Depth=1
                                        ;     Parent Loop BB91_62 Depth=2
                                        ; =>    This Inner Loop Header: Depth=3
	s_wait_alu 0xfffe
	v_mov_b32_e32 v6, s38
	s_add_co_i32 s39, s39, -1
	s_add_co_i32 s38, s38, -8
	s_wait_alu 0xfffe
	s_cmp_le_u32 s39, s20
	ds_load_b64 v[4:5], v3
	ds_load_b64 v[6:7], v6
	v_add_nc_u32_e32 v3, 0xffffff60, v3
	s_wait_dscnt 0x0
	v_fma_f64 v[1:2], -v[4:5], v[6:7], v[1:2]
	s_cbranch_scc0 .LBB91_63
.LBB91_64:                              ;   in Loop: Header=BB91_62 Depth=2
	s_mul_i32 s38, s20, 0xa8
	v_add_nc_u32_e32 v5, 0xffffff60, v0
	s_wait_alu 0xfffe
	v_mov_b32_e32 v3, s38
	s_add_co_i32 s39, s20, -1
	s_cmp_le_i32 s1, s20
	s_mov_b32 s40, s37
	s_mov_b32 s41, s24
	ds_load_b64 v[6:7], v3
	ds_load_b64 v[3:4], v5
	s_wait_dscnt 0x1
	v_div_scale_f64 v[11:12], null, v[6:7], v[6:7], v[1:2]
	s_delay_alu instid0(VALU_DEP_1) | instskip(NEXT) | instid1(TRANS32_DEP_1)
	v_rcp_f64_e32 v[20:21], v[11:12]
	v_fma_f64 v[22:23], -v[11:12], v[20:21], 1.0
	s_delay_alu instid0(VALU_DEP_1) | instskip(NEXT) | instid1(VALU_DEP_1)
	v_fma_f64 v[20:21], v[20:21], v[22:23], v[20:21]
	v_fma_f64 v[22:23], -v[11:12], v[20:21], 1.0
	s_delay_alu instid0(VALU_DEP_1) | instskip(SKIP_1) | instid1(VALU_DEP_1)
	v_fma_f64 v[20:21], v[20:21], v[22:23], v[20:21]
	v_div_scale_f64 v[22:23], vcc_lo, v[1:2], v[6:7], v[1:2]
	v_mul_f64_e32 v[24:25], v[22:23], v[20:21]
	s_delay_alu instid0(VALU_DEP_1) | instskip(SKIP_1) | instid1(VALU_DEP_1)
	v_fma_f64 v[11:12], -v[11:12], v[24:25], v[22:23]
	s_wait_alu 0xfffd
	v_div_fmas_f64 v[11:12], v[11:12], v[20:21], v[24:25]
	s_delay_alu instid0(VALU_DEP_1)
	v_div_fixup_f64 v[6:7], v[11:12], v[6:7], v[1:2]
	v_mov_b32_e32 v1, v15
	ds_store_b64 v0, v[6:7]
	s_cbranch_scc1 .LBB91_61
.LBB91_65:                              ;   Parent Loop BB91_3 Depth=1
                                        ;     Parent Loop BB91_62 Depth=2
                                        ; =>    This Inner Loop Header: Depth=3
	s_wait_alu 0xfffe
	v_mov_b32_e32 v0, s40
	s_add_co_i32 s41, s41, -1
	s_add_co_i32 s40, s40, -8
	s_wait_alu 0xfffe
	s_cmp_gt_u32 s41, s39
	ds_load_b64 v[6:7], v1
	ds_load_b64 v[11:12], v0
	v_add_nc_u32_e32 v1, 0xffffff60, v1
	s_wait_dscnt 0x0
	v_fma_f64 v[3:4], -v[6:7], v[11:12], v[3:4]
	s_cbranch_scc1 .LBB91_65
	s_branch .LBB91_61
.LBB91_66:                              ;   in Loop: Header=BB91_3 Depth=1
	s_mov_b32 s20, 0
.LBB91_67:                              ;   in Loop: Header=BB91_3 Depth=1
	s_wait_alu 0xfffe
	s_and_not1_b32 vcc_lo, exec_lo, s20
	s_wait_alu 0xfffe
	s_cbranch_vccnz .LBB91_79
; %bb.68:                               ;   in Loop: Header=BB91_3 Depth=1
	s_and_not1_b32 vcc_lo, exec_lo, s28
	s_mov_b32 s37, 0
	s_wait_alu 0xfffe
	s_cbranch_vccnz .LBB91_74
; %bb.69:                               ;   in Loop: Header=BB91_3 Depth=1
	s_mov_b32 s20, 0
	s_mov_b32 s21, 0
.LBB91_70:                              ;   Parent Loop BB91_3 Depth=1
                                        ; =>  This Loop Header: Depth=2
                                        ;       Child Loop BB91_71 Depth 3
	s_wait_alu 0xfffe
	s_mul_i32 s37, s21, 20
	v_mov_b32_e32 v12, v10
	s_wait_alu 0xfffe
	v_lshl_add_u32 v11, s37, 3, v10
	s_cmp_eq_u32 s21, 0
	s_mov_b32 s38, s20
	s_mov_b32 s39, s21
	ds_load_2addr_b64 v[4:7], v11 offset1:20
	ds_load_2addr_b64 v[0:3], v11 offset0:40 offset1:60
	s_cbranch_scc1 .LBB91_72
.LBB91_71:                              ;   Parent Loop BB91_3 Depth=1
                                        ;     Parent Loop BB91_70 Depth=2
                                        ; =>    This Inner Loop Header: Depth=3
	s_wait_alu 0xfffe
	v_mov_b32_e32 v24, s38
	s_add_co_i32 s39, s39, -1
	s_add_co_i32 s38, s38, 8
	s_wait_alu 0xfffe
	s_cmp_eq_u32 s39, 0
	ds_load_b64 v[28:29], v12
	ds_load_2addr_b64 v[20:23], v24 offset1:20
	ds_load_2addr_b64 v[24:27], v24 offset0:40 offset1:60
	v_add_nc_u32_e32 v12, 0xa0, v12
	s_wait_dscnt 0x1
	v_fma_f64 v[4:5], -v[28:29], v[20:21], v[4:5]
	v_fma_f64 v[6:7], -v[28:29], v[22:23], v[6:7]
	s_wait_dscnt 0x0
	v_fma_f64 v[0:1], -v[28:29], v[24:25], v[0:1]
	v_fma_f64 v[2:3], -v[28:29], v[26:27], v[2:3]
	s_cbranch_scc0 .LBB91_71
.LBB91_72:                              ;   in Loop: Header=BB91_70 Depth=2
	s_mul_i32 s38, s21, 0xa8
	s_lshl_b32 s37, s37, 3
	s_wait_alu 0xfffe
	v_mov_b32_e32 v12, s38
	s_lshl_b32 s38, s21, 3
	s_addk_co_i32 s20, 0x280
	s_wait_alu 0xfffe
	s_add_co_i32 s37, s37, s38
	ds_load_b64 v[24:25], v12
	s_wait_alu 0xfffe
	v_mov_b32_e32 v12, s37
	s_add_co_i32 s37, s21, 4
	s_add_co_i32 s21, s21, 7
	s_wait_alu 0xfffe
	s_cmp_ge_i32 s21, s1
	ds_load_b128 v[20:23], v12 offset:160
	s_wait_dscnt 0x1
	v_div_scale_f64 v[26:27], null, v[24:25], v[24:25], v[4:5]
	v_div_scale_f64 v[32:33], vcc_lo, v[4:5], v[24:25], v[4:5]
	s_delay_alu instid0(VALU_DEP_2) | instskip(NEXT) | instid1(TRANS32_DEP_1)
	v_rcp_f64_e32 v[28:29], v[26:27]
	v_fma_f64 v[30:31], -v[26:27], v[28:29], 1.0
	s_delay_alu instid0(VALU_DEP_1) | instskip(NEXT) | instid1(VALU_DEP_1)
	v_fma_f64 v[28:29], v[28:29], v[30:31], v[28:29]
	v_fma_f64 v[30:31], -v[26:27], v[28:29], 1.0
	s_delay_alu instid0(VALU_DEP_1) | instskip(NEXT) | instid1(VALU_DEP_1)
	v_fma_f64 v[28:29], v[28:29], v[30:31], v[28:29]
	v_mul_f64_e32 v[30:31], v[32:33], v[28:29]
	s_delay_alu instid0(VALU_DEP_1) | instskip(SKIP_1) | instid1(VALU_DEP_1)
	v_fma_f64 v[26:27], -v[26:27], v[30:31], v[32:33]
	s_wait_alu 0xfffd
	v_div_fmas_f64 v[26:27], v[26:27], v[28:29], v[30:31]
	s_delay_alu instid0(VALU_DEP_1) | instskip(SKIP_1) | instid1(VALU_DEP_1)
	v_div_fixup_f64 v[24:25], v[26:27], v[24:25], v[4:5]
	s_wait_dscnt 0x0
	v_fma_f64 v[20:21], -v[24:25], v[20:21], v[6:7]
	s_delay_alu instid0(VALU_DEP_1) | instskip(SKIP_1) | instid1(VALU_DEP_2)
	v_div_scale_f64 v[4:5], null, v[22:23], v[22:23], v[20:21]
	v_div_scale_f64 v[28:29], vcc_lo, v[20:21], v[22:23], v[20:21]
	v_rcp_f64_e32 v[6:7], v[4:5]
	s_delay_alu instid0(TRANS32_DEP_1) | instskip(NEXT) | instid1(VALU_DEP_1)
	v_fma_f64 v[26:27], -v[4:5], v[6:7], 1.0
	v_fma_f64 v[6:7], v[6:7], v[26:27], v[6:7]
	s_delay_alu instid0(VALU_DEP_1) | instskip(NEXT) | instid1(VALU_DEP_1)
	v_fma_f64 v[26:27], -v[4:5], v[6:7], 1.0
	v_fma_f64 v[6:7], v[6:7], v[26:27], v[6:7]
	s_delay_alu instid0(VALU_DEP_1) | instskip(NEXT) | instid1(VALU_DEP_1)
	v_mul_f64_e32 v[26:27], v[28:29], v[6:7]
	v_fma_f64 v[4:5], -v[4:5], v[26:27], v[28:29]
	s_wait_alu 0xfffd
	s_delay_alu instid0(VALU_DEP_1)
	v_div_fmas_f64 v[26:27], v[4:5], v[6:7], v[26:27]
	ds_load_b128 v[4:7], v12 offset:320
	ds_load_b64 v[28:29], v12 offset:336
	s_wait_dscnt 0x1
	v_fma_f64 v[0:1], -v[24:25], v[4:5], v[0:1]
	v_div_fixup_f64 v[26:27], v[26:27], v[22:23], v[20:21]
	s_delay_alu instid0(VALU_DEP_1) | instskip(SKIP_1) | instid1(VALU_DEP_1)
	v_fma_f64 v[0:1], -v[26:27], v[6:7], v[0:1]
	s_wait_dscnt 0x0
	v_div_scale_f64 v[4:5], null, v[28:29], v[28:29], v[0:1]
	v_div_scale_f64 v[22:23], vcc_lo, v[0:1], v[28:29], v[0:1]
	s_delay_alu instid0(VALU_DEP_2) | instskip(NEXT) | instid1(TRANS32_DEP_1)
	v_rcp_f64_e32 v[6:7], v[4:5]
	v_fma_f64 v[20:21], -v[4:5], v[6:7], 1.0
	s_delay_alu instid0(VALU_DEP_1) | instskip(NEXT) | instid1(VALU_DEP_1)
	v_fma_f64 v[6:7], v[6:7], v[20:21], v[6:7]
	v_fma_f64 v[20:21], -v[4:5], v[6:7], 1.0
	s_delay_alu instid0(VALU_DEP_1) | instskip(NEXT) | instid1(VALU_DEP_1)
	v_fma_f64 v[30:31], v[6:7], v[20:21], v[6:7]
	v_mul_f64_e32 v[32:33], v[22:23], v[30:31]
	s_delay_alu instid0(VALU_DEP_1)
	v_fma_f64 v[34:35], -v[4:5], v[32:33], v[22:23]
	ds_load_b128 v[4:7], v12 offset:480
	ds_load_b128 v[20:23], v12 offset:496
	s_wait_dscnt 0x1
	v_fma_f64 v[2:3], -v[24:25], v[4:5], v[2:3]
	s_wait_alu 0xfffd
	v_div_fmas_f64 v[4:5], v[34:35], v[30:31], v[32:33]
	s_delay_alu instid0(VALU_DEP_2) | instskip(NEXT) | instid1(VALU_DEP_2)
	v_fma_f64 v[2:3], -v[26:27], v[6:7], v[2:3]
	v_div_fixup_f64 v[0:1], v[4:5], v[28:29], v[0:1]
	s_wait_dscnt 0x0
	s_delay_alu instid0(VALU_DEP_1) | instskip(NEXT) | instid1(VALU_DEP_1)
	v_fma_f64 v[2:3], -v[0:1], v[20:21], v[2:3]
	v_div_scale_f64 v[4:5], null, v[22:23], v[22:23], v[2:3]
	s_delay_alu instid0(VALU_DEP_1) | instskip(NEXT) | instid1(TRANS32_DEP_1)
	v_rcp_f64_e32 v[6:7], v[4:5]
	v_fma_f64 v[20:21], -v[4:5], v[6:7], 1.0
	s_delay_alu instid0(VALU_DEP_1) | instskip(NEXT) | instid1(VALU_DEP_1)
	v_fma_f64 v[6:7], v[6:7], v[20:21], v[6:7]
	v_fma_f64 v[20:21], -v[4:5], v[6:7], 1.0
	s_delay_alu instid0(VALU_DEP_1) | instskip(SKIP_1) | instid1(VALU_DEP_1)
	v_fma_f64 v[6:7], v[6:7], v[20:21], v[6:7]
	v_div_scale_f64 v[20:21], vcc_lo, v[2:3], v[22:23], v[2:3]
	v_mul_f64_e32 v[28:29], v[20:21], v[6:7]
	s_delay_alu instid0(VALU_DEP_1) | instskip(SKIP_1) | instid1(VALU_DEP_1)
	v_fma_f64 v[4:5], -v[4:5], v[28:29], v[20:21]
	s_wait_alu 0xfffd
	v_div_fmas_f64 v[4:5], v[4:5], v[6:7], v[28:29]
	s_delay_alu instid0(VALU_DEP_1)
	v_div_fixup_f64 v[2:3], v[4:5], v[22:23], v[2:3]
	ds_store_2addr_b64 v11, v[24:25], v[26:27] offset1:20
	ds_store_2addr_b64 v11, v[0:1], v[2:3] offset0:40 offset1:60
	s_cbranch_scc1 .LBB91_74
; %bb.73:                               ;   in Loop: Header=BB91_70 Depth=2
	s_mov_b32 s21, s37
	s_branch .LBB91_70
.LBB91_74:                              ;   in Loop: Header=BB91_3 Depth=1
	s_cmp_ge_i32 s37, s1
	s_cbranch_scc1 .LBB91_79
; %bb.75:                               ;   in Loop: Header=BB91_3 Depth=1
	s_mul_i32 s20, s37, 0xa0
	s_branch .LBB91_77
.LBB91_76:                              ;   in Loop: Header=BB91_77 Depth=2
	s_mul_i32 s21, s37, 0xa8
	s_add_co_i32 s37, s37, 1
	s_wait_alu 0xfffe
	v_mov_b32_e32 v3, s21
	s_addk_co_i32 s20, 0xa0
	s_cmp_ge_i32 s37, s1
	ds_load_b64 v[3:4], v3
	s_wait_dscnt 0x0
	v_div_scale_f64 v[5:6], null, v[3:4], v[3:4], v[1:2]
	s_delay_alu instid0(VALU_DEP_1) | instskip(NEXT) | instid1(TRANS32_DEP_1)
	v_rcp_f64_e32 v[11:12], v[5:6]
	v_fma_f64 v[20:21], -v[5:6], v[11:12], 1.0
	s_delay_alu instid0(VALU_DEP_1) | instskip(NEXT) | instid1(VALU_DEP_1)
	v_fma_f64 v[11:12], v[11:12], v[20:21], v[11:12]
	v_fma_f64 v[20:21], -v[5:6], v[11:12], 1.0
	s_delay_alu instid0(VALU_DEP_1) | instskip(SKIP_1) | instid1(VALU_DEP_1)
	v_fma_f64 v[11:12], v[11:12], v[20:21], v[11:12]
	v_div_scale_f64 v[20:21], vcc_lo, v[1:2], v[3:4], v[1:2]
	v_mul_f64_e32 v[22:23], v[20:21], v[11:12]
	s_delay_alu instid0(VALU_DEP_1) | instskip(SKIP_1) | instid1(VALU_DEP_1)
	v_fma_f64 v[5:6], -v[5:6], v[22:23], v[20:21]
	s_wait_alu 0xfffd
	v_div_fmas_f64 v[5:6], v[5:6], v[11:12], v[22:23]
	s_delay_alu instid0(VALU_DEP_1)
	v_div_fixup_f64 v[1:2], v[5:6], v[3:4], v[1:2]
	ds_store_b64 v0, v[1:2]
	s_cbranch_scc1 .LBB91_79
.LBB91_77:                              ;   Parent Loop BB91_3 Depth=1
                                        ; =>  This Loop Header: Depth=2
                                        ;       Child Loop BB91_78 Depth 3
	v_mad_co_u64_u32 v[0:1], null, 0xa0, s37, v[10:11]
	v_mov_b32_e32 v3, v10
	s_cmp_eq_u32 s37, 0
	s_wait_alu 0xfffe
	s_mov_b32 s21, s20
	s_mov_b32 s38, s37
	ds_load_b64 v[1:2], v0
	s_cbranch_scc1 .LBB91_76
.LBB91_78:                              ;   Parent Loop BB91_3 Depth=1
                                        ;     Parent Loop BB91_77 Depth=2
                                        ; =>    This Inner Loop Header: Depth=3
	s_wait_alu 0xfffe
	v_mov_b32_e32 v6, s21
	s_add_co_i32 s38, s38, -1
	s_add_co_i32 s21, s21, 8
	s_wait_alu 0xfffe
	s_cmp_eq_u32 s38, 0
	ds_load_b64 v[4:5], v3
	ds_load_b64 v[6:7], v6
	v_add_nc_u32_e32 v3, 0xa0, v3
	s_wait_dscnt 0x0
	v_fma_f64 v[1:2], -v[4:5], v[6:7], v[1:2]
	s_cbranch_scc0 .LBB91_78
	s_branch .LBB91_76
.LBB91_79:                              ;   in Loop: Header=BB91_3 Depth=1
	s_and_saveexec_b32 s20, s29
	s_cbranch_execz .LBB91_2
; %bb.80:                               ;   in Loop: Header=BB91_3 Depth=1
	v_add_co_u32 v0, vcc_lo, v18, v17
	s_wait_alu 0xfffd
	v_add_co_ci_u32_e64 v1, null, 0, v19, vcc_lo
	v_mov_b32_e32 v2, v10
	s_mov_b32 s21, s23
.LBB91_81:                              ;   Parent Loop BB91_3 Depth=1
                                        ; =>  This Inner Loop Header: Depth=2
	ds_load_b64 v[3:4], v2
	v_add_nc_u32_e32 v2, 0xa0, v2
	s_wait_alu 0xfffe
	s_add_co_i32 s21, s21, -1
	s_wait_alu 0xfffe
	s_cmp_lg_u32 s21, 0
	s_wait_dscnt 0x0
	flat_store_b64 v[0:1], v[3:4]
	v_add_co_u32 v0, vcc_lo, v0, s18
	s_wait_alu 0xfffd
	v_add_co_ci_u32_e64 v1, null, s19, v1, vcc_lo
	s_cbranch_scc1 .LBB91_81
	s_branch .LBB91_2
.LBB91_82:
	s_endpgm
	.section	.rodata,"a",@progbits
	.p2align	6, 0x0
	.amdhsa_kernel _ZL31rocblas_trsm_small_right_deviceIddPKPKdPKPdLi20EEv13rocblas_fill_18rocblas_operation_17rocblas_diagonal_iiT0_T1_lilT2_lili
		.amdhsa_group_segment_fixed_size 6400
		.amdhsa_private_segment_fixed_size 0
		.amdhsa_kernarg_size 360
		.amdhsa_user_sgpr_count 2
		.amdhsa_user_sgpr_dispatch_ptr 0
		.amdhsa_user_sgpr_queue_ptr 0
		.amdhsa_user_sgpr_kernarg_segment_ptr 1
		.amdhsa_user_sgpr_dispatch_id 0
		.amdhsa_user_sgpr_private_segment_size 0
		.amdhsa_wavefront_size32 1
		.amdhsa_uses_dynamic_stack 0
		.amdhsa_enable_private_segment 0
		.amdhsa_system_sgpr_workgroup_id_x 1
		.amdhsa_system_sgpr_workgroup_id_y 0
		.amdhsa_system_sgpr_workgroup_id_z 1
		.amdhsa_system_sgpr_workgroup_info 0
		.amdhsa_system_vgpr_workitem_id 0
		.amdhsa_next_free_vgpr 241
		.amdhsa_next_free_sgpr 43
		.amdhsa_reserve_vcc 1
		.amdhsa_float_round_mode_32 0
		.amdhsa_float_round_mode_16_64 0
		.amdhsa_float_denorm_mode_32 3
		.amdhsa_float_denorm_mode_16_64 3
		.amdhsa_fp16_overflow 0
		.amdhsa_workgroup_processor_mode 1
		.amdhsa_memory_ordered 1
		.amdhsa_forward_progress 1
		.amdhsa_inst_pref_size 54
		.amdhsa_round_robin_scheduling 0
		.amdhsa_exception_fp_ieee_invalid_op 0
		.amdhsa_exception_fp_denorm_src 0
		.amdhsa_exception_fp_ieee_div_zero 0
		.amdhsa_exception_fp_ieee_overflow 0
		.amdhsa_exception_fp_ieee_underflow 0
		.amdhsa_exception_fp_ieee_inexact 0
		.amdhsa_exception_int_div_zero 0
	.end_amdhsa_kernel
	.section	.text._ZL31rocblas_trsm_small_right_deviceIddPKPKdPKPdLi20EEv13rocblas_fill_18rocblas_operation_17rocblas_diagonal_iiT0_T1_lilT2_lili,"axG",@progbits,_ZL31rocblas_trsm_small_right_deviceIddPKPKdPKPdLi20EEv13rocblas_fill_18rocblas_operation_17rocblas_diagonal_iiT0_T1_lilT2_lili,comdat
.Lfunc_end91:
	.size	_ZL31rocblas_trsm_small_right_deviceIddPKPKdPKPdLi20EEv13rocblas_fill_18rocblas_operation_17rocblas_diagonal_iiT0_T1_lilT2_lili, .Lfunc_end91-_ZL31rocblas_trsm_small_right_deviceIddPKPKdPKPdLi20EEv13rocblas_fill_18rocblas_operation_17rocblas_diagonal_iiT0_T1_lilT2_lili
                                        ; -- End function
	.set _ZL31rocblas_trsm_small_right_deviceIddPKPKdPKPdLi20EEv13rocblas_fill_18rocblas_operation_17rocblas_diagonal_iiT0_T1_lilT2_lili.num_vgpr, 41
	.set _ZL31rocblas_trsm_small_right_deviceIddPKPKdPKPdLi20EEv13rocblas_fill_18rocblas_operation_17rocblas_diagonal_iiT0_T1_lilT2_lili.num_agpr, 0
	.set _ZL31rocblas_trsm_small_right_deviceIddPKPKdPKPdLi20EEv13rocblas_fill_18rocblas_operation_17rocblas_diagonal_iiT0_T1_lilT2_lili.numbered_sgpr, 43
	.set _ZL31rocblas_trsm_small_right_deviceIddPKPKdPKPdLi20EEv13rocblas_fill_18rocblas_operation_17rocblas_diagonal_iiT0_T1_lilT2_lili.num_named_barrier, 0
	.set _ZL31rocblas_trsm_small_right_deviceIddPKPKdPKPdLi20EEv13rocblas_fill_18rocblas_operation_17rocblas_diagonal_iiT0_T1_lilT2_lili.private_seg_size, 0
	.set _ZL31rocblas_trsm_small_right_deviceIddPKPKdPKPdLi20EEv13rocblas_fill_18rocblas_operation_17rocblas_diagonal_iiT0_T1_lilT2_lili.uses_vcc, 1
	.set _ZL31rocblas_trsm_small_right_deviceIddPKPKdPKPdLi20EEv13rocblas_fill_18rocblas_operation_17rocblas_diagonal_iiT0_T1_lilT2_lili.uses_flat_scratch, 0
	.set _ZL31rocblas_trsm_small_right_deviceIddPKPKdPKPdLi20EEv13rocblas_fill_18rocblas_operation_17rocblas_diagonal_iiT0_T1_lilT2_lili.has_dyn_sized_stack, 0
	.set _ZL31rocblas_trsm_small_right_deviceIddPKPKdPKPdLi20EEv13rocblas_fill_18rocblas_operation_17rocblas_diagonal_iiT0_T1_lilT2_lili.has_recursion, 0
	.set _ZL31rocblas_trsm_small_right_deviceIddPKPKdPKPdLi20EEv13rocblas_fill_18rocblas_operation_17rocblas_diagonal_iiT0_T1_lilT2_lili.has_indirect_call, 0
	.section	.AMDGPU.csdata,"",@progbits
; Kernel info:
; codeLenInByte = 6820
; TotalNumSgprs: 45
; NumVgprs: 41
; ScratchSize: 0
; MemoryBound: 0
; FloatMode: 240
; IeeeMode: 1
; LDSByteSize: 6400 bytes/workgroup (compile time only)
; SGPRBlocks: 0
; VGPRBlocks: 30
; NumSGPRsForWavesPerEU: 45
; NumVGPRsForWavesPerEU: 241
; Occupancy: 5
; WaveLimiterHint : 0
; COMPUTE_PGM_RSRC2:SCRATCH_EN: 0
; COMPUTE_PGM_RSRC2:USER_SGPR: 2
; COMPUTE_PGM_RSRC2:TRAP_HANDLER: 0
; COMPUTE_PGM_RSRC2:TGID_X_EN: 1
; COMPUTE_PGM_RSRC2:TGID_Y_EN: 0
; COMPUTE_PGM_RSRC2:TGID_Z_EN: 1
; COMPUTE_PGM_RSRC2:TIDIG_COMP_CNT: 0
	.section	.text._ZL38rocblas_trsm_small_left_device_sharedBILi24ELi24ELb0EddPKPKdPKPdEv13rocblas_fill_18rocblas_operation_17rocblas_diagonal_iiT3_T4_lilT5_lili,"axG",@progbits,_ZL38rocblas_trsm_small_left_device_sharedBILi24ELi24ELb0EddPKPKdPKPdEv13rocblas_fill_18rocblas_operation_17rocblas_diagonal_iiT3_T4_lilT5_lili,comdat
	.globl	_ZL38rocblas_trsm_small_left_device_sharedBILi24ELi24ELb0EddPKPKdPKPdEv13rocblas_fill_18rocblas_operation_17rocblas_diagonal_iiT3_T4_lilT5_lili ; -- Begin function _ZL38rocblas_trsm_small_left_device_sharedBILi24ELi24ELb0EddPKPKdPKPdEv13rocblas_fill_18rocblas_operation_17rocblas_diagonal_iiT3_T4_lilT5_lili
	.p2align	8
	.type	_ZL38rocblas_trsm_small_left_device_sharedBILi24ELi24ELb0EddPKPKdPKPdEv13rocblas_fill_18rocblas_operation_17rocblas_diagonal_iiT3_T4_lilT5_lili,@function
_ZL38rocblas_trsm_small_left_device_sharedBILi24ELi24ELb0EddPKPKdPKPdEv13rocblas_fill_18rocblas_operation_17rocblas_diagonal_iiT3_T4_lilT5_lili: ; @_ZL38rocblas_trsm_small_left_device_sharedBILi24ELi24ELb0EddPKPKdPKPdEv13rocblas_fill_18rocblas_operation_17rocblas_diagonal_iiT3_T4_lilT5_lili
; %bb.0:
	s_load_b32 s22, s[0:1], 0x60
	s_lshr_b32 s2, ttmp7, 16
	s_wait_kmcnt 0x0
	s_cmp_ge_u32 s2, s22
	s_cbranch_scc1 .LBB92_57
; %bb.1:
	s_clause 0x5
	s_load_b96 s[16:18], s[0:1], 0x28
	s_load_b32 s20, s[0:1], 0x50
	s_load_b128 s[12:15], s[0:1], 0x4
	s_load_b32 s3, s[0:1], 0x68
	s_load_b128 s[4:7], s[0:1], 0x18
	s_load_b128 s[8:11], s[0:1], 0x40
	s_mul_i32 s0, ttmp9, 0xffffffe8
	s_mul_i32 s24, ttmp9, 24
	v_dual_mov_b32 v9, 0 :: v_dual_lshlrev_b32 v8, 3, v0
	v_mul_u32_u24_e32 v4, 0xc0, v0
	s_mov_b32 s19, 0
	s_delay_alu instid0(VALU_DEP_2) | instskip(NEXT) | instid1(VALU_DEP_2)
	v_or_b32_e32 v1, 0x1200, v8
	v_add_nc_u32_e32 v10, v8, v4
	s_wait_kmcnt 0x0
	s_ashr_i32 s29, s18, 31
	v_mad_co_i64_i32 v[2:3], null, s20, v0, 0
	s_min_i32 s1, s14, 24
	s_add_co_i32 s3, s3, -1
	s_ashr_i32 s21, s20, 31
	s_add_co_i32 s15, s15, s0
	s_add_co_i32 s23, s1, -1
	s_cmp_ge_u32 ttmp9, s3
	v_lshlrev_b64_e32 v[2:3], 3, v[2:3]
	s_cselect_b32 s3, s15, 24
	s_ashr_i32 s25, s24, 31
	s_cmp_lg_u32 s13, 0x84
	v_cmp_gt_i32_e32 vcc_lo, s3, v0
	s_wait_alu 0xfffe
	s_mul_u64 s[20:21], s[20:21], s[24:25]
	s_cselect_b32 s24, -1, 0
	s_cmp_gt_i32 s14, 0
	v_cmp_gt_i32_e64 s0, s1, v0
	v_lshlrev_b32_e32 v0, 3, v0
	s_mov_b32 s28, s18
	s_cselect_b32 s3, -1, 0
	s_cmp_lg_u32 s12, 0x6f
	s_mul_i32 s27, s1, 0xc0
	s_cselect_b32 s25, -1, 0
	s_wait_alu 0xfffe
	s_and_b32 s26, vcc_lo, s3
	s_lshl_b64 s[12:13], s[28:29], 3
	s_addk_co_i32 s27, 0xff40
	s_lshl_b64 s[14:15], s[16:17], 3
	s_lshl_b64 s[10:11], s[10:11], 3
	;; [unrolled: 1-line block ×3, first 2 shown]
	s_branch .LBB92_3
.LBB92_2:                               ;   in Loop: Header=BB92_3 Depth=1
	s_wait_alu 0xfffe
	s_or_b32 exec_lo, exec_lo, s3
	s_add_co_i32 s2, s2, 0x10000
	s_wait_alu 0xfffe
	s_cmp_lt_u32 s2, s22
	s_cbranch_scc0 .LBB92_57
.LBB92_3:                               ; =>This Loop Header: Depth=1
                                        ;     Child Loop BB92_5 Depth 2
                                        ;     Child Loop BB92_11 Depth 2
	;; [unrolled: 1-line block ×3, first 2 shown]
                                        ;       Child Loop BB92_18 Depth 3
                                        ;         Child Loop BB92_19 Depth 4
                                        ;         Child Loop BB92_22 Depth 4
                                        ;           Child Loop BB92_23 Depth 5
                                        ;         Child Loop BB92_27 Depth 4
                                        ;           Child Loop BB92_29 Depth 5
                                        ;     Child Loop BB92_37 Depth 2
                                        ;       Child Loop BB92_40 Depth 3
                                        ;         Child Loop BB92_41 Depth 4
                                        ;         Child Loop BB92_43 Depth 4
                                        ;           Child Loop BB92_44 Depth 5
                                        ;         Child Loop BB92_48 Depth 4
                                        ;           Child Loop BB92_50 Depth 5
                                        ;     Child Loop BB92_56 Depth 2
	s_mov_b32 s3, s19
	s_wait_alu 0xfffe
	s_lshl_b64 s[20:21], s[2:3], 3
	s_wait_alu 0xfffe
	s_add_nc_u64 s[28:29], s[8:9], s[20:21]
	global_load_b64 v[4:5], v9, s[28:29]
	s_and_saveexec_b32 s3, s0
	s_cbranch_execz .LBB92_9
; %bb.4:                                ;   in Loop: Header=BB92_3 Depth=1
	s_add_nc_u64 s[20:21], s[6:7], s[20:21]
	v_mov_b32_e32 v11, v8
	global_load_b64 v[6:7], v9, s[20:21]
	s_mov_b32 s18, s1
	s_wait_loadcnt 0x0
	v_add_co_u32 v6, vcc_lo, v6, s14
	s_wait_alu 0xfffd
	v_add_co_ci_u32_e64 v7, null, s15, v7, vcc_lo
	s_delay_alu instid0(VALU_DEP_2) | instskip(SKIP_1) | instid1(VALU_DEP_2)
	v_add_co_u32 v6, vcc_lo, v6, v0
	s_wait_alu 0xfffd
	v_add_co_ci_u32_e64 v7, null, 0, v7, vcc_lo
.LBB92_5:                               ;   Parent Loop BB92_3 Depth=1
                                        ; =>  This Inner Loop Header: Depth=2
	flat_load_b64 v[12:13], v[6:7]
	v_add_co_u32 v6, vcc_lo, v6, s12
	s_wait_alu 0xfffd
	v_add_co_ci_u32_e64 v7, null, s13, v7, vcc_lo
	s_add_co_i32 s18, s18, -1
	s_delay_alu instid0(SALU_CYCLE_1)
	s_cmp_eq_u32 s18, 0
	s_wait_loadcnt_dscnt 0x0
	ds_store_b64 v11, v[12:13]
	v_add_nc_u32_e32 v11, 0xc0, v11
	s_cbranch_scc0 .LBB92_5
; %bb.6:                                ;   in Loop: Header=BB92_3 Depth=1
	v_mov_b32_e32 v6, 0
	v_mov_b32_e32 v7, 0x3ff00000
	s_and_b32 vcc_lo, exec_lo, s24
	s_wait_alu 0xfffe
	s_cbranch_vccz .LBB92_8
; %bb.7:                                ;   in Loop: Header=BB92_3 Depth=1
	ds_load_b64 v[6:7], v10
	s_wait_dscnt 0x0
	v_div_scale_f64 v[11:12], null, v[6:7], v[6:7], 1.0
	s_delay_alu instid0(VALU_DEP_1) | instskip(NEXT) | instid1(TRANS32_DEP_1)
	v_rcp_f64_e32 v[13:14], v[11:12]
	v_fma_f64 v[15:16], -v[11:12], v[13:14], 1.0
	s_delay_alu instid0(VALU_DEP_1) | instskip(NEXT) | instid1(VALU_DEP_1)
	v_fma_f64 v[13:14], v[13:14], v[15:16], v[13:14]
	v_fma_f64 v[15:16], -v[11:12], v[13:14], 1.0
	s_delay_alu instid0(VALU_DEP_1) | instskip(SKIP_1) | instid1(VALU_DEP_1)
	v_fma_f64 v[13:14], v[13:14], v[15:16], v[13:14]
	v_div_scale_f64 v[15:16], vcc_lo, 1.0, v[6:7], 1.0
	v_mul_f64_e32 v[17:18], v[15:16], v[13:14]
	s_delay_alu instid0(VALU_DEP_1) | instskip(SKIP_1) | instid1(VALU_DEP_1)
	v_fma_f64 v[11:12], -v[11:12], v[17:18], v[15:16]
	s_wait_alu 0xfffd
	v_div_fmas_f64 v[11:12], v[11:12], v[13:14], v[17:18]
	s_delay_alu instid0(VALU_DEP_1)
	v_div_fixup_f64 v[6:7], v[11:12], v[6:7], 1.0
.LBB92_8:                               ;   in Loop: Header=BB92_3 Depth=1
	ds_store_b64 v10, v[6:7]
.LBB92_9:                               ;   in Loop: Header=BB92_3 Depth=1
	s_wait_alu 0xfffe
	s_or_b32 exec_lo, exec_lo, s3
	s_wait_loadcnt 0x0
	v_add_co_u32 v4, vcc_lo, v4, s10
	s_wait_alu 0xfffd
	v_add_co_ci_u32_e64 v5, null, s11, v5, vcc_lo
	s_delay_alu instid0(VALU_DEP_2) | instskip(SKIP_1) | instid1(VALU_DEP_2)
	v_add_co_u32 v7, vcc_lo, v4, s16
	s_wait_alu 0xfffd
	v_add_co_ci_u32_e64 v11, null, s17, v5, vcc_lo
	s_and_saveexec_b32 s3, s26
	s_cbranch_execz .LBB92_12
; %bb.10:                               ;   in Loop: Header=BB92_3 Depth=1
	v_add_co_u32 v4, vcc_lo, v7, v2
	s_wait_alu 0xfffd
	v_add_co_ci_u32_e64 v5, null, v11, v3, vcc_lo
	v_mov_b32_e32 v6, v1
	s_mov_b32 s18, s1
.LBB92_11:                              ;   Parent Loop BB92_3 Depth=1
                                        ; =>  This Inner Loop Header: Depth=2
	flat_load_b64 v[12:13], v[4:5]
	v_add_co_u32 v4, vcc_lo, v4, 8
	s_wait_alu 0xfffd
	v_add_co_ci_u32_e64 v5, null, 0, v5, vcc_lo
	s_add_co_i32 s18, s18, -1
	s_delay_alu instid0(SALU_CYCLE_1)
	s_cmp_lg_u32 s18, 0
	s_wait_loadcnt_dscnt 0x0
	v_mul_f64_e32 v[12:13], s[4:5], v[12:13]
	ds_store_b64 v6, v[12:13]
	v_add_nc_u32_e32 v6, 0xc0, v6
	s_cbranch_scc1 .LBB92_11
.LBB92_12:                              ;   in Loop: Header=BB92_3 Depth=1
	s_wait_alu 0xfffe
	s_or_b32 exec_lo, exec_lo, s3
	s_delay_alu instid0(SALU_CYCLE_1)
	s_and_not1_b32 vcc_lo, exec_lo, s25
	s_mov_b32 s3, -1
	s_wait_dscnt 0x0
	; wave barrier
	global_inv scope:SCOPE_SE
	s_wait_alu 0xfffe
	s_cbranch_vccnz .LBB92_34
; %bb.13:                               ;   in Loop: Header=BB92_3 Depth=1
	s_mov_b32 s18, 0
	s_delay_alu instid0(SALU_CYCLE_1)
	s_mov_b32 s3, s18
	s_branch .LBB92_15
.LBB92_14:                              ;   in Loop: Header=BB92_15 Depth=2
	s_cmp_lt_i32 s3, s1
	s_cselect_b32 s20, -1, 0
	s_add_co_i32 s21, s18, 1
	s_cmp_lt_u32 s18, 2
	s_cselect_b32 s18, -1, 0
	s_wait_alu 0xfffe
	s_and_b32 s18, s20, s18
	s_delay_alu instid0(SALU_CYCLE_1)
	s_and_b32 vcc_lo, exec_lo, s18
	s_mov_b32 s18, s21
	s_wait_alu 0xfffe
	s_cbranch_vccz .LBB92_33
.LBB92_15:                              ;   Parent Loop BB92_3 Depth=1
                                        ; =>  This Loop Header: Depth=2
                                        ;       Child Loop BB92_18 Depth 3
                                        ;         Child Loop BB92_19 Depth 4
                                        ;         Child Loop BB92_22 Depth 4
                                        ;           Child Loop BB92_23 Depth 5
                                        ;         Child Loop BB92_27 Depth 4
                                        ;           Child Loop BB92_29 Depth 5
	s_getpc_b64 s[20:21]
	s_wait_alu 0xfffe
	s_sext_i32_i16 s21, s21
	s_add_co_u32 s20, s20, __const._ZL38rocblas_trsm_small_left_device_sharedBILi24ELi24ELb0EddPKPKdPKPdEv13rocblas_fill_18rocblas_operation_17rocblas_diagonal_iiT3_T4_lilT5_lili.step_sizes@rel32@lo+12
	s_wait_alu 0xfffe
	s_add_co_ci_u32 s21, s21, __const._ZL38rocblas_trsm_small_left_device_sharedBILi24ELi24ELb0EddPKPKdPKPdEv13rocblas_fill_18rocblas_operation_17rocblas_diagonal_iiT3_T4_lilT5_lili.step_sizes@rel32@hi+24
	s_lshl_b64 s[28:29], s[18:19], 2
	s_wait_alu 0xfffe
	s_add_nc_u64 s[20:21], s[20:21], s[28:29]
	s_load_b32 s20, s[20:21], 0x0
	s_wait_kmcnt 0x0
	s_add_co_i32 s21, s20, -1
	s_wait_alu 0xfffe
	s_add_co_i32 s28, s21, s3
	s_wait_alu 0xfffe
	s_cmp_ge_i32 s28, s1
	s_cbranch_scc1 .LBB92_14
; %bb.16:                               ;   in Loop: Header=BB92_15 Depth=2
	s_mul_i32 s28, s3, 0xc0
	s_max_i32 s29, s20, 1
	s_wait_alu 0xfffe
	v_add_nc_u32_e32 v6, s28, v1
	s_mul_i32 s30, s20, 0xc0
	s_mul_i32 s31, s3, 0xc8
	;; [unrolled: 1-line block ×3, first 2 shown]
	s_branch .LBB92_18
.LBB92_17:                              ;   in Loop: Header=BB92_18 Depth=3
	s_add_co_i32 s3, s3, s20
	v_add_nc_u32_e32 v6, s30, v6
	s_wait_alu 0xfffe
	s_add_co_i32 s34, s21, s3
	s_add_co_i32 s28, s28, s30
	;; [unrolled: 1-line block ×3, first 2 shown]
	s_wait_alu 0xfffe
	s_cmp_ge_i32 s34, s1
	s_cbranch_scc1 .LBB92_14
.LBB92_18:                              ;   Parent Loop BB92_3 Depth=1
                                        ;     Parent Loop BB92_15 Depth=2
                                        ; =>    This Loop Header: Depth=3
                                        ;         Child Loop BB92_19 Depth 4
                                        ;         Child Loop BB92_22 Depth 4
                                        ;           Child Loop BB92_23 Depth 5
                                        ;         Child Loop BB92_27 Depth 4
                                        ;           Child Loop BB92_29 Depth 5
	v_mov_b32_e32 v4, v6
	s_mov_b32 s34, 0
	s_mov_b32 s35, s29
.LBB92_19:                              ;   Parent Loop BB92_3 Depth=1
                                        ;     Parent Loop BB92_15 Depth=2
                                        ;       Parent Loop BB92_18 Depth=3
                                        ; =>      This Inner Loop Header: Depth=4
	ds_load_b64 v[12:13], v4
	v_add_nc_u32_e32 v4, 0xc0, v4
	s_wait_alu 0xfffe
	s_add_co_i32 s35, s35, -1
	s_wait_dscnt 0x0
	scratch_store_b64 off, v[12:13], s34
	s_add_co_i32 s34, s34, 8
	s_wait_alu 0xfffe
	s_cmp_eq_u32 s35, 0
	s_cbranch_scc0 .LBB92_19
; %bb.20:                               ;   in Loop: Header=BB92_18 Depth=3
	s_cmp_lt_i32 s3, 1
	s_cbranch_scc1 .LBB92_25
; %bb.21:                               ;   in Loop: Header=BB92_18 Depth=3
	s_mov_b32 s34, 0
	s_mov_b32 s35, s28
.LBB92_22:                              ;   Parent Loop BB92_3 Depth=1
                                        ;     Parent Loop BB92_15 Depth=2
                                        ;       Parent Loop BB92_18 Depth=3
                                        ; =>      This Loop Header: Depth=4
                                        ;           Child Loop BB92_23 Depth 5
	s_wait_alu 0xfffe
	v_mad_co_u64_u32 v[4:5], null, 0xc0, s34, v[1:2]
	s_mov_b32 s36, 0
	s_mov_b32 s37, s35
	;; [unrolled: 1-line block ×3, first 2 shown]
	ds_load_b64 v[4:5], v4
.LBB92_23:                              ;   Parent Loop BB92_3 Depth=1
                                        ;     Parent Loop BB92_15 Depth=2
                                        ;       Parent Loop BB92_18 Depth=3
                                        ;         Parent Loop BB92_22 Depth=4
                                        ; =>        This Inner Loop Header: Depth=5
	scratch_load_b64 v[12:13], off, s36
	s_wait_alu 0xfffe
	v_mov_b32_e32 v14, s37
	s_add_co_i32 s38, s38, -1
	s_addk_co_i32 s37, 0xc0
	ds_load_b64 v[14:15], v14
	s_wait_loadcnt_dscnt 0x0
	v_fma_f64 v[12:13], -v[4:5], v[14:15], v[12:13]
	scratch_store_b64 off, v[12:13], s36
	s_add_co_i32 s36, s36, 8
	s_wait_alu 0xfffe
	s_cmp_eq_u32 s38, 0
	s_cbranch_scc0 .LBB92_23
; %bb.24:                               ;   in Loop: Header=BB92_22 Depth=4
	s_add_co_i32 s34, s34, 1
	s_add_co_i32 s35, s35, 8
	s_wait_alu 0xfffe
	s_cmp_eq_u32 s34, s3
	s_cbranch_scc0 .LBB92_22
.LBB92_25:                              ;   in Loop: Header=BB92_18 Depth=3
	s_mul_i32 s34, s3, 0xc0
	s_mov_b32 s35, 0
	s_wait_alu 0xfffe
	s_mov_b32 s36, s31
	s_branch .LBB92_27
.LBB92_26:                              ;   in Loop: Header=BB92_27 Depth=4
	s_wait_alu 0xfffe
	s_mulk_i32 s38, 0xc8
	s_addk_co_i32 s36, 0xc0
	s_wait_alu 0xfffe
	v_mov_b32_e32 v12, s38
	s_lshl_b32 s38, s35, 3
	s_add_co_i32 s35, s35, 1
	s_wait_alu 0xfffe
	s_cmp_eq_u32 s35, s29
	ds_load_b64 v[12:13], v12
	s_wait_loadcnt_dscnt 0x0
	v_mul_f64_e32 v[4:5], v[12:13], v[4:5]
	v_add_nc_u32_e32 v12, s37, v1
	scratch_store_b64 off, v[4:5], s38
	ds_store_b64 v12, v[4:5]
	s_cbranch_scc1 .LBB92_17
.LBB92_27:                              ;   Parent Loop BB92_3 Depth=1
                                        ;     Parent Loop BB92_15 Depth=2
                                        ;       Parent Loop BB92_18 Depth=3
                                        ; =>      This Loop Header: Depth=4
                                        ;           Child Loop BB92_29 Depth 5
	s_cmp_lg_u32 s35, 0
	s_cbranch_scc0 .LBB92_31
; %bb.28:                               ;   in Loop: Header=BB92_27 Depth=4
	s_lshl_b32 s39, s35, 3
	s_add_co_i32 s38, s35, s3
	scratch_load_b64 v[4:5], off, s39
	s_wait_alu 0xfffe
	s_mul_i32 s37, s38, 0xc0
	s_mov_b32 s40, 0
	s_mov_b32 s41, s36
	;; [unrolled: 1-line block ×3, first 2 shown]
.LBB92_29:                              ;   Parent Loop BB92_3 Depth=1
                                        ;     Parent Loop BB92_15 Depth=2
                                        ;       Parent Loop BB92_18 Depth=3
                                        ;         Parent Loop BB92_27 Depth=4
                                        ; =>        This Inner Loop Header: Depth=5
	scratch_load_b64 v[12:13], off, s40
	s_wait_alu 0xfffe
	v_mov_b32_e32 v14, s41
	s_add_co_i32 s42, s42, -1
	s_add_co_i32 s40, s40, 8
	s_add_co_i32 s41, s41, 8
	s_cmp_eq_u32 s42, 0
	ds_load_b64 v[14:15], v14
	s_wait_loadcnt_dscnt 0x0
	v_fma_f64 v[4:5], -v[12:13], v[14:15], v[4:5]
	scratch_store_b64 off, v[4:5], s39
	s_cbranch_scc0 .LBB92_29
; %bb.30:                               ;   in Loop: Header=BB92_27 Depth=4
	s_branch .LBB92_26
.LBB92_31:                              ;   in Loop: Header=BB92_27 Depth=4
                                        ; implicit-def: $vgpr4_vgpr5
                                        ; implicit-def: $sgpr38
                                        ; implicit-def: $sgpr37
	s_cbranch_execz .LBB92_26
; %bb.32:                               ;   in Loop: Header=BB92_27 Depth=4
	scratch_load_b64 v[4:5], off, off
	s_mov_b32 s37, s34
	s_mov_b32 s38, s3
	s_branch .LBB92_26
.LBB92_33:                              ;   in Loop: Header=BB92_3 Depth=1
	s_mov_b32 s3, 0
.LBB92_34:                              ;   in Loop: Header=BB92_3 Depth=1
	s_wait_alu 0xfffe
	s_and_b32 vcc_lo, exec_lo, s3
	s_wait_alu 0xfffe
	s_cbranch_vccz .LBB92_54
; %bb.35:                               ;   in Loop: Header=BB92_3 Depth=1
	s_mov_b32 s18, 0
	s_mov_b32 s3, s23
	s_branch .LBB92_37
.LBB92_36:                              ;   in Loop: Header=BB92_37 Depth=2
	s_cmp_gt_i32 s3, -1
	s_cselect_b32 s20, -1, 0
	s_add_co_i32 s21, s18, 1
	s_cmp_lt_u32 s18, 2
	s_cselect_b32 s18, -1, 0
	s_wait_alu 0xfffe
	s_and_b32 s18, s20, s18
	s_delay_alu instid0(SALU_CYCLE_1)
	s_and_not1_b32 vcc_lo, exec_lo, s18
	s_mov_b32 s18, s21
	s_wait_alu 0xfffe
	s_cbranch_vccnz .LBB92_54
.LBB92_37:                              ;   Parent Loop BB92_3 Depth=1
                                        ; =>  This Loop Header: Depth=2
                                        ;       Child Loop BB92_40 Depth 3
                                        ;         Child Loop BB92_41 Depth 4
                                        ;         Child Loop BB92_43 Depth 4
                                        ;           Child Loop BB92_44 Depth 5
                                        ;         Child Loop BB92_48 Depth 4
                                        ;           Child Loop BB92_50 Depth 5
	s_getpc_b64 s[20:21]
	s_wait_alu 0xfffe
	s_sext_i32_i16 s21, s21
	s_add_co_u32 s20, s20, __const._ZL38rocblas_trsm_small_left_device_sharedBILi24ELi24ELb0EddPKPKdPKPdEv13rocblas_fill_18rocblas_operation_17rocblas_diagonal_iiT3_T4_lilT5_lili.step_sizes@rel32@lo+12
	s_wait_alu 0xfffe
	s_add_co_ci_u32 s21, s21, __const._ZL38rocblas_trsm_small_left_device_sharedBILi24ELi24ELb0EddPKPKdPKPdEv13rocblas_fill_18rocblas_operation_17rocblas_diagonal_iiT3_T4_lilT5_lili.step_sizes@rel32@hi+24
	s_lshl_b64 s[28:29], s[18:19], 2
	s_wait_alu 0xfffe
	s_add_nc_u64 s[20:21], s[20:21], s[28:29]
	s_load_b32 s20, s[20:21], 0x0
	s_wait_kmcnt 0x0
	s_add_co_i32 s21, s20, -1
	s_wait_alu 0xfffe
	s_cmp_lt_i32 s3, s21
	s_cbranch_scc1 .LBB92_36
; %bb.38:                               ;   in Loop: Header=BB92_37 Depth=2
	v_mad_co_u64_u32 v[4:5], null, 0xc0, s3, v[1:2]
	s_lshl_b32 s30, s3, 3
	s_lshl_b32 s31, s20, 3
	s_max_i32 s28, s20, 1
	s_mul_i32 s29, s20, 0xffffff40
	s_wait_alu 0xfffe
	s_add_co_i32 s30, s27, s30
	s_sub_co_i32 s31, 0, s31
	s_mul_i32 s33, s3, 0xc8
	s_mul_i32 s34, s20, 0xffffff38
	s_branch .LBB92_40
.LBB92_39:                              ;   in Loop: Header=BB92_40 Depth=3
	v_add_nc_u32_e32 v4, s29, v4
	s_sub_co_i32 s3, s3, s20
	s_add_co_i32 s30, s30, s31
	s_add_co_i32 s33, s33, s34
	s_wait_alu 0xfffe
	s_cmp_lt_i32 s3, s21
	s_cbranch_scc1 .LBB92_36
.LBB92_40:                              ;   Parent Loop BB92_3 Depth=1
                                        ;     Parent Loop BB92_37 Depth=2
                                        ; =>    This Loop Header: Depth=3
                                        ;         Child Loop BB92_41 Depth 4
                                        ;         Child Loop BB92_43 Depth 4
                                        ;           Child Loop BB92_44 Depth 5
                                        ;         Child Loop BB92_48 Depth 4
                                        ;           Child Loop BB92_50 Depth 5
	v_mov_b32_e32 v5, v4
	s_mov_b32 s35, 0
	s_mov_b32 s36, s28
.LBB92_41:                              ;   Parent Loop BB92_3 Depth=1
                                        ;     Parent Loop BB92_37 Depth=2
                                        ;       Parent Loop BB92_40 Depth=3
                                        ; =>      This Inner Loop Header: Depth=4
	ds_load_b64 v[12:13], v5
	v_add_nc_u32_e32 v5, 0xffffff40, v5
	s_wait_alu 0xfffe
	s_add_co_i32 s36, s36, -1
	s_wait_dscnt 0x0
	scratch_store_b64 off, v[12:13], s35
	s_add_co_i32 s35, s35, 8
	s_wait_alu 0xfffe
	s_cmp_eq_u32 s36, 0
	s_cbranch_scc0 .LBB92_41
; %bb.42:                               ;   in Loop: Header=BB92_40 Depth=3
	s_cmp_le_i32 s23, s3
	s_mov_b32 s35, s30
	s_mov_b32 s36, s23
	s_cbranch_scc1 .LBB92_46
.LBB92_43:                              ;   Parent Loop BB92_3 Depth=1
                                        ;     Parent Loop BB92_37 Depth=2
                                        ;       Parent Loop BB92_40 Depth=3
                                        ; =>      This Loop Header: Depth=4
                                        ;           Child Loop BB92_44 Depth 5
	s_wait_alu 0xfffe
	v_mad_co_u64_u32 v[5:6], null, 0xc0, s36, v[1:2]
	s_mov_b32 s37, 0
	s_mov_b32 s38, s35
	;; [unrolled: 1-line block ×3, first 2 shown]
	ds_load_b64 v[5:6], v5
.LBB92_44:                              ;   Parent Loop BB92_3 Depth=1
                                        ;     Parent Loop BB92_37 Depth=2
                                        ;       Parent Loop BB92_40 Depth=3
                                        ;         Parent Loop BB92_43 Depth=4
                                        ; =>        This Inner Loop Header: Depth=5
	scratch_load_b64 v[12:13], off, s37
	s_wait_alu 0xfffe
	v_mov_b32_e32 v14, s38
	s_add_co_i32 s39, s39, -1
	s_add_co_i32 s38, s38, -8
	ds_load_b64 v[14:15], v14
	s_wait_loadcnt_dscnt 0x0
	v_fma_f64 v[12:13], -v[5:6], v[14:15], v[12:13]
	scratch_store_b64 off, v[12:13], s37
	s_add_co_i32 s37, s37, 8
	s_wait_alu 0xfffe
	s_cmp_eq_u32 s39, 0
	s_cbranch_scc0 .LBB92_44
; %bb.45:                               ;   in Loop: Header=BB92_43 Depth=4
	s_add_co_i32 s36, s36, -1
	s_addk_co_i32 s35, 0xff40
	s_wait_alu 0xfffe
	s_cmp_le_i32 s36, s3
	s_cbranch_scc0 .LBB92_43
.LBB92_46:                              ;   in Loop: Header=BB92_40 Depth=3
	s_mov_b32 s35, 0
	s_mov_b32 s36, s33
	s_branch .LBB92_48
.LBB92_47:                              ;   in Loop: Header=BB92_48 Depth=4
	s_wait_alu 0xfffe
	s_mul_i32 s38, s37, 0xc8
	s_add_co_i32 s36, s36, -8
	s_wait_alu 0xfffe
	v_mov_b32_e32 v12, s38
	ds_load_b64 v[12:13], v12
	s_wait_loadcnt_dscnt 0x0
	v_mul_f64_e32 v[5:6], v[12:13], v[5:6]
	v_mad_co_u64_u32 v[12:13], null, 0xc0, s37, v[1:2]
	s_lshl_b32 s37, s35, 3
	s_add_co_i32 s35, s35, 1
	s_wait_alu 0xfffe
	s_cmp_eq_u32 s35, s28
	scratch_store_b64 off, v[5:6], s37
	ds_store_b64 v12, v[5:6]
	s_cbranch_scc1 .LBB92_39
.LBB92_48:                              ;   Parent Loop BB92_3 Depth=1
                                        ;     Parent Loop BB92_37 Depth=2
                                        ;       Parent Loop BB92_40 Depth=3
                                        ; =>      This Loop Header: Depth=4
                                        ;           Child Loop BB92_50 Depth 5
	s_wait_alu 0xfffe
	s_cmp_lg_u32 s35, 0
	s_cbranch_scc0 .LBB92_52
; %bb.49:                               ;   in Loop: Header=BB92_48 Depth=4
	s_lshl_b32 s38, s35, 3
	s_sub_co_i32 s37, s3, s35
	scratch_load_b64 v[5:6], off, s38
	s_mov_b32 s39, 0
	s_mov_b32 s40, s36
	;; [unrolled: 1-line block ×3, first 2 shown]
.LBB92_50:                              ;   Parent Loop BB92_3 Depth=1
                                        ;     Parent Loop BB92_37 Depth=2
                                        ;       Parent Loop BB92_40 Depth=3
                                        ;         Parent Loop BB92_48 Depth=4
                                        ; =>        This Inner Loop Header: Depth=5
	scratch_load_b64 v[12:13], off, s39
	s_wait_alu 0xfffe
	v_mov_b32_e32 v14, s40
	s_add_co_i32 s41, s41, -1
	s_addk_co_i32 s40, 0xff40
	s_add_co_i32 s39, s39, 8
	s_wait_alu 0xfffe
	s_cmp_eq_u32 s41, 0
	ds_load_b64 v[14:15], v14
	s_wait_loadcnt_dscnt 0x0
	v_fma_f64 v[5:6], -v[12:13], v[14:15], v[5:6]
	scratch_store_b64 off, v[5:6], s38
	s_cbranch_scc0 .LBB92_50
; %bb.51:                               ;   in Loop: Header=BB92_48 Depth=4
	s_branch .LBB92_47
.LBB92_52:                              ;   in Loop: Header=BB92_48 Depth=4
                                        ; implicit-def: $vgpr5_vgpr6
                                        ; implicit-def: $sgpr37
	s_cbranch_execz .LBB92_47
; %bb.53:                               ;   in Loop: Header=BB92_48 Depth=4
	scratch_load_b64 v[5:6], off, off
	s_mov_b32 s37, s3
	s_branch .LBB92_47
.LBB92_54:                              ;   in Loop: Header=BB92_3 Depth=1
	s_wait_storecnt 0x0
	; wave barrier
	s_wait_loadcnt_dscnt 0x0
	global_inv scope:SCOPE_SE
	s_and_saveexec_b32 s3, s26
	s_cbranch_execz .LBB92_2
; %bb.55:                               ;   in Loop: Header=BB92_3 Depth=1
	v_add_co_u32 v4, vcc_lo, v7, v2
	s_wait_alu 0xfffd
	v_add_co_ci_u32_e64 v5, null, v11, v3, vcc_lo
	v_mov_b32_e32 v6, v1
	s_mov_b32 s18, s1
.LBB92_56:                              ;   Parent Loop BB92_3 Depth=1
                                        ; =>  This Inner Loop Header: Depth=2
	ds_load_b64 v[11:12], v6
	v_add_nc_u32_e32 v6, 0xc0, v6
	s_add_co_i32 s18, s18, -1
	s_delay_alu instid0(SALU_CYCLE_1)
	s_cmp_lg_u32 s18, 0
	s_wait_dscnt 0x0
	flat_store_b64 v[4:5], v[11:12]
	v_add_co_u32 v4, vcc_lo, v4, 8
	s_wait_alu 0xfffd
	v_add_co_ci_u32_e64 v5, null, 0, v5, vcc_lo
	s_cbranch_scc1 .LBB92_56
	s_branch .LBB92_2
.LBB92_57:
	s_endpgm
	.section	.rodata,"a",@progbits
	.p2align	6, 0x0
	.amdhsa_kernel _ZL38rocblas_trsm_small_left_device_sharedBILi24ELi24ELb0EddPKPKdPKPdEv13rocblas_fill_18rocblas_operation_17rocblas_diagonal_iiT3_T4_lilT5_lili
		.amdhsa_group_segment_fixed_size 9216
		.amdhsa_private_segment_fixed_size 208
		.amdhsa_kernarg_size 360
		.amdhsa_user_sgpr_count 2
		.amdhsa_user_sgpr_dispatch_ptr 0
		.amdhsa_user_sgpr_queue_ptr 0
		.amdhsa_user_sgpr_kernarg_segment_ptr 1
		.amdhsa_user_sgpr_dispatch_id 0
		.amdhsa_user_sgpr_private_segment_size 0
		.amdhsa_wavefront_size32 1
		.amdhsa_uses_dynamic_stack 0
		.amdhsa_enable_private_segment 1
		.amdhsa_system_sgpr_workgroup_id_x 1
		.amdhsa_system_sgpr_workgroup_id_y 0
		.amdhsa_system_sgpr_workgroup_id_z 1
		.amdhsa_system_sgpr_workgroup_info 0
		.amdhsa_system_vgpr_workitem_id 0
		.amdhsa_next_free_vgpr 241
		.amdhsa_next_free_sgpr 43
		.amdhsa_reserve_vcc 1
		.amdhsa_float_round_mode_32 0
		.amdhsa_float_round_mode_16_64 0
		.amdhsa_float_denorm_mode_32 3
		.amdhsa_float_denorm_mode_16_64 3
		.amdhsa_fp16_overflow 0
		.amdhsa_workgroup_processor_mode 1
		.amdhsa_memory_ordered 1
		.amdhsa_forward_progress 1
		.amdhsa_inst_pref_size 19
		.amdhsa_round_robin_scheduling 0
		.amdhsa_exception_fp_ieee_invalid_op 0
		.amdhsa_exception_fp_denorm_src 0
		.amdhsa_exception_fp_ieee_div_zero 0
		.amdhsa_exception_fp_ieee_overflow 0
		.amdhsa_exception_fp_ieee_underflow 0
		.amdhsa_exception_fp_ieee_inexact 0
		.amdhsa_exception_int_div_zero 0
	.end_amdhsa_kernel
	.section	.text._ZL38rocblas_trsm_small_left_device_sharedBILi24ELi24ELb0EddPKPKdPKPdEv13rocblas_fill_18rocblas_operation_17rocblas_diagonal_iiT3_T4_lilT5_lili,"axG",@progbits,_ZL38rocblas_trsm_small_left_device_sharedBILi24ELi24ELb0EddPKPKdPKPdEv13rocblas_fill_18rocblas_operation_17rocblas_diagonal_iiT3_T4_lilT5_lili,comdat
.Lfunc_end92:
	.size	_ZL38rocblas_trsm_small_left_device_sharedBILi24ELi24ELb0EddPKPKdPKPdEv13rocblas_fill_18rocblas_operation_17rocblas_diagonal_iiT3_T4_lilT5_lili, .Lfunc_end92-_ZL38rocblas_trsm_small_left_device_sharedBILi24ELi24ELb0EddPKPKdPKPdEv13rocblas_fill_18rocblas_operation_17rocblas_diagonal_iiT3_T4_lilT5_lili
                                        ; -- End function
	.set _ZL38rocblas_trsm_small_left_device_sharedBILi24ELi24ELb0EddPKPKdPKPdEv13rocblas_fill_18rocblas_operation_17rocblas_diagonal_iiT3_T4_lilT5_lili.num_vgpr, 19
	.set _ZL38rocblas_trsm_small_left_device_sharedBILi24ELi24ELb0EddPKPKdPKPdEv13rocblas_fill_18rocblas_operation_17rocblas_diagonal_iiT3_T4_lilT5_lili.num_agpr, 0
	.set _ZL38rocblas_trsm_small_left_device_sharedBILi24ELi24ELb0EddPKPKdPKPdEv13rocblas_fill_18rocblas_operation_17rocblas_diagonal_iiT3_T4_lilT5_lili.numbered_sgpr, 43
	.set _ZL38rocblas_trsm_small_left_device_sharedBILi24ELi24ELb0EddPKPKdPKPdEv13rocblas_fill_18rocblas_operation_17rocblas_diagonal_iiT3_T4_lilT5_lili.num_named_barrier, 0
	.set _ZL38rocblas_trsm_small_left_device_sharedBILi24ELi24ELb0EddPKPKdPKPdEv13rocblas_fill_18rocblas_operation_17rocblas_diagonal_iiT3_T4_lilT5_lili.private_seg_size, 208
	.set _ZL38rocblas_trsm_small_left_device_sharedBILi24ELi24ELb0EddPKPKdPKPdEv13rocblas_fill_18rocblas_operation_17rocblas_diagonal_iiT3_T4_lilT5_lili.uses_vcc, 1
	.set _ZL38rocblas_trsm_small_left_device_sharedBILi24ELi24ELb0EddPKPKdPKPdEv13rocblas_fill_18rocblas_operation_17rocblas_diagonal_iiT3_T4_lilT5_lili.uses_flat_scratch, 0
	.set _ZL38rocblas_trsm_small_left_device_sharedBILi24ELi24ELb0EddPKPKdPKPdEv13rocblas_fill_18rocblas_operation_17rocblas_diagonal_iiT3_T4_lilT5_lili.has_dyn_sized_stack, 0
	.set _ZL38rocblas_trsm_small_left_device_sharedBILi24ELi24ELb0EddPKPKdPKPdEv13rocblas_fill_18rocblas_operation_17rocblas_diagonal_iiT3_T4_lilT5_lili.has_recursion, 0
	.set _ZL38rocblas_trsm_small_left_device_sharedBILi24ELi24ELb0EddPKPKdPKPdEv13rocblas_fill_18rocblas_operation_17rocblas_diagonal_iiT3_T4_lilT5_lili.has_indirect_call, 0
	.section	.AMDGPU.csdata,"",@progbits
; Kernel info:
; codeLenInByte = 2388
; TotalNumSgprs: 45
; NumVgprs: 19
; ScratchSize: 208
; MemoryBound: 0
; FloatMode: 240
; IeeeMode: 1
; LDSByteSize: 9216 bytes/workgroup (compile time only)
; SGPRBlocks: 0
; VGPRBlocks: 30
; NumSGPRsForWavesPerEU: 45
; NumVGPRsForWavesPerEU: 241
; Occupancy: 4
; WaveLimiterHint : 0
; COMPUTE_PGM_RSRC2:SCRATCH_EN: 1
; COMPUTE_PGM_RSRC2:USER_SGPR: 2
; COMPUTE_PGM_RSRC2:TRAP_HANDLER: 0
; COMPUTE_PGM_RSRC2:TGID_X_EN: 1
; COMPUTE_PGM_RSRC2:TGID_Y_EN: 0
; COMPUTE_PGM_RSRC2:TGID_Z_EN: 1
; COMPUTE_PGM_RSRC2:TIDIG_COMP_CNT: 0
	.section	.text._ZL30rocblas_trsm_small_left_deviceILi24ELi24ELb0EddPKPKdPKPdEv13rocblas_fill_18rocblas_operation_17rocblas_diagonal_iiT3_T4_lilT5_lili,"axG",@progbits,_ZL30rocblas_trsm_small_left_deviceILi24ELi24ELb0EddPKPKdPKPdEv13rocblas_fill_18rocblas_operation_17rocblas_diagonal_iiT3_T4_lilT5_lili,comdat
	.globl	_ZL30rocblas_trsm_small_left_deviceILi24ELi24ELb0EddPKPKdPKPdEv13rocblas_fill_18rocblas_operation_17rocblas_diagonal_iiT3_T4_lilT5_lili ; -- Begin function _ZL30rocblas_trsm_small_left_deviceILi24ELi24ELb0EddPKPKdPKPdEv13rocblas_fill_18rocblas_operation_17rocblas_diagonal_iiT3_T4_lilT5_lili
	.p2align	8
	.type	_ZL30rocblas_trsm_small_left_deviceILi24ELi24ELb0EddPKPKdPKPdEv13rocblas_fill_18rocblas_operation_17rocblas_diagonal_iiT3_T4_lilT5_lili,@function
_ZL30rocblas_trsm_small_left_deviceILi24ELi24ELb0EddPKPKdPKPdEv13rocblas_fill_18rocblas_operation_17rocblas_diagonal_iiT3_T4_lilT5_lili: ; @_ZL30rocblas_trsm_small_left_deviceILi24ELi24ELb0EddPKPKdPKPdEv13rocblas_fill_18rocblas_operation_17rocblas_diagonal_iiT3_T4_lilT5_lili
; %bb.0:
	s_load_b32 s28, s[0:1], 0x60
	s_lshr_b32 s2, ttmp7, 16
	s_wait_kmcnt 0x0
	s_cmp_ge_u32 s2, s28
	s_cbranch_scc1 .LBB93_54
; %bb.1:
	s_clause 0x5
	s_load_b96 s[16:18], s[0:1], 0x28
	s_load_b128 s[12:15], s[0:1], 0x4
	s_load_b32 s3, s[0:1], 0x68
	s_load_b32 s20, s[0:1], 0x50
	s_load_b128 s[4:7], s[0:1], 0x18
	s_load_b128 s[8:11], s[0:1], 0x40
	v_mad_co_u64_u32 v[1:2], null, ttmp9, 24, v[0:1]
	s_mul_i32 s0, ttmp9, 0xffffffe8
	v_dual_mov_b32 v10, 0 :: v_dual_lshlrev_b32 v9, 3, v0
	v_mul_u32_u24_e32 v3, 0xc0, v0
	s_mov_b32 s35, 0
                                        ; implicit-def: $sgpr36
                                        ; implicit-def: $sgpr37
	s_delay_alu instid0(VALU_DEP_1)
	v_add_nc_u32_e32 v13, v9, v3
	s_wait_kmcnt 0x0
	s_ashr_i32 s19, s18, 31
	s_min_i32 s29, s14, 24
	s_add_co_i32 s3, s3, -1
	v_mad_co_i64_i32 v[1:2], null, s20, v1, 0
	s_wait_alu 0xfffe
	s_add_co_i32 s1, s15, s0
	s_add_co_i32 s30, s29, -1
	s_cmp_ge_u32 ttmp9, s3
	v_cmp_gt_i32_e64 s0, s29, v0
	s_wait_alu 0xfffe
	s_cselect_b32 s1, s1, 24
	s_cmp_lg_u32 s13, 0x84
	v_lshlrev_b64_e32 v[1:2], 3, v[1:2]
	s_cselect_b32 s31, -1, 0
	s_cmp_lg_u32 s12, 0x6f
	s_wait_alu 0xfffe
	v_cmp_gt_i32_e64 s1, s1, v0
	s_cselect_b32 s33, -1, 0
	s_lshl_b64 s[10:11], s[10:11], 3
	v_lshlrev_b32_e32 v0, 3, v0
	v_add_co_u32 v11, vcc_lo, v1, s10
	s_delay_alu instid0(VALU_DEP_1)
	v_add_co_ci_u32_e64 v12, null, s11, v2, vcc_lo
	s_mul_i32 s34, s29, 0xc0
	s_lshl_b64 s[12:13], s[18:19], 3
	s_addk_co_i32 s34, 0xff40
	s_mov_b32 s15, 0
	s_lshl_b64 s[16:17], s[16:17], 3
	s_branch .LBB93_4
.LBB93_2:                               ;   in Loop: Header=BB93_4 Depth=1
	s_add_co_i32 s2, s2, 0x10000
	s_delay_alu instid0(SALU_CYCLE_1)
	s_cmp_ge_u32 s2, s28
	s_cselect_b32 s14, -1, 0
	s_and_not1_b32 s37, s37, exec_lo
	s_or_not1_b32 s14, s14, exec_lo
.LBB93_3:                               ;   in Loop: Header=BB93_4 Depth=1
	s_or_b32 exec_lo, exec_lo, s3
	s_delay_alu instid0(SALU_CYCLE_1) | instskip(NEXT) | instid1(SALU_CYCLE_1)
	s_and_b32 s3, exec_lo, s14
	s_or_b32 s35, s3, s35
	s_and_not1_b32 s3, s36, exec_lo
	s_and_b32 s14, s37, exec_lo
	s_delay_alu instid0(SALU_CYCLE_1)
	s_or_b32 s36, s3, s14
	s_and_not1_b32 exec_lo, exec_lo, s35
	s_cbranch_execz .LBB93_53
.LBB93_4:                               ; =>This Loop Header: Depth=1
                                        ;     Child Loop BB93_6 Depth 2
                                        ;     Child Loop BB93_14 Depth 2
                                        ;       Child Loop BB93_17 Depth 3
                                        ;         Child Loop BB93_18 Depth 4
                                        ;         Child Loop BB93_21 Depth 4
                                        ;           Child Loop BB93_22 Depth 5
                                        ;         Child Loop BB93_26 Depth 4
                                        ;           Child Loop BB93_28 Depth 5
                                        ;     Child Loop BB93_36 Depth 2
                                        ;       Child Loop BB93_39 Depth 3
                                        ;         Child Loop BB93_40 Depth 4
                                        ;         Child Loop BB93_42 Depth 4
                                        ;           Child Loop BB93_43 Depth 5
                                        ;         Child Loop BB93_47 Depth 4
                                        ;           Child Loop BB93_49 Depth 5
	s_mov_b32 s3, s15
	s_delay_alu instid0(SALU_CYCLE_1) | instskip(NEXT) | instid1(SALU_CYCLE_1)
	s_lshl_b64 s[18:19], s[2:3], 3
	s_add_nc_u64 s[20:21], s[8:9], s[18:19]
	global_load_b64 v[3:4], v10, s[20:21]
	s_and_saveexec_b32 s3, s0
	s_cbranch_execz .LBB93_10
; %bb.5:                                ;   in Loop: Header=BB93_4 Depth=1
	s_add_nc_u64 s[18:19], s[6:7], s[18:19]
	v_mov_b32_e32 v7, v9
	global_load_b64 v[5:6], v10, s[18:19]
	s_mov_b32 s14, s29
	s_wait_loadcnt 0x0
	v_add_co_u32 v5, vcc_lo, v5, s16
	s_wait_alu 0xfffd
	v_add_co_ci_u32_e64 v6, null, s17, v6, vcc_lo
	s_delay_alu instid0(VALU_DEP_2) | instskip(SKIP_1) | instid1(VALU_DEP_2)
	v_add_co_u32 v5, vcc_lo, v5, v0
	s_wait_alu 0xfffd
	v_add_co_ci_u32_e64 v6, null, 0, v6, vcc_lo
.LBB93_6:                               ;   Parent Loop BB93_4 Depth=1
                                        ; =>  This Inner Loop Header: Depth=2
	flat_load_b64 v[14:15], v[5:6]
	v_add_co_u32 v5, vcc_lo, v5, s12
	s_wait_alu 0xfffd
	v_add_co_ci_u32_e64 v6, null, s13, v6, vcc_lo
	s_add_co_i32 s14, s14, -1
	s_delay_alu instid0(SALU_CYCLE_1)
	s_cmp_eq_u32 s14, 0
	s_wait_loadcnt_dscnt 0x0
	ds_store_b64 v7, v[14:15]
	v_add_nc_u32_e32 v7, 0xc0, v7
	s_cbranch_scc0 .LBB93_6
; %bb.7:                                ;   in Loop: Header=BB93_4 Depth=1
	v_mov_b32_e32 v5, 0
	v_mov_b32_e32 v6, 0x3ff00000
	s_and_b32 vcc_lo, exec_lo, s31
	s_wait_alu 0xfffe
	s_cbranch_vccz .LBB93_9
; %bb.8:                                ;   in Loop: Header=BB93_4 Depth=1
	ds_load_b64 v[5:6], v13
	s_wait_dscnt 0x0
	v_div_scale_f64 v[7:8], null, v[5:6], v[5:6], 1.0
	s_delay_alu instid0(VALU_DEP_1) | instskip(NEXT) | instid1(TRANS32_DEP_1)
	v_rcp_f64_e32 v[14:15], v[7:8]
	v_fma_f64 v[16:17], -v[7:8], v[14:15], 1.0
	s_delay_alu instid0(VALU_DEP_1) | instskip(NEXT) | instid1(VALU_DEP_1)
	v_fma_f64 v[14:15], v[14:15], v[16:17], v[14:15]
	v_fma_f64 v[16:17], -v[7:8], v[14:15], 1.0
	s_delay_alu instid0(VALU_DEP_1) | instskip(SKIP_1) | instid1(VALU_DEP_1)
	v_fma_f64 v[14:15], v[14:15], v[16:17], v[14:15]
	v_div_scale_f64 v[16:17], vcc_lo, 1.0, v[5:6], 1.0
	v_mul_f64_e32 v[18:19], v[16:17], v[14:15]
	s_delay_alu instid0(VALU_DEP_1) | instskip(SKIP_1) | instid1(VALU_DEP_1)
	v_fma_f64 v[7:8], -v[7:8], v[18:19], v[16:17]
	s_wait_alu 0xfffd
	v_div_fmas_f64 v[7:8], v[7:8], v[14:15], v[18:19]
	s_delay_alu instid0(VALU_DEP_1)
	v_div_fixup_f64 v[5:6], v[7:8], v[5:6], 1.0
.LBB93_9:                               ;   in Loop: Header=BB93_4 Depth=1
	ds_store_b64 v13, v[5:6]
.LBB93_10:                              ;   in Loop: Header=BB93_4 Depth=1
	s_or_b32 exec_lo, exec_lo, s3
	s_mov_b32 s14, -1
	s_or_b32 s37, s37, exec_lo
	; wave barrier
	s_wait_loadcnt_dscnt 0x0
	global_inv scope:SCOPE_SE
	s_and_saveexec_b32 s3, s1
	s_cbranch_execz .LBB93_3
; %bb.11:                               ;   in Loop: Header=BB93_4 Depth=1
	v_add_co_u32 v5, vcc_lo, v3, s10
	s_wait_alu 0xfffd
	v_add_co_ci_u32_e64 v6, null, s11, v4, vcc_lo
	s_delay_alu instid0(VALU_DEP_2) | instskip(SKIP_1) | instid1(VALU_DEP_2)
	v_add_co_u32 v14, vcc_lo, v5, v1
	s_wait_alu 0xfffd
	v_add_co_ci_u32_e64 v15, null, v6, v2, vcc_lo
	s_and_not1_b32 vcc_lo, exec_lo, s33
	s_wait_alu 0xfffe
	s_cbranch_vccnz .LBB93_33
; %bb.12:                               ;   in Loop: Header=BB93_4 Depth=1
	v_add_co_u32 v16, vcc_lo, v3, v11
	s_wait_alu 0xfffd
	v_add_co_ci_u32_e64 v17, null, v4, v12, vcc_lo
	s_mov_b32 s20, 0
	s_mov_b32 s18, 0
	s_branch .LBB93_14
.LBB93_13:                              ;   in Loop: Header=BB93_14 Depth=2
	s_cmp_lt_i32 s18, s29
	s_cselect_b32 s14, -1, 0
	s_add_co_i32 s19, s20, 1
	s_cmp_lt_u32 s20, 2
	s_cselect_b32 s20, -1, 0
	s_wait_alu 0xfffe
	s_and_b32 s14, s14, s20
	s_mov_b32 s20, s19
	s_and_b32 vcc_lo, exec_lo, s14
	s_wait_alu 0xfffe
	s_cbranch_vccz .LBB93_32
.LBB93_14:                              ;   Parent Loop BB93_4 Depth=1
                                        ; =>  This Loop Header: Depth=2
                                        ;       Child Loop BB93_17 Depth 3
                                        ;         Child Loop BB93_18 Depth 4
                                        ;         Child Loop BB93_21 Depth 4
                                        ;           Child Loop BB93_22 Depth 5
                                        ;         Child Loop BB93_26 Depth 4
                                        ;           Child Loop BB93_28 Depth 5
	s_mov_b32 s21, s15
	s_getpc_b64 s[22:23]
	s_wait_alu 0xfffe
	s_sext_i32_i16 s23, s23
	s_add_co_u32 s22, s22, __const._ZL30rocblas_trsm_small_left_deviceILi24ELi24ELb0EddPKPKdPKPdEv13rocblas_fill_18rocblas_operation_17rocblas_diagonal_iiT3_T4_lilT5_lili.step_sizes@rel32@lo+12
	s_wait_alu 0xfffe
	s_add_co_ci_u32 s23, s23, __const._ZL30rocblas_trsm_small_left_deviceILi24ELi24ELb0EddPKPKdPKPdEv13rocblas_fill_18rocblas_operation_17rocblas_diagonal_iiT3_T4_lilT5_lili.step_sizes@rel32@hi+24
	s_lshl_b64 s[24:25], s[20:21], 2
	s_wait_alu 0xfffe
	s_add_nc_u64 s[22:23], s[22:23], s[24:25]
	s_load_b32 s22, s[22:23], 0x0
	s_wait_kmcnt 0x0
	s_add_co_i32 s21, s22, -1
	s_wait_alu 0xfffe
	s_add_co_i32 s14, s21, s18
	s_delay_alu instid0(SALU_CYCLE_1)
	s_cmp_ge_i32 s14, s29
	s_cbranch_scc1 .LBB93_13
; %bb.15:                               ;   in Loop: Header=BB93_14 Depth=2
	s_ashr_i32 s19, s18, 31
	s_ashr_i32 s23, s22, 31
	s_lshl_b64 s[24:25], s[18:19], 3
	s_max_i32 s38, s22, 1
	s_wait_alu 0xfffe
	v_add_co_u32 v5, vcc_lo, v16, s24
	s_wait_alu 0xfffd
	v_add_co_ci_u32_e64 v6, null, s25, v17, vcc_lo
	s_lshl_b64 s[24:25], s[22:23], 3
	s_mul_i32 s19, s18, 0xc0
	s_mul_i32 s23, s22, 0xc0
	;; [unrolled: 1-line block ×4, first 2 shown]
	s_branch .LBB93_17
.LBB93_16:                              ;   in Loop: Header=BB93_17 Depth=3
	v_add_co_u32 v5, vcc_lo, v5, s24
	s_add_co_i32 s18, s18, s22
	s_wait_alu 0xfffd
	v_add_co_ci_u32_e64 v6, null, s25, v6, vcc_lo
	s_add_co_i32 s14, s21, s18
	s_add_co_i32 s19, s19, s23
	;; [unrolled: 1-line block ×3, first 2 shown]
	s_cmp_ge_i32 s14, s29
	s_cbranch_scc1 .LBB93_13
.LBB93_17:                              ;   Parent Loop BB93_4 Depth=1
                                        ;     Parent Loop BB93_14 Depth=2
                                        ; =>    This Loop Header: Depth=3
                                        ;         Child Loop BB93_18 Depth 4
                                        ;         Child Loop BB93_21 Depth 4
                                        ;           Child Loop BB93_22 Depth 5
                                        ;         Child Loop BB93_26 Depth 4
                                        ;           Child Loop BB93_28 Depth 5
	v_dual_mov_b32 v8, v6 :: v_dual_mov_b32 v7, v5
	s_mov_b32 s14, 0
	s_mov_b32 s26, s38
.LBB93_18:                              ;   Parent Loop BB93_4 Depth=1
                                        ;     Parent Loop BB93_14 Depth=2
                                        ;       Parent Loop BB93_17 Depth=3
                                        ; =>      This Inner Loop Header: Depth=4
	flat_load_b64 v[18:19], v[7:8]
	v_add_co_u32 v7, vcc_lo, v7, 8
	s_wait_alu 0xfffd
	v_add_co_ci_u32_e64 v8, null, 0, v8, vcc_lo
	s_wait_alu 0xfffe
	s_add_co_i32 s26, s26, -1
	s_wait_loadcnt_dscnt 0x0
	v_mul_f64_e32 v[18:19], s[4:5], v[18:19]
	scratch_store_b64 off, v[18:19], s14
	s_add_co_i32 s14, s14, 8
	s_wait_alu 0xfffe
	s_cmp_eq_u32 s26, 0
	s_cbranch_scc0 .LBB93_18
; %bb.19:                               ;   in Loop: Header=BB93_17 Depth=3
	s_cmp_lt_i32 s18, 1
	s_cbranch_scc1 .LBB93_24
; %bb.20:                               ;   in Loop: Header=BB93_17 Depth=3
	s_mov_b32 s14, 0
	s_mov_b32 s26, s19
.LBB93_21:                              ;   Parent Loop BB93_4 Depth=1
                                        ;     Parent Loop BB93_14 Depth=2
                                        ;       Parent Loop BB93_17 Depth=3
                                        ; =>      This Loop Header: Depth=4
                                        ;           Child Loop BB93_22 Depth 5
	s_lshl_b64 s[42:43], s[14:15], 3
	s_mov_b32 s27, 0
	s_wait_alu 0xfffe
	v_add_co_u32 v7, vcc_lo, v14, s42
	s_wait_alu 0xfffd
	v_add_co_ci_u32_e64 v8, null, s43, v15, vcc_lo
	s_mov_b32 s41, s26
	s_mov_b32 s42, s38
	flat_load_b64 v[7:8], v[7:8]
.LBB93_22:                              ;   Parent Loop BB93_4 Depth=1
                                        ;     Parent Loop BB93_14 Depth=2
                                        ;       Parent Loop BB93_17 Depth=3
                                        ;         Parent Loop BB93_21 Depth=4
                                        ; =>        This Inner Loop Header: Depth=5
	scratch_load_b64 v[18:19], off, s27
	s_wait_alu 0xfffe
	v_mov_b32_e32 v20, s41
	s_add_co_i32 s42, s42, -1
	s_addk_co_i32 s41, 0xc0
	ds_load_b64 v[20:21], v20
	s_wait_loadcnt_dscnt 0x0
	v_fma_f64 v[18:19], -v[7:8], v[20:21], v[18:19]
	scratch_store_b64 off, v[18:19], s27
	s_add_co_i32 s27, s27, 8
	s_wait_alu 0xfffe
	s_cmp_eq_u32 s42, 0
	s_cbranch_scc0 .LBB93_22
; %bb.23:                               ;   in Loop: Header=BB93_21 Depth=4
	s_add_co_i32 s14, s14, 1
	s_add_co_i32 s26, s26, 8
	s_cmp_eq_u32 s14, s18
	s_cbranch_scc0 .LBB93_21
.LBB93_24:                              ;   in Loop: Header=BB93_17 Depth=3
	s_mov_b32 s14, 0
	s_mov_b32 s41, s39
	s_branch .LBB93_26
.LBB93_25:                              ;   in Loop: Header=BB93_26 Depth=4
	s_wait_alu 0xfffe
	s_mul_i32 s27, s26, 0xc8
	s_lshl_b32 s42, s14, 3
	s_wait_alu 0xfffe
	v_mov_b32_e32 v18, s27
	s_ashr_i32 s27, s26, 31
	s_add_co_i32 s14, s14, 1
	s_wait_alu 0xfffe
	s_lshl_b64 s[26:27], s[26:27], 3
	s_addk_co_i32 s41, 0xc0
	ds_load_b64 v[18:19], v18
	s_cmp_eq_u32 s14, s38
	s_wait_loadcnt_dscnt 0x0
	v_mul_f64_e32 v[7:8], v[18:19], v[7:8]
	s_wait_alu 0xfffe
	v_add_co_u32 v18, vcc_lo, v14, s26
	s_wait_alu 0xfffd
	v_add_co_ci_u32_e64 v19, null, s27, v15, vcc_lo
	scratch_store_b64 off, v[7:8], s42
	flat_store_b64 v[18:19], v[7:8]
	s_cbranch_scc1 .LBB93_16
.LBB93_26:                              ;   Parent Loop BB93_4 Depth=1
                                        ;     Parent Loop BB93_14 Depth=2
                                        ;       Parent Loop BB93_17 Depth=3
                                        ; =>      This Loop Header: Depth=4
                                        ;           Child Loop BB93_28 Depth 5
	s_cmp_lg_u32 s14, 0
	s_cbranch_scc0 .LBB93_30
; %bb.27:                               ;   in Loop: Header=BB93_26 Depth=4
	s_lshl_b32 s27, s14, 3
	s_add_co_i32 s26, s14, s18
	scratch_load_b64 v[7:8], off, s27
	s_mov_b32 s42, 0
	s_wait_alu 0xfffe
	s_mov_b32 s43, s41
	s_mov_b32 s44, s14
.LBB93_28:                              ;   Parent Loop BB93_4 Depth=1
                                        ;     Parent Loop BB93_14 Depth=2
                                        ;       Parent Loop BB93_17 Depth=3
                                        ;         Parent Loop BB93_26 Depth=4
                                        ; =>        This Inner Loop Header: Depth=5
	scratch_load_b64 v[18:19], off, s42
	s_wait_alu 0xfffe
	v_mov_b32_e32 v20, s43
	s_add_co_i32 s44, s44, -1
	s_add_co_i32 s42, s42, 8
	s_add_co_i32 s43, s43, 8
	s_cmp_eq_u32 s44, 0
	ds_load_b64 v[20:21], v20
	s_wait_loadcnt_dscnt 0x0
	v_fma_f64 v[7:8], -v[18:19], v[20:21], v[7:8]
	scratch_store_b64 off, v[7:8], s27
	s_cbranch_scc0 .LBB93_28
; %bb.29:                               ;   in Loop: Header=BB93_26 Depth=4
	s_branch .LBB93_25
.LBB93_30:                              ;   in Loop: Header=BB93_26 Depth=4
                                        ; implicit-def: $vgpr7_vgpr8
                                        ; implicit-def: $sgpr26
	s_cbranch_execz .LBB93_25
; %bb.31:                               ;   in Loop: Header=BB93_26 Depth=4
	scratch_load_b64 v[7:8], off, off
	s_mov_b32 s26, s18
	s_branch .LBB93_25
.LBB93_32:                              ;   in Loop: Header=BB93_4 Depth=1
	s_mov_b32 s14, 0
.LBB93_33:                              ;   in Loop: Header=BB93_4 Depth=1
	s_delay_alu instid0(SALU_CYCLE_1)
	s_and_b32 vcc_lo, exec_lo, s14
	s_wait_alu 0xfffe
	s_cbranch_vccz .LBB93_2
; %bb.34:                               ;   in Loop: Header=BB93_4 Depth=1
	v_add_co_u32 v5, vcc_lo, v3, v11
	s_wait_alu 0xfffd
	v_add_co_ci_u32_e64 v6, null, v4, v12, vcc_lo
	s_mov_b32 s14, 0
	s_mov_b32 s18, s30
	s_branch .LBB93_36
.LBB93_35:                              ;   in Loop: Header=BB93_36 Depth=2
	s_cmp_gt_i32 s18, -1
	s_cselect_b32 s19, -1, 0
	s_add_co_i32 s20, s14, 1
	s_cmp_lt_u32 s14, 2
	s_cselect_b32 s14, -1, 0
	s_delay_alu instid0(SALU_CYCLE_1) | instskip(NEXT) | instid1(SALU_CYCLE_1)
	s_and_b32 s14, s19, s14
	s_and_not1_b32 vcc_lo, exec_lo, s14
	s_wait_alu 0xfffe
	s_mov_b32 s14, s20
	s_cbranch_vccnz .LBB93_2
.LBB93_36:                              ;   Parent Loop BB93_4 Depth=1
                                        ; =>  This Loop Header: Depth=2
                                        ;       Child Loop BB93_39 Depth 3
                                        ;         Child Loop BB93_40 Depth 4
                                        ;         Child Loop BB93_42 Depth 4
                                        ;           Child Loop BB93_43 Depth 5
                                        ;         Child Loop BB93_47 Depth 4
                                        ;           Child Loop BB93_49 Depth 5
	s_getpc_b64 s[20:21]
	s_wait_alu 0xfffe
	s_sext_i32_i16 s21, s21
	s_add_co_u32 s20, s20, __const._ZL30rocblas_trsm_small_left_deviceILi24ELi24ELb0EddPKPKdPKPdEv13rocblas_fill_18rocblas_operation_17rocblas_diagonal_iiT3_T4_lilT5_lili.step_sizes@rel32@lo+12
	s_wait_alu 0xfffe
	s_add_co_ci_u32 s21, s21, __const._ZL30rocblas_trsm_small_left_deviceILi24ELi24ELb0EddPKPKdPKPdEv13rocblas_fill_18rocblas_operation_17rocblas_diagonal_iiT3_T4_lilT5_lili.step_sizes@rel32@hi+24
	s_lshl_b64 s[22:23], s[14:15], 2
	s_wait_alu 0xfffe
	s_add_nc_u64 s[20:21], s[20:21], s[22:23]
	s_load_b32 s24, s[20:21], 0x0
	s_wait_kmcnt 0x0
	s_add_co_i32 s25, s24, -1
	s_wait_alu 0xfffe
	s_cmp_lt_i32 s18, s25
	s_cbranch_scc1 .LBB93_35
; %bb.37:                               ;   in Loop: Header=BB93_36 Depth=2
	s_lshl_b32 s19, s18, 3
	s_lshl_b32 s20, s24, 3
	s_max_i32 s26, s24, 1
	s_add_co_i32 s27, s34, s19
	s_wait_alu 0xfffe
	s_sub_co_i32 s38, 0, s20
	s_mul_i32 s39, s18, 0xc8
	s_mul_i32 s40, s24, 0xffffff38
	s_branch .LBB93_39
.LBB93_38:                              ;   in Loop: Header=BB93_39 Depth=3
	s_sub_co_i32 s18, s18, s24
	s_add_co_i32 s27, s27, s38
	s_add_co_i32 s39, s39, s40
	s_cmp_lt_i32 s18, s25
	s_cbranch_scc1 .LBB93_35
.LBB93_39:                              ;   Parent Loop BB93_4 Depth=1
                                        ;     Parent Loop BB93_36 Depth=2
                                        ; =>    This Loop Header: Depth=3
                                        ;         Child Loop BB93_40 Depth 4
                                        ;         Child Loop BB93_42 Depth 4
                                        ;           Child Loop BB93_43 Depth 5
                                        ;         Child Loop BB93_47 Depth 4
                                        ;           Child Loop BB93_49 Depth 5
	s_ashr_i32 s19, s18, 31
	s_delay_alu instid0(SALU_CYCLE_1)
	s_lshl_b64 s[20:21], s[18:19], 3
	s_wait_alu 0xfffe
	v_add_co_u32 v3, vcc_lo, v5, s20
	s_wait_alu 0xfffd
	v_add_co_ci_u32_e64 v4, null, s21, v6, vcc_lo
	s_mov_b32 s20, 0
	s_mov_b32 s21, s26
.LBB93_40:                              ;   Parent Loop BB93_4 Depth=1
                                        ;     Parent Loop BB93_36 Depth=2
                                        ;       Parent Loop BB93_39 Depth=3
                                        ; =>      This Inner Loop Header: Depth=4
	flat_load_b64 v[7:8], v[3:4]
	v_add_co_u32 v3, vcc_lo, v3, -8
	s_wait_alu 0xfffd
	v_add_co_ci_u32_e64 v4, null, -1, v4, vcc_lo
	s_wait_alu 0xfffe
	s_add_co_i32 s21, s21, -1
	s_wait_loadcnt_dscnt 0x0
	v_mul_f64_e32 v[7:8], s[4:5], v[7:8]
	scratch_store_b64 off, v[7:8], s20
	s_add_co_i32 s20, s20, 8
	s_wait_alu 0xfffe
	s_cmp_eq_u32 s21, 0
	s_cbranch_scc0 .LBB93_40
; %bb.41:                               ;   in Loop: Header=BB93_39 Depth=3
	s_cmp_le_i32 s30, s18
	s_mov_b32 s22, s27
	s_mov_b32 s20, s30
	s_cbranch_scc1 .LBB93_45
.LBB93_42:                              ;   Parent Loop BB93_4 Depth=1
                                        ;     Parent Loop BB93_36 Depth=2
                                        ;       Parent Loop BB93_39 Depth=3
                                        ; =>      This Loop Header: Depth=4
                                        ;           Child Loop BB93_43 Depth 5
	s_wait_alu 0xfffe
	s_ashr_i32 s21, s20, 31
	s_mov_b32 s23, s22
	s_wait_alu 0xfffe
	s_lshl_b64 s[42:43], s[20:21], 3
	s_mov_b32 s21, 0
	s_wait_alu 0xfffe
	v_add_co_u32 v3, vcc_lo, v14, s42
	s_wait_alu 0xfffd
	v_add_co_ci_u32_e64 v4, null, s43, v15, vcc_lo
	s_mov_b32 s41, s26
	flat_load_b64 v[3:4], v[3:4]
.LBB93_43:                              ;   Parent Loop BB93_4 Depth=1
                                        ;     Parent Loop BB93_36 Depth=2
                                        ;       Parent Loop BB93_39 Depth=3
                                        ;         Parent Loop BB93_42 Depth=4
                                        ; =>        This Inner Loop Header: Depth=5
	scratch_load_b64 v[7:8], off, s21
	v_mov_b32_e32 v16, s23
	s_wait_alu 0xfffe
	s_add_co_i32 s41, s41, -1
	s_add_co_i32 s23, s23, -8
	ds_load_b64 v[16:17], v16
	s_wait_loadcnt_dscnt 0x0
	v_fma_f64 v[7:8], -v[3:4], v[16:17], v[7:8]
	scratch_store_b64 off, v[7:8], s21
	s_add_co_i32 s21, s21, 8
	s_wait_alu 0xfffe
	s_cmp_eq_u32 s41, 0
	s_cbranch_scc0 .LBB93_43
; %bb.44:                               ;   in Loop: Header=BB93_42 Depth=4
	s_add_co_i32 s20, s20, -1
	s_addk_co_i32 s22, 0xff40
	s_wait_alu 0xfffe
	s_cmp_le_i32 s20, s18
	s_cbranch_scc0 .LBB93_42
.LBB93_45:                              ;   in Loop: Header=BB93_39 Depth=3
	s_mov_b32 s41, 0
	s_mov_b32 s42, s39
	s_branch .LBB93_47
.LBB93_46:                              ;   in Loop: Header=BB93_47 Depth=4
	s_wait_alu 0xfffe
	s_mulk_i32 s22, 0xc8
	s_lshl_b64 s[20:21], s[20:21], 3
	s_wait_alu 0xfffe
	v_mov_b32_e32 v7, s22
	s_lshl_b32 s22, s41, 3
	s_add_co_i32 s41, s41, 1
	s_add_co_i32 s42, s42, -8
	s_wait_alu 0xfffe
	s_cmp_eq_u32 s41, s26
	ds_load_b64 v[7:8], v7
	s_wait_loadcnt_dscnt 0x0
	v_mul_f64_e32 v[3:4], v[7:8], v[3:4]
	v_add_co_u32 v7, vcc_lo, v14, s20
	s_wait_alu 0xfffd
	v_add_co_ci_u32_e64 v8, null, s21, v15, vcc_lo
	scratch_store_b64 off, v[3:4], s22
	flat_store_b64 v[7:8], v[3:4]
	s_cbranch_scc1 .LBB93_38
.LBB93_47:                              ;   Parent Loop BB93_4 Depth=1
                                        ;     Parent Loop BB93_36 Depth=2
                                        ;       Parent Loop BB93_39 Depth=3
                                        ; =>      This Loop Header: Depth=4
                                        ;           Child Loop BB93_49 Depth 5
	s_wait_alu 0xfffe
	s_cmp_lg_u32 s41, 0
	s_cbranch_scc0 .LBB93_51
; %bb.48:                               ;   in Loop: Header=BB93_47 Depth=4
	s_lshl_b32 s20, s41, 3
	s_mov_b32 s21, 0
	scratch_load_b64 v[3:4], off, s20
	s_mov_b32 s22, s42
	s_mov_b32 s23, s41
.LBB93_49:                              ;   Parent Loop BB93_4 Depth=1
                                        ;     Parent Loop BB93_36 Depth=2
                                        ;       Parent Loop BB93_39 Depth=3
                                        ;         Parent Loop BB93_47 Depth=4
                                        ; =>        This Inner Loop Header: Depth=5
	scratch_load_b64 v[7:8], off, s21
	s_wait_alu 0xfffe
	v_mov_b32_e32 v16, s22
	s_add_co_i32 s23, s23, -1
	s_addk_co_i32 s22, 0xff40
	s_add_co_i32 s21, s21, 8
	s_wait_alu 0xfffe
	s_cmp_eq_u32 s23, 0
	ds_load_b64 v[16:17], v16
	s_wait_loadcnt_dscnt 0x0
	v_fma_f64 v[3:4], -v[7:8], v[16:17], v[3:4]
	scratch_store_b64 off, v[3:4], s20
	s_cbranch_scc0 .LBB93_49
; %bb.50:                               ;   in Loop: Header=BB93_47 Depth=4
	s_sub_co_i32 s22, s18, s41
	s_wait_alu 0xfffe
	s_ashr_i32 s23, s22, 31
	s_wait_alu 0xfffe
	s_mov_b64 s[20:21], s[22:23]
	s_branch .LBB93_46
.LBB93_51:                              ;   in Loop: Header=BB93_47 Depth=4
                                        ; implicit-def: $vgpr3_vgpr4
                                        ; implicit-def: $sgpr22
                                        ; implicit-def: $sgpr20_sgpr21
	s_cbranch_execz .LBB93_46
; %bb.52:                               ;   in Loop: Header=BB93_47 Depth=4
	scratch_load_b64 v[3:4], off, off
	s_mov_b64 s[20:21], s[18:19]
	s_mov_b32 s22, s18
	s_branch .LBB93_46
.LBB93_53:
	s_or_b32 exec_lo, exec_lo, s35
	s_and_saveexec_b32 s0, s36
	s_wait_alu 0xfffe
	s_xor_b32 s0, exec_lo, s0
.LBB93_54:
	s_endpgm
	.section	.rodata,"a",@progbits
	.p2align	6, 0x0
	.amdhsa_kernel _ZL30rocblas_trsm_small_left_deviceILi24ELi24ELb0EddPKPKdPKPdEv13rocblas_fill_18rocblas_operation_17rocblas_diagonal_iiT3_T4_lilT5_lili
		.amdhsa_group_segment_fixed_size 4608
		.amdhsa_private_segment_fixed_size 208
		.amdhsa_kernarg_size 360
		.amdhsa_user_sgpr_count 2
		.amdhsa_user_sgpr_dispatch_ptr 0
		.amdhsa_user_sgpr_queue_ptr 0
		.amdhsa_user_sgpr_kernarg_segment_ptr 1
		.amdhsa_user_sgpr_dispatch_id 0
		.amdhsa_user_sgpr_private_segment_size 0
		.amdhsa_wavefront_size32 1
		.amdhsa_uses_dynamic_stack 0
		.amdhsa_enable_private_segment 1
		.amdhsa_system_sgpr_workgroup_id_x 1
		.amdhsa_system_sgpr_workgroup_id_y 0
		.amdhsa_system_sgpr_workgroup_id_z 1
		.amdhsa_system_sgpr_workgroup_info 0
		.amdhsa_system_vgpr_workitem_id 0
		.amdhsa_next_free_vgpr 193
		.amdhsa_next_free_sgpr 45
		.amdhsa_reserve_vcc 1
		.amdhsa_float_round_mode_32 0
		.amdhsa_float_round_mode_16_64 0
		.amdhsa_float_denorm_mode_32 3
		.amdhsa_float_denorm_mode_16_64 3
		.amdhsa_fp16_overflow 0
		.amdhsa_workgroup_processor_mode 1
		.amdhsa_memory_ordered 1
		.amdhsa_forward_progress 1
		.amdhsa_inst_pref_size 19
		.amdhsa_round_robin_scheduling 0
		.amdhsa_exception_fp_ieee_invalid_op 0
		.amdhsa_exception_fp_denorm_src 0
		.amdhsa_exception_fp_ieee_div_zero 0
		.amdhsa_exception_fp_ieee_overflow 0
		.amdhsa_exception_fp_ieee_underflow 0
		.amdhsa_exception_fp_ieee_inexact 0
		.amdhsa_exception_int_div_zero 0
	.end_amdhsa_kernel
	.section	.text._ZL30rocblas_trsm_small_left_deviceILi24ELi24ELb0EddPKPKdPKPdEv13rocblas_fill_18rocblas_operation_17rocblas_diagonal_iiT3_T4_lilT5_lili,"axG",@progbits,_ZL30rocblas_trsm_small_left_deviceILi24ELi24ELb0EddPKPKdPKPdEv13rocblas_fill_18rocblas_operation_17rocblas_diagonal_iiT3_T4_lilT5_lili,comdat
.Lfunc_end93:
	.size	_ZL30rocblas_trsm_small_left_deviceILi24ELi24ELb0EddPKPKdPKPdEv13rocblas_fill_18rocblas_operation_17rocblas_diagonal_iiT3_T4_lilT5_lili, .Lfunc_end93-_ZL30rocblas_trsm_small_left_deviceILi24ELi24ELb0EddPKPKdPKPdEv13rocblas_fill_18rocblas_operation_17rocblas_diagonal_iiT3_T4_lilT5_lili
                                        ; -- End function
	.set _ZL30rocblas_trsm_small_left_deviceILi24ELi24ELb0EddPKPKdPKPdEv13rocblas_fill_18rocblas_operation_17rocblas_diagonal_iiT3_T4_lilT5_lili.num_vgpr, 22
	.set _ZL30rocblas_trsm_small_left_deviceILi24ELi24ELb0EddPKPKdPKPdEv13rocblas_fill_18rocblas_operation_17rocblas_diagonal_iiT3_T4_lilT5_lili.num_agpr, 0
	.set _ZL30rocblas_trsm_small_left_deviceILi24ELi24ELb0EddPKPKdPKPdEv13rocblas_fill_18rocblas_operation_17rocblas_diagonal_iiT3_T4_lilT5_lili.numbered_sgpr, 45
	.set _ZL30rocblas_trsm_small_left_deviceILi24ELi24ELb0EddPKPKdPKPdEv13rocblas_fill_18rocblas_operation_17rocblas_diagonal_iiT3_T4_lilT5_lili.num_named_barrier, 0
	.set _ZL30rocblas_trsm_small_left_deviceILi24ELi24ELb0EddPKPKdPKPdEv13rocblas_fill_18rocblas_operation_17rocblas_diagonal_iiT3_T4_lilT5_lili.private_seg_size, 208
	.set _ZL30rocblas_trsm_small_left_deviceILi24ELi24ELb0EddPKPKdPKPdEv13rocblas_fill_18rocblas_operation_17rocblas_diagonal_iiT3_T4_lilT5_lili.uses_vcc, 1
	.set _ZL30rocblas_trsm_small_left_deviceILi24ELi24ELb0EddPKPKdPKPdEv13rocblas_fill_18rocblas_operation_17rocblas_diagonal_iiT3_T4_lilT5_lili.uses_flat_scratch, 0
	.set _ZL30rocblas_trsm_small_left_deviceILi24ELi24ELb0EddPKPKdPKPdEv13rocblas_fill_18rocblas_operation_17rocblas_diagonal_iiT3_T4_lilT5_lili.has_dyn_sized_stack, 0
	.set _ZL30rocblas_trsm_small_left_deviceILi24ELi24ELb0EddPKPKdPKPdEv13rocblas_fill_18rocblas_operation_17rocblas_diagonal_iiT3_T4_lilT5_lili.has_recursion, 0
	.set _ZL30rocblas_trsm_small_left_deviceILi24ELi24ELb0EddPKPKdPKPdEv13rocblas_fill_18rocblas_operation_17rocblas_diagonal_iiT3_T4_lilT5_lili.has_indirect_call, 0
	.section	.AMDGPU.csdata,"",@progbits
; Kernel info:
; codeLenInByte = 2396
; TotalNumSgprs: 47
; NumVgprs: 22
; ScratchSize: 208
; MemoryBound: 0
; FloatMode: 240
; IeeeMode: 1
; LDSByteSize: 4608 bytes/workgroup (compile time only)
; SGPRBlocks: 0
; VGPRBlocks: 24
; NumSGPRsForWavesPerEU: 47
; NumVGPRsForWavesPerEU: 193
; Occupancy: 7
; WaveLimiterHint : 1
; COMPUTE_PGM_RSRC2:SCRATCH_EN: 1
; COMPUTE_PGM_RSRC2:USER_SGPR: 2
; COMPUTE_PGM_RSRC2:TRAP_HANDLER: 0
; COMPUTE_PGM_RSRC2:TGID_X_EN: 1
; COMPUTE_PGM_RSRC2:TGID_Y_EN: 0
; COMPUTE_PGM_RSRC2:TGID_Z_EN: 1
; COMPUTE_PGM_RSRC2:TIDIG_COMP_CNT: 0
	.section	.text._ZL38rocblas_trsm_small_left_device_sharedBILi24ELi24ELb1EddPKPKdPKPdEv13rocblas_fill_18rocblas_operation_17rocblas_diagonal_iiT3_T4_lilT5_lili,"axG",@progbits,_ZL38rocblas_trsm_small_left_device_sharedBILi24ELi24ELb1EddPKPKdPKPdEv13rocblas_fill_18rocblas_operation_17rocblas_diagonal_iiT3_T4_lilT5_lili,comdat
	.globl	_ZL38rocblas_trsm_small_left_device_sharedBILi24ELi24ELb1EddPKPKdPKPdEv13rocblas_fill_18rocblas_operation_17rocblas_diagonal_iiT3_T4_lilT5_lili ; -- Begin function _ZL38rocblas_trsm_small_left_device_sharedBILi24ELi24ELb1EddPKPKdPKPdEv13rocblas_fill_18rocblas_operation_17rocblas_diagonal_iiT3_T4_lilT5_lili
	.p2align	8
	.type	_ZL38rocblas_trsm_small_left_device_sharedBILi24ELi24ELb1EddPKPKdPKPdEv13rocblas_fill_18rocblas_operation_17rocblas_diagonal_iiT3_T4_lilT5_lili,@function
_ZL38rocblas_trsm_small_left_device_sharedBILi24ELi24ELb1EddPKPKdPKPdEv13rocblas_fill_18rocblas_operation_17rocblas_diagonal_iiT3_T4_lilT5_lili: ; @_ZL38rocblas_trsm_small_left_device_sharedBILi24ELi24ELb1EddPKPKdPKPdEv13rocblas_fill_18rocblas_operation_17rocblas_diagonal_iiT3_T4_lilT5_lili
; %bb.0:
	s_load_b32 s22, s[0:1], 0x60
	s_lshr_b32 s2, ttmp7, 16
	s_wait_kmcnt 0x0
	s_cmp_ge_u32 s2, s22
	s_cbranch_scc1 .LBB94_57
; %bb.1:
	s_clause 0x5
	s_load_b96 s[16:18], s[0:1], 0x28
	s_load_b32 s20, s[0:1], 0x50
	s_load_b128 s[12:15], s[0:1], 0x4
	s_load_b32 s3, s[0:1], 0x68
	s_load_b128 s[4:7], s[0:1], 0x18
	s_load_b128 s[8:11], s[0:1], 0x40
	s_mul_i32 s0, ttmp9, 0xffffffe8
	s_mul_i32 s24, ttmp9, 24
	v_dual_mov_b32 v9, 0 :: v_dual_lshlrev_b32 v8, 3, v0
	v_mul_u32_u24_e32 v4, 0xc0, v0
	s_mov_b32 s19, 0
	s_delay_alu instid0(VALU_DEP_2) | instskip(NEXT) | instid1(VALU_DEP_2)
	v_or_b32_e32 v1, 0x1200, v8
	v_add_nc_u32_e32 v10, v8, v4
	s_wait_kmcnt 0x0
	s_ashr_i32 s29, s18, 31
	s_ashr_i32 s21, s20, 31
	s_min_i32 s1, s14, 24
	s_add_co_i32 s3, s3, -1
	s_add_co_i32 s15, s15, s0
	v_mad_co_i64_i32 v[2:3], null, s20, v0, 0
	s_add_co_i32 s23, s1, -1
	s_cmp_ge_u32 ttmp9, s3
	v_cmp_gt_i32_e64 s0, s1, v0
	s_cselect_b32 s3, s15, 24
	s_ashr_i32 s25, s24, 31
	s_cmp_lg_u32 s13, 0x84
	s_mul_u64 s[20:21], s[20:21], s[24:25]
	s_cselect_b32 s24, -1, 0
	s_cmp_gt_i32 s14, 0
	v_cmp_gt_i32_e32 vcc_lo, s3, v0
	s_cselect_b32 s3, -1, 0
	s_cmp_lg_u32 s12, 0x6f
	v_lshlrev_b64_e32 v[2:3], 3, v[2:3]
	v_lshlrev_b32_e32 v0, 3, v0
	s_mov_b32 s28, s18
	s_cselect_b32 s25, -1, 0
	s_lshl_b32 s27, s1, 3
	s_wait_alu 0xfffe
	s_and_b32 s26, vcc_lo, s3
	s_lshl_b64 s[12:13], s[28:29], 3
	s_add_co_i32 s27, s27, -8
	s_lshl_b64 s[14:15], s[16:17], 3
	s_lshl_b64 s[10:11], s[10:11], 3
	s_lshl_b64 s[16:17], s[20:21], 3
	s_branch .LBB94_3
.LBB94_2:                               ;   in Loop: Header=BB94_3 Depth=1
	s_wait_alu 0xfffe
	s_or_b32 exec_lo, exec_lo, s3
	s_add_co_i32 s2, s2, 0x10000
	s_wait_alu 0xfffe
	s_cmp_lt_u32 s2, s22
	s_cbranch_scc0 .LBB94_57
.LBB94_3:                               ; =>This Loop Header: Depth=1
                                        ;     Child Loop BB94_5 Depth 2
                                        ;     Child Loop BB94_11 Depth 2
                                        ;     Child Loop BB94_15 Depth 2
                                        ;       Child Loop BB94_18 Depth 3
                                        ;         Child Loop BB94_19 Depth 4
                                        ;         Child Loop BB94_21 Depth 4
                                        ;           Child Loop BB94_22 Depth 5
                                        ;         Child Loop BB94_26 Depth 4
                                        ;           Child Loop BB94_28 Depth 5
                                        ;     Child Loop BB94_36 Depth 2
                                        ;       Child Loop BB94_39 Depth 3
                                        ;         Child Loop BB94_40 Depth 4
                                        ;         Child Loop BB94_43 Depth 4
                                        ;           Child Loop BB94_44 Depth 5
                                        ;         Child Loop BB94_48 Depth 4
                                        ;           Child Loop BB94_50 Depth 5
                                        ;     Child Loop BB94_56 Depth 2
	s_mov_b32 s3, s19
	s_wait_alu 0xfffe
	s_lshl_b64 s[20:21], s[2:3], 3
	s_wait_alu 0xfffe
	s_add_nc_u64 s[28:29], s[8:9], s[20:21]
	global_load_b64 v[4:5], v9, s[28:29]
	s_and_saveexec_b32 s3, s0
	s_cbranch_execz .LBB94_9
; %bb.4:                                ;   in Loop: Header=BB94_3 Depth=1
	s_add_nc_u64 s[20:21], s[6:7], s[20:21]
	v_mov_b32_e32 v11, v8
	global_load_b64 v[6:7], v9, s[20:21]
	s_mov_b32 s18, s1
	s_wait_loadcnt 0x0
	v_add_co_u32 v6, vcc_lo, v6, s14
	s_wait_alu 0xfffd
	v_add_co_ci_u32_e64 v7, null, s15, v7, vcc_lo
	s_delay_alu instid0(VALU_DEP_2) | instskip(SKIP_1) | instid1(VALU_DEP_2)
	v_add_co_u32 v6, vcc_lo, v6, v0
	s_wait_alu 0xfffd
	v_add_co_ci_u32_e64 v7, null, 0, v7, vcc_lo
.LBB94_5:                               ;   Parent Loop BB94_3 Depth=1
                                        ; =>  This Inner Loop Header: Depth=2
	flat_load_b64 v[12:13], v[6:7]
	v_add_co_u32 v6, vcc_lo, v6, s12
	s_wait_alu 0xfffd
	v_add_co_ci_u32_e64 v7, null, s13, v7, vcc_lo
	s_add_co_i32 s18, s18, -1
	s_delay_alu instid0(SALU_CYCLE_1)
	s_cmp_eq_u32 s18, 0
	s_wait_loadcnt_dscnt 0x0
	ds_store_b64 v11, v[12:13]
	v_add_nc_u32_e32 v11, 0xc0, v11
	s_cbranch_scc0 .LBB94_5
; %bb.6:                                ;   in Loop: Header=BB94_3 Depth=1
	v_mov_b32_e32 v6, 0
	v_mov_b32_e32 v7, 0x3ff00000
	s_and_b32 vcc_lo, exec_lo, s24
	s_wait_alu 0xfffe
	s_cbranch_vccz .LBB94_8
; %bb.7:                                ;   in Loop: Header=BB94_3 Depth=1
	ds_load_b64 v[6:7], v10
	s_wait_dscnt 0x0
	v_div_scale_f64 v[11:12], null, v[6:7], v[6:7], 1.0
	s_delay_alu instid0(VALU_DEP_1) | instskip(NEXT) | instid1(TRANS32_DEP_1)
	v_rcp_f64_e32 v[13:14], v[11:12]
	v_fma_f64 v[15:16], -v[11:12], v[13:14], 1.0
	s_delay_alu instid0(VALU_DEP_1) | instskip(NEXT) | instid1(VALU_DEP_1)
	v_fma_f64 v[13:14], v[13:14], v[15:16], v[13:14]
	v_fma_f64 v[15:16], -v[11:12], v[13:14], 1.0
	s_delay_alu instid0(VALU_DEP_1) | instskip(SKIP_1) | instid1(VALU_DEP_1)
	v_fma_f64 v[13:14], v[13:14], v[15:16], v[13:14]
	v_div_scale_f64 v[15:16], vcc_lo, 1.0, v[6:7], 1.0
	v_mul_f64_e32 v[17:18], v[15:16], v[13:14]
	s_delay_alu instid0(VALU_DEP_1) | instskip(SKIP_1) | instid1(VALU_DEP_1)
	v_fma_f64 v[11:12], -v[11:12], v[17:18], v[15:16]
	s_wait_alu 0xfffd
	v_div_fmas_f64 v[11:12], v[11:12], v[13:14], v[17:18]
	s_delay_alu instid0(VALU_DEP_1)
	v_div_fixup_f64 v[6:7], v[11:12], v[6:7], 1.0
.LBB94_8:                               ;   in Loop: Header=BB94_3 Depth=1
	ds_store_b64 v10, v[6:7]
.LBB94_9:                               ;   in Loop: Header=BB94_3 Depth=1
	s_wait_alu 0xfffe
	s_or_b32 exec_lo, exec_lo, s3
	s_wait_loadcnt 0x0
	v_add_co_u32 v4, vcc_lo, v4, s10
	s_wait_alu 0xfffd
	v_add_co_ci_u32_e64 v5, null, s11, v5, vcc_lo
	s_delay_alu instid0(VALU_DEP_2) | instskip(SKIP_1) | instid1(VALU_DEP_2)
	v_add_co_u32 v7, vcc_lo, v4, s16
	s_wait_alu 0xfffd
	v_add_co_ci_u32_e64 v11, null, s17, v5, vcc_lo
	s_and_saveexec_b32 s3, s26
	s_cbranch_execz .LBB94_12
; %bb.10:                               ;   in Loop: Header=BB94_3 Depth=1
	v_add_co_u32 v4, vcc_lo, v7, v2
	s_wait_alu 0xfffd
	v_add_co_ci_u32_e64 v5, null, v11, v3, vcc_lo
	v_mov_b32_e32 v6, v1
	s_mov_b32 s18, s1
.LBB94_11:                              ;   Parent Loop BB94_3 Depth=1
                                        ; =>  This Inner Loop Header: Depth=2
	flat_load_b64 v[12:13], v[4:5]
	v_add_co_u32 v4, vcc_lo, v4, 8
	s_wait_alu 0xfffd
	v_add_co_ci_u32_e64 v5, null, 0, v5, vcc_lo
	s_add_co_i32 s18, s18, -1
	s_delay_alu instid0(SALU_CYCLE_1)
	s_cmp_lg_u32 s18, 0
	s_wait_loadcnt_dscnt 0x0
	v_mul_f64_e32 v[12:13], s[4:5], v[12:13]
	ds_store_b64 v6, v[12:13]
	v_add_nc_u32_e32 v6, 0xc0, v6
	s_cbranch_scc1 .LBB94_11
.LBB94_12:                              ;   in Loop: Header=BB94_3 Depth=1
	s_wait_alu 0xfffe
	s_or_b32 exec_lo, exec_lo, s3
	s_delay_alu instid0(SALU_CYCLE_1)
	s_and_not1_b32 vcc_lo, exec_lo, s25
	s_mov_b32 s3, -1
	s_wait_dscnt 0x0
	; wave barrier
	global_inv scope:SCOPE_SE
	s_wait_alu 0xfffe
	s_cbranch_vccnz .LBB94_33
; %bb.13:                               ;   in Loop: Header=BB94_3 Depth=1
	s_mov_b32 s18, 0
	s_mov_b32 s3, s23
	s_branch .LBB94_15
.LBB94_14:                              ;   in Loop: Header=BB94_15 Depth=2
	s_cmp_gt_i32 s3, -1
	s_cselect_b32 s20, -1, 0
	s_add_co_i32 s21, s18, 1
	s_cmp_lt_u32 s18, 2
	s_cselect_b32 s18, -1, 0
	s_wait_alu 0xfffe
	s_and_b32 s18, s20, s18
	s_delay_alu instid0(SALU_CYCLE_1)
	s_and_b32 vcc_lo, exec_lo, s18
	s_mov_b32 s18, s21
	s_wait_alu 0xfffe
	s_cbranch_vccz .LBB94_32
.LBB94_15:                              ;   Parent Loop BB94_3 Depth=1
                                        ; =>  This Loop Header: Depth=2
                                        ;       Child Loop BB94_18 Depth 3
                                        ;         Child Loop BB94_19 Depth 4
                                        ;         Child Loop BB94_21 Depth 4
                                        ;           Child Loop BB94_22 Depth 5
                                        ;         Child Loop BB94_26 Depth 4
                                        ;           Child Loop BB94_28 Depth 5
	s_getpc_b64 s[20:21]
	s_wait_alu 0xfffe
	s_sext_i32_i16 s21, s21
	s_add_co_u32 s20, s20, __const._ZL38rocblas_trsm_small_left_device_sharedBILi24ELi24ELb1EddPKPKdPKPdEv13rocblas_fill_18rocblas_operation_17rocblas_diagonal_iiT3_T4_lilT5_lili.step_sizes@rel32@lo+12
	s_wait_alu 0xfffe
	s_add_co_ci_u32 s21, s21, __const._ZL38rocblas_trsm_small_left_device_sharedBILi24ELi24ELb1EddPKPKdPKPdEv13rocblas_fill_18rocblas_operation_17rocblas_diagonal_iiT3_T4_lilT5_lili.step_sizes@rel32@hi+24
	s_lshl_b64 s[28:29], s[18:19], 2
	s_wait_alu 0xfffe
	s_add_nc_u64 s[20:21], s[20:21], s[28:29]
	s_load_b32 s20, s[20:21], 0x0
	s_wait_kmcnt 0x0
	s_add_co_i32 s21, s20, -1
	s_wait_alu 0xfffe
	s_cmp_lt_i32 s3, s21
	s_cbranch_scc1 .LBB94_14
; %bb.16:                               ;   in Loop: Header=BB94_15 Depth=2
	s_mul_i32 s30, s3, 0xc0
	s_max_i32 s28, s20, 1
	s_wait_alu 0xfffe
	v_add_nc_u32_e32 v6, s30, v1
	s_mul_i32 s29, s20, 0xffffff40
	s_add_co_i32 s30, s27, s30
	s_mul_i32 s31, s3, 0xc8
	s_mul_i32 s33, s20, 0xffffff38
	s_branch .LBB94_18
.LBB94_17:                              ;   in Loop: Header=BB94_18 Depth=3
	v_add_nc_u32_e32 v6, s29, v6
	s_sub_co_i32 s3, s3, s20
	s_add_co_i32 s30, s30, s29
	s_add_co_i32 s31, s31, s33
	s_wait_alu 0xfffe
	s_cmp_lt_i32 s3, s21
	s_cbranch_scc1 .LBB94_14
.LBB94_18:                              ;   Parent Loop BB94_3 Depth=1
                                        ;     Parent Loop BB94_15 Depth=2
                                        ; =>    This Loop Header: Depth=3
                                        ;         Child Loop BB94_19 Depth 4
                                        ;         Child Loop BB94_21 Depth 4
                                        ;           Child Loop BB94_22 Depth 5
                                        ;         Child Loop BB94_26 Depth 4
                                        ;           Child Loop BB94_28 Depth 5
	v_mov_b32_e32 v4, v6
	s_mov_b32 s34, 0
	s_wait_alu 0xfffe
	s_mov_b32 s35, s28
.LBB94_19:                              ;   Parent Loop BB94_3 Depth=1
                                        ;     Parent Loop BB94_15 Depth=2
                                        ;       Parent Loop BB94_18 Depth=3
                                        ; =>      This Inner Loop Header: Depth=4
	ds_load_b64 v[12:13], v4
	v_add_nc_u32_e32 v4, 0xffffff40, v4
	s_wait_alu 0xfffe
	s_add_co_i32 s35, s35, -1
	s_wait_dscnt 0x0
	scratch_store_b64 off, v[12:13], s34
	s_add_co_i32 s34, s34, 8
	s_wait_alu 0xfffe
	s_cmp_eq_u32 s35, 0
	s_cbranch_scc0 .LBB94_19
; %bb.20:                               ;   in Loop: Header=BB94_18 Depth=3
	s_cmp_le_i32 s23, s3
	s_mov_b32 s34, s30
	s_mov_b32 s35, s23
	s_cbranch_scc1 .LBB94_24
.LBB94_21:                              ;   Parent Loop BB94_3 Depth=1
                                        ;     Parent Loop BB94_15 Depth=2
                                        ;       Parent Loop BB94_18 Depth=3
                                        ; =>      This Loop Header: Depth=4
                                        ;           Child Loop BB94_22 Depth 5
	s_wait_alu 0xfffe
	v_mad_co_u64_u32 v[4:5], null, 0xc0, s35, v[1:2]
	s_mov_b32 s36, 0
	s_mov_b32 s37, s34
	;; [unrolled: 1-line block ×3, first 2 shown]
	ds_load_b64 v[4:5], v4
.LBB94_22:                              ;   Parent Loop BB94_3 Depth=1
                                        ;     Parent Loop BB94_15 Depth=2
                                        ;       Parent Loop BB94_18 Depth=3
                                        ;         Parent Loop BB94_21 Depth=4
                                        ; =>        This Inner Loop Header: Depth=5
	scratch_load_b64 v[12:13], off, s36
	s_wait_alu 0xfffe
	v_mov_b32_e32 v14, s37
	s_add_co_i32 s38, s38, -1
	s_addk_co_i32 s37, 0xff40
	ds_load_b64 v[14:15], v14
	s_wait_loadcnt_dscnt 0x0
	v_fma_f64 v[12:13], -v[4:5], v[14:15], v[12:13]
	scratch_store_b64 off, v[12:13], s36
	s_add_co_i32 s36, s36, 8
	s_wait_alu 0xfffe
	s_cmp_eq_u32 s38, 0
	s_cbranch_scc0 .LBB94_22
; %bb.23:                               ;   in Loop: Header=BB94_21 Depth=4
	s_add_co_i32 s35, s35, -1
	s_add_co_i32 s34, s34, -8
	s_wait_alu 0xfffe
	s_cmp_le_i32 s35, s3
	s_cbranch_scc0 .LBB94_21
.LBB94_24:                              ;   in Loop: Header=BB94_18 Depth=3
	s_mul_i32 s34, s3, 0xc0
	s_mov_b32 s35, 0
	s_mov_b32 s36, s31
	s_branch .LBB94_26
.LBB94_25:                              ;   in Loop: Header=BB94_26 Depth=4
	s_wait_alu 0xfffe
	s_mulk_i32 s38, 0xc8
	s_addk_co_i32 s36, 0xff40
	s_wait_alu 0xfffe
	v_mov_b32_e32 v12, s38
	s_lshl_b32 s38, s35, 3
	s_add_co_i32 s35, s35, 1
	s_wait_alu 0xfffe
	s_cmp_eq_u32 s35, s28
	ds_load_b64 v[12:13], v12
	s_wait_loadcnt_dscnt 0x0
	v_mul_f64_e32 v[4:5], v[12:13], v[4:5]
	v_add_nc_u32_e32 v12, s37, v1
	scratch_store_b64 off, v[4:5], s38
	ds_store_b64 v12, v[4:5]
	s_cbranch_scc1 .LBB94_17
.LBB94_26:                              ;   Parent Loop BB94_3 Depth=1
                                        ;     Parent Loop BB94_15 Depth=2
                                        ;       Parent Loop BB94_18 Depth=3
                                        ; =>      This Loop Header: Depth=4
                                        ;           Child Loop BB94_28 Depth 5
	s_wait_alu 0xfffe
	s_cmp_lg_u32 s35, 0
	s_cbranch_scc0 .LBB94_30
; %bb.27:                               ;   in Loop: Header=BB94_26 Depth=4
	s_lshl_b32 s39, s35, 3
	s_sub_co_i32 s38, s3, s35
	scratch_load_b64 v[4:5], off, s39
	s_wait_alu 0xfffe
	s_mul_i32 s37, s38, 0xc0
	s_mov_b32 s40, 0
	s_mov_b32 s41, s36
	;; [unrolled: 1-line block ×3, first 2 shown]
.LBB94_28:                              ;   Parent Loop BB94_3 Depth=1
                                        ;     Parent Loop BB94_15 Depth=2
                                        ;       Parent Loop BB94_18 Depth=3
                                        ;         Parent Loop BB94_26 Depth=4
                                        ; =>        This Inner Loop Header: Depth=5
	scratch_load_b64 v[12:13], off, s40
	s_wait_alu 0xfffe
	v_mov_b32_e32 v14, s41
	s_add_co_i32 s42, s42, -1
	s_add_co_i32 s41, s41, -8
	s_add_co_i32 s40, s40, 8
	s_cmp_eq_u32 s42, 0
	ds_load_b64 v[14:15], v14
	s_wait_loadcnt_dscnt 0x0
	v_fma_f64 v[4:5], -v[12:13], v[14:15], v[4:5]
	scratch_store_b64 off, v[4:5], s39
	s_cbranch_scc0 .LBB94_28
; %bb.29:                               ;   in Loop: Header=BB94_26 Depth=4
	s_branch .LBB94_25
.LBB94_30:                              ;   in Loop: Header=BB94_26 Depth=4
                                        ; implicit-def: $vgpr4_vgpr5
                                        ; implicit-def: $sgpr38
                                        ; implicit-def: $sgpr37
	s_cbranch_execz .LBB94_25
; %bb.31:                               ;   in Loop: Header=BB94_26 Depth=4
	scratch_load_b64 v[4:5], off, off
	s_mov_b32 s37, s34
	s_mov_b32 s38, s3
	s_branch .LBB94_25
.LBB94_32:                              ;   in Loop: Header=BB94_3 Depth=1
	s_mov_b32 s3, 0
.LBB94_33:                              ;   in Loop: Header=BB94_3 Depth=1
	s_wait_alu 0xfffe
	s_and_b32 vcc_lo, exec_lo, s3
	s_wait_alu 0xfffe
	s_cbranch_vccz .LBB94_54
; %bb.34:                               ;   in Loop: Header=BB94_3 Depth=1
	s_mov_b32 s3, 0
	s_wait_alu 0xfffe
	s_mov_b32 s18, s3
	s_branch .LBB94_36
.LBB94_35:                              ;   in Loop: Header=BB94_36 Depth=2
	s_cmp_lt_i32 s3, s1
	s_cselect_b32 s20, -1, 0
	s_add_co_i32 s21, s18, 1
	s_cmp_lt_u32 s18, 2
	s_cselect_b32 s18, -1, 0
	s_wait_alu 0xfffe
	s_and_b32 s18, s20, s18
	s_delay_alu instid0(SALU_CYCLE_1)
	s_and_not1_b32 vcc_lo, exec_lo, s18
	s_mov_b32 s18, s21
	s_wait_alu 0xfffe
	s_cbranch_vccnz .LBB94_54
.LBB94_36:                              ;   Parent Loop BB94_3 Depth=1
                                        ; =>  This Loop Header: Depth=2
                                        ;       Child Loop BB94_39 Depth 3
                                        ;         Child Loop BB94_40 Depth 4
                                        ;         Child Loop BB94_43 Depth 4
                                        ;           Child Loop BB94_44 Depth 5
                                        ;         Child Loop BB94_48 Depth 4
                                        ;           Child Loop BB94_50 Depth 5
	s_getpc_b64 s[20:21]
	s_wait_alu 0xfffe
	s_sext_i32_i16 s21, s21
	s_add_co_u32 s20, s20, __const._ZL38rocblas_trsm_small_left_device_sharedBILi24ELi24ELb1EddPKPKdPKPdEv13rocblas_fill_18rocblas_operation_17rocblas_diagonal_iiT3_T4_lilT5_lili.step_sizes@rel32@lo+12
	s_wait_alu 0xfffe
	s_add_co_ci_u32 s21, s21, __const._ZL38rocblas_trsm_small_left_device_sharedBILi24ELi24ELb1EddPKPKdPKPdEv13rocblas_fill_18rocblas_operation_17rocblas_diagonal_iiT3_T4_lilT5_lili.step_sizes@rel32@hi+24
	s_lshl_b64 s[28:29], s[18:19], 2
	s_wait_alu 0xfffe
	s_add_nc_u64 s[20:21], s[20:21], s[28:29]
	s_load_b32 s20, s[20:21], 0x0
	s_wait_kmcnt 0x0
	s_add_co_i32 s21, s20, -1
	s_wait_alu 0xfffe
	s_add_co_i32 s28, s21, s3
	s_wait_alu 0xfffe
	s_cmp_ge_i32 s28, s1
	s_cbranch_scc1 .LBB94_35
; %bb.37:                               ;   in Loop: Header=BB94_36 Depth=2
	v_mad_co_u64_u32 v[4:5], null, 0xc0, s3, v[1:2]
	s_max_i32 s28, s20, 1
	s_mul_i32 s29, s20, 0xc0
	s_lshl_b32 s30, s3, 3
	s_lshl_b32 s31, s20, 3
	s_mul_i32 s33, s3, 0xc8
	s_mul_i32 s34, s20, 0xc8
	s_branch .LBB94_39
.LBB94_38:                              ;   in Loop: Header=BB94_39 Depth=3
	s_add_co_i32 s3, s3, s20
	v_add_nc_u32_e32 v4, s29, v4
	s_wait_alu 0xfffe
	s_add_co_i32 s35, s21, s3
	s_add_co_i32 s30, s30, s31
	;; [unrolled: 1-line block ×3, first 2 shown]
	s_wait_alu 0xfffe
	s_cmp_ge_i32 s35, s1
	s_cbranch_scc1 .LBB94_35
.LBB94_39:                              ;   Parent Loop BB94_3 Depth=1
                                        ;     Parent Loop BB94_36 Depth=2
                                        ; =>    This Loop Header: Depth=3
                                        ;         Child Loop BB94_40 Depth 4
                                        ;         Child Loop BB94_43 Depth 4
                                        ;           Child Loop BB94_44 Depth 5
                                        ;         Child Loop BB94_48 Depth 4
                                        ;           Child Loop BB94_50 Depth 5
	v_mov_b32_e32 v5, v4
	s_mov_b32 s35, 0
	s_wait_alu 0xfffe
	s_mov_b32 s36, s28
.LBB94_40:                              ;   Parent Loop BB94_3 Depth=1
                                        ;     Parent Loop BB94_36 Depth=2
                                        ;       Parent Loop BB94_39 Depth=3
                                        ; =>      This Inner Loop Header: Depth=4
	ds_load_b64 v[12:13], v5
	v_add_nc_u32_e32 v5, 0xc0, v5
	s_wait_alu 0xfffe
	s_add_co_i32 s36, s36, -1
	s_wait_dscnt 0x0
	scratch_store_b64 off, v[12:13], s35
	s_add_co_i32 s35, s35, 8
	s_wait_alu 0xfffe
	s_cmp_eq_u32 s36, 0
	s_cbranch_scc0 .LBB94_40
; %bb.41:                               ;   in Loop: Header=BB94_39 Depth=3
	s_cmp_lt_i32 s3, 1
	s_cbranch_scc1 .LBB94_46
; %bb.42:                               ;   in Loop: Header=BB94_39 Depth=3
	s_mov_b32 s35, 0
	s_mov_b32 s36, s30
.LBB94_43:                              ;   Parent Loop BB94_3 Depth=1
                                        ;     Parent Loop BB94_36 Depth=2
                                        ;       Parent Loop BB94_39 Depth=3
                                        ; =>      This Loop Header: Depth=4
                                        ;           Child Loop BB94_44 Depth 5
	s_wait_alu 0xfffe
	v_mad_co_u64_u32 v[5:6], null, 0xc0, s35, v[1:2]
	s_mov_b32 s37, 0
	s_mov_b32 s38, s36
	;; [unrolled: 1-line block ×3, first 2 shown]
	ds_load_b64 v[5:6], v5
.LBB94_44:                              ;   Parent Loop BB94_3 Depth=1
                                        ;     Parent Loop BB94_36 Depth=2
                                        ;       Parent Loop BB94_39 Depth=3
                                        ;         Parent Loop BB94_43 Depth=4
                                        ; =>        This Inner Loop Header: Depth=5
	scratch_load_b64 v[12:13], off, s37
	s_wait_alu 0xfffe
	v_mov_b32_e32 v14, s38
	s_add_co_i32 s39, s39, -1
	s_add_co_i32 s38, s38, 8
	ds_load_b64 v[14:15], v14
	s_wait_loadcnt_dscnt 0x0
	v_fma_f64 v[12:13], -v[5:6], v[14:15], v[12:13]
	scratch_store_b64 off, v[12:13], s37
	s_add_co_i32 s37, s37, 8
	s_wait_alu 0xfffe
	s_cmp_eq_u32 s39, 0
	s_cbranch_scc0 .LBB94_44
; %bb.45:                               ;   in Loop: Header=BB94_43 Depth=4
	s_add_co_i32 s35, s35, 1
	s_addk_co_i32 s36, 0xc0
	s_wait_alu 0xfffe
	s_cmp_eq_u32 s35, s3
	s_cbranch_scc0 .LBB94_43
.LBB94_46:                              ;   in Loop: Header=BB94_39 Depth=3
	s_mov_b32 s35, 0
	s_mov_b32 s36, s33
	s_branch .LBB94_48
.LBB94_47:                              ;   in Loop: Header=BB94_48 Depth=4
	s_add_co_i32 s37, s35, s3
	s_add_co_i32 s36, s36, 8
	s_wait_alu 0xfffe
	s_mul_i32 s38, s37, 0xc8
	s_wait_alu 0xfffe
	v_mov_b32_e32 v12, s38
	ds_load_b64 v[12:13], v12
	s_wait_loadcnt_dscnt 0x0
	v_mul_f64_e32 v[5:6], v[12:13], v[5:6]
	v_mad_co_u64_u32 v[12:13], null, 0xc0, s37, v[1:2]
	s_lshl_b32 s37, s35, 3
	s_add_co_i32 s35, s35, 1
	s_wait_alu 0xfffe
	s_cmp_eq_u32 s35, s28
	scratch_store_b64 off, v[5:6], s37
	ds_store_b64 v12, v[5:6]
	s_cbranch_scc1 .LBB94_38
.LBB94_48:                              ;   Parent Loop BB94_3 Depth=1
                                        ;     Parent Loop BB94_36 Depth=2
                                        ;       Parent Loop BB94_39 Depth=3
                                        ; =>      This Loop Header: Depth=4
                                        ;           Child Loop BB94_50 Depth 5
	s_wait_alu 0xfffe
	s_cmp_lg_u32 s35, 0
	s_cbranch_scc0 .LBB94_52
; %bb.49:                               ;   in Loop: Header=BB94_48 Depth=4
	s_lshl_b32 s37, s35, 3
	s_mov_b32 s38, 0
	scratch_load_b64 v[5:6], off, s37
	s_mov_b32 s39, s36
	s_mov_b32 s40, s35
.LBB94_50:                              ;   Parent Loop BB94_3 Depth=1
                                        ;     Parent Loop BB94_36 Depth=2
                                        ;       Parent Loop BB94_39 Depth=3
                                        ;         Parent Loop BB94_48 Depth=4
                                        ; =>        This Inner Loop Header: Depth=5
	scratch_load_b64 v[12:13], off, s38
	s_wait_alu 0xfffe
	v_mov_b32_e32 v14, s39
	s_add_co_i32 s40, s40, -1
	s_addk_co_i32 s39, 0xc0
	s_add_co_i32 s38, s38, 8
	s_wait_alu 0xfffe
	s_cmp_eq_u32 s40, 0
	ds_load_b64 v[14:15], v14
	s_wait_loadcnt_dscnt 0x0
	v_fma_f64 v[5:6], -v[12:13], v[14:15], v[5:6]
	scratch_store_b64 off, v[5:6], s37
	s_cbranch_scc0 .LBB94_50
; %bb.51:                               ;   in Loop: Header=BB94_48 Depth=4
	s_branch .LBB94_47
.LBB94_52:                              ;   in Loop: Header=BB94_48 Depth=4
                                        ; implicit-def: $vgpr5_vgpr6
	s_cbranch_execz .LBB94_47
; %bb.53:                               ;   in Loop: Header=BB94_48 Depth=4
	scratch_load_b64 v[5:6], off, off
	s_branch .LBB94_47
.LBB94_54:                              ;   in Loop: Header=BB94_3 Depth=1
	s_wait_storecnt 0x0
	; wave barrier
	s_wait_loadcnt_dscnt 0x0
	global_inv scope:SCOPE_SE
	s_and_saveexec_b32 s3, s26
	s_cbranch_execz .LBB94_2
; %bb.55:                               ;   in Loop: Header=BB94_3 Depth=1
	v_add_co_u32 v4, vcc_lo, v7, v2
	s_wait_alu 0xfffd
	v_add_co_ci_u32_e64 v5, null, v11, v3, vcc_lo
	v_mov_b32_e32 v6, v1
	s_mov_b32 s18, s1
.LBB94_56:                              ;   Parent Loop BB94_3 Depth=1
                                        ; =>  This Inner Loop Header: Depth=2
	ds_load_b64 v[11:12], v6
	v_add_nc_u32_e32 v6, 0xc0, v6
	s_add_co_i32 s18, s18, -1
	s_delay_alu instid0(SALU_CYCLE_1)
	s_cmp_lg_u32 s18, 0
	s_wait_dscnt 0x0
	flat_store_b64 v[4:5], v[11:12]
	v_add_co_u32 v4, vcc_lo, v4, 8
	s_wait_alu 0xfffd
	v_add_co_ci_u32_e64 v5, null, 0, v5, vcc_lo
	s_cbranch_scc1 .LBB94_56
	s_branch .LBB94_2
.LBB94_57:
	s_endpgm
	.section	.rodata,"a",@progbits
	.p2align	6, 0x0
	.amdhsa_kernel _ZL38rocblas_trsm_small_left_device_sharedBILi24ELi24ELb1EddPKPKdPKPdEv13rocblas_fill_18rocblas_operation_17rocblas_diagonal_iiT3_T4_lilT5_lili
		.amdhsa_group_segment_fixed_size 9216
		.amdhsa_private_segment_fixed_size 208
		.amdhsa_kernarg_size 360
		.amdhsa_user_sgpr_count 2
		.amdhsa_user_sgpr_dispatch_ptr 0
		.amdhsa_user_sgpr_queue_ptr 0
		.amdhsa_user_sgpr_kernarg_segment_ptr 1
		.amdhsa_user_sgpr_dispatch_id 0
		.amdhsa_user_sgpr_private_segment_size 0
		.amdhsa_wavefront_size32 1
		.amdhsa_uses_dynamic_stack 0
		.amdhsa_enable_private_segment 1
		.amdhsa_system_sgpr_workgroup_id_x 1
		.amdhsa_system_sgpr_workgroup_id_y 0
		.amdhsa_system_sgpr_workgroup_id_z 1
		.amdhsa_system_sgpr_workgroup_info 0
		.amdhsa_system_vgpr_workitem_id 0
		.amdhsa_next_free_vgpr 241
		.amdhsa_next_free_sgpr 43
		.amdhsa_reserve_vcc 1
		.amdhsa_float_round_mode_32 0
		.amdhsa_float_round_mode_16_64 0
		.amdhsa_float_denorm_mode_32 3
		.amdhsa_float_denorm_mode_16_64 3
		.amdhsa_fp16_overflow 0
		.amdhsa_workgroup_processor_mode 1
		.amdhsa_memory_ordered 1
		.amdhsa_forward_progress 1
		.amdhsa_inst_pref_size 19
		.amdhsa_round_robin_scheduling 0
		.amdhsa_exception_fp_ieee_invalid_op 0
		.amdhsa_exception_fp_denorm_src 0
		.amdhsa_exception_fp_ieee_div_zero 0
		.amdhsa_exception_fp_ieee_overflow 0
		.amdhsa_exception_fp_ieee_underflow 0
		.amdhsa_exception_fp_ieee_inexact 0
		.amdhsa_exception_int_div_zero 0
	.end_amdhsa_kernel
	.section	.text._ZL38rocblas_trsm_small_left_device_sharedBILi24ELi24ELb1EddPKPKdPKPdEv13rocblas_fill_18rocblas_operation_17rocblas_diagonal_iiT3_T4_lilT5_lili,"axG",@progbits,_ZL38rocblas_trsm_small_left_device_sharedBILi24ELi24ELb1EddPKPKdPKPdEv13rocblas_fill_18rocblas_operation_17rocblas_diagonal_iiT3_T4_lilT5_lili,comdat
.Lfunc_end94:
	.size	_ZL38rocblas_trsm_small_left_device_sharedBILi24ELi24ELb1EddPKPKdPKPdEv13rocblas_fill_18rocblas_operation_17rocblas_diagonal_iiT3_T4_lilT5_lili, .Lfunc_end94-_ZL38rocblas_trsm_small_left_device_sharedBILi24ELi24ELb1EddPKPKdPKPdEv13rocblas_fill_18rocblas_operation_17rocblas_diagonal_iiT3_T4_lilT5_lili
                                        ; -- End function
	.set _ZL38rocblas_trsm_small_left_device_sharedBILi24ELi24ELb1EddPKPKdPKPdEv13rocblas_fill_18rocblas_operation_17rocblas_diagonal_iiT3_T4_lilT5_lili.num_vgpr, 19
	.set _ZL38rocblas_trsm_small_left_device_sharedBILi24ELi24ELb1EddPKPKdPKPdEv13rocblas_fill_18rocblas_operation_17rocblas_diagonal_iiT3_T4_lilT5_lili.num_agpr, 0
	.set _ZL38rocblas_trsm_small_left_device_sharedBILi24ELi24ELb1EddPKPKdPKPdEv13rocblas_fill_18rocblas_operation_17rocblas_diagonal_iiT3_T4_lilT5_lili.numbered_sgpr, 43
	.set _ZL38rocblas_trsm_small_left_device_sharedBILi24ELi24ELb1EddPKPKdPKPdEv13rocblas_fill_18rocblas_operation_17rocblas_diagonal_iiT3_T4_lilT5_lili.num_named_barrier, 0
	.set _ZL38rocblas_trsm_small_left_device_sharedBILi24ELi24ELb1EddPKPKdPKPdEv13rocblas_fill_18rocblas_operation_17rocblas_diagonal_iiT3_T4_lilT5_lili.private_seg_size, 208
	.set _ZL38rocblas_trsm_small_left_device_sharedBILi24ELi24ELb1EddPKPKdPKPdEv13rocblas_fill_18rocblas_operation_17rocblas_diagonal_iiT3_T4_lilT5_lili.uses_vcc, 1
	.set _ZL38rocblas_trsm_small_left_device_sharedBILi24ELi24ELb1EddPKPKdPKPdEv13rocblas_fill_18rocblas_operation_17rocblas_diagonal_iiT3_T4_lilT5_lili.uses_flat_scratch, 0
	.set _ZL38rocblas_trsm_small_left_device_sharedBILi24ELi24ELb1EddPKPKdPKPdEv13rocblas_fill_18rocblas_operation_17rocblas_diagonal_iiT3_T4_lilT5_lili.has_dyn_sized_stack, 0
	.set _ZL38rocblas_trsm_small_left_device_sharedBILi24ELi24ELb1EddPKPKdPKPdEv13rocblas_fill_18rocblas_operation_17rocblas_diagonal_iiT3_T4_lilT5_lili.has_recursion, 0
	.set _ZL38rocblas_trsm_small_left_device_sharedBILi24ELi24ELb1EddPKPKdPKPdEv13rocblas_fill_18rocblas_operation_17rocblas_diagonal_iiT3_T4_lilT5_lili.has_indirect_call, 0
	.section	.AMDGPU.csdata,"",@progbits
; Kernel info:
; codeLenInByte = 2376
; TotalNumSgprs: 45
; NumVgprs: 19
; ScratchSize: 208
; MemoryBound: 0
; FloatMode: 240
; IeeeMode: 1
; LDSByteSize: 9216 bytes/workgroup (compile time only)
; SGPRBlocks: 0
; VGPRBlocks: 30
; NumSGPRsForWavesPerEU: 45
; NumVGPRsForWavesPerEU: 241
; Occupancy: 4
; WaveLimiterHint : 0
; COMPUTE_PGM_RSRC2:SCRATCH_EN: 1
; COMPUTE_PGM_RSRC2:USER_SGPR: 2
; COMPUTE_PGM_RSRC2:TRAP_HANDLER: 0
; COMPUTE_PGM_RSRC2:TGID_X_EN: 1
; COMPUTE_PGM_RSRC2:TGID_Y_EN: 0
; COMPUTE_PGM_RSRC2:TGID_Z_EN: 1
; COMPUTE_PGM_RSRC2:TIDIG_COMP_CNT: 0
	.section	.text._ZL30rocblas_trsm_small_left_deviceILi24ELi24ELb1EddPKPKdPKPdEv13rocblas_fill_18rocblas_operation_17rocblas_diagonal_iiT3_T4_lilT5_lili,"axG",@progbits,_ZL30rocblas_trsm_small_left_deviceILi24ELi24ELb1EddPKPKdPKPdEv13rocblas_fill_18rocblas_operation_17rocblas_diagonal_iiT3_T4_lilT5_lili,comdat
	.globl	_ZL30rocblas_trsm_small_left_deviceILi24ELi24ELb1EddPKPKdPKPdEv13rocblas_fill_18rocblas_operation_17rocblas_diagonal_iiT3_T4_lilT5_lili ; -- Begin function _ZL30rocblas_trsm_small_left_deviceILi24ELi24ELb1EddPKPKdPKPdEv13rocblas_fill_18rocblas_operation_17rocblas_diagonal_iiT3_T4_lilT5_lili
	.p2align	8
	.type	_ZL30rocblas_trsm_small_left_deviceILi24ELi24ELb1EddPKPKdPKPdEv13rocblas_fill_18rocblas_operation_17rocblas_diagonal_iiT3_T4_lilT5_lili,@function
_ZL30rocblas_trsm_small_left_deviceILi24ELi24ELb1EddPKPKdPKPdEv13rocblas_fill_18rocblas_operation_17rocblas_diagonal_iiT3_T4_lilT5_lili: ; @_ZL30rocblas_trsm_small_left_deviceILi24ELi24ELb1EddPKPKdPKPdEv13rocblas_fill_18rocblas_operation_17rocblas_diagonal_iiT3_T4_lilT5_lili
; %bb.0:
	s_load_b32 s26, s[0:1], 0x60
	s_lshr_b32 s2, ttmp7, 16
	s_wait_kmcnt 0x0
	s_cmp_ge_u32 s2, s26
	s_cbranch_scc1 .LBB95_54
; %bb.1:
	s_clause 0x5
	s_load_b96 s[16:18], s[0:1], 0x28
	s_load_b128 s[12:15], s[0:1], 0x4
	s_load_b32 s3, s[0:1], 0x68
	s_load_b32 s20, s[0:1], 0x50
	s_load_b128 s[4:7], s[0:1], 0x18
	s_load_b128 s[8:11], s[0:1], 0x40
	v_mad_co_u64_u32 v[1:2], null, ttmp9, 24, v[0:1]
	s_mul_i32 s0, ttmp9, 0xffffffe8
	v_dual_mov_b32 v8, 0 :: v_dual_lshlrev_b32 v7, 3, v0
	v_mul_u32_u24_e32 v3, 0xc0, v0
	s_mov_b32 s33, 0
                                        ; implicit-def: $sgpr34
                                        ; implicit-def: $sgpr35
	s_delay_alu instid0(VALU_DEP_1)
	v_add_nc_u32_e32 v11, v7, v3
	s_wait_kmcnt 0x0
	s_ashr_i32 s19, s18, 31
	s_min_i32 s27, s14, 24
	s_add_co_i32 s3, s3, -1
	v_mad_co_i64_i32 v[1:2], null, s20, v1, 0
	s_wait_alu 0xfffe
	s_add_co_i32 s0, s15, s0
	s_add_co_i32 s28, s27, -1
	s_wait_alu 0xfffe
	s_cmp_ge_u32 ttmp9, s3
	s_mov_b32 s15, 0
	s_cselect_b32 s1, s0, 24
	s_cmp_lg_u32 s13, 0x84
	v_lshlrev_b64_e32 v[1:2], 3, v[1:2]
	s_cselect_b32 s29, -1, 0
	s_cmp_lg_u32 s12, 0x6f
	v_cmp_gt_i32_e64 s0, s27, v0
	s_cselect_b32 s30, -1, 0
	s_lshl_b64 s[10:11], s[10:11], 3
	s_wait_alu 0xfffe
	v_cmp_gt_i32_e64 s1, s1, v0
	v_add_co_u32 v9, vcc_lo, v1, s10
	s_delay_alu instid0(VALU_DEP_1)
	v_add_co_ci_u32_e64 v10, null, s11, v2, vcc_lo
	v_lshlrev_b32_e32 v0, 3, v0
	s_lshl_b32 s31, s27, 3
	s_lshl_b64 s[12:13], s[18:19], 3
	s_add_co_i32 s31, s31, -8
	s_lshl_b64 s[16:17], s[16:17], 3
	s_branch .LBB95_4
.LBB95_2:                               ;   in Loop: Header=BB95_4 Depth=1
	s_add_co_i32 s2, s2, 0x10000
	s_delay_alu instid0(SALU_CYCLE_1)
	s_cmp_ge_u32 s2, s26
	s_cselect_b32 s14, -1, 0
	s_and_not1_b32 s35, s35, exec_lo
	s_or_not1_b32 s14, s14, exec_lo
.LBB95_3:                               ;   in Loop: Header=BB95_4 Depth=1
	s_or_b32 exec_lo, exec_lo, s3
	s_delay_alu instid0(SALU_CYCLE_1) | instskip(NEXT) | instid1(SALU_CYCLE_1)
	s_and_b32 s3, exec_lo, s14
	s_or_b32 s33, s3, s33
	s_and_not1_b32 s3, s34, exec_lo
	s_and_b32 s14, s35, exec_lo
	s_delay_alu instid0(SALU_CYCLE_1)
	s_or_b32 s34, s3, s14
	s_and_not1_b32 exec_lo, exec_lo, s33
	s_cbranch_execz .LBB95_53
.LBB95_4:                               ; =>This Loop Header: Depth=1
                                        ;     Child Loop BB95_6 Depth 2
                                        ;     Child Loop BB95_14 Depth 2
                                        ;       Child Loop BB95_17 Depth 3
                                        ;         Child Loop BB95_18 Depth 4
                                        ;         Child Loop BB95_20 Depth 4
                                        ;           Child Loop BB95_21 Depth 5
                                        ;         Child Loop BB95_25 Depth 4
                                        ;           Child Loop BB95_27 Depth 5
                                        ;     Child Loop BB95_35 Depth 2
                                        ;       Child Loop BB95_38 Depth 3
                                        ;         Child Loop BB95_39 Depth 4
                                        ;         Child Loop BB95_42 Depth 4
                                        ;           Child Loop BB95_43 Depth 5
                                        ;         Child Loop BB95_47 Depth 4
                                        ;           Child Loop BB95_49 Depth 5
	s_mov_b32 s3, s15
	s_delay_alu instid0(SALU_CYCLE_1) | instskip(NEXT) | instid1(SALU_CYCLE_1)
	s_lshl_b64 s[18:19], s[2:3], 3
	s_add_nc_u64 s[20:21], s[8:9], s[18:19]
	global_load_b64 v[3:4], v8, s[20:21]
	s_and_saveexec_b32 s3, s0
	s_cbranch_execz .LBB95_10
; %bb.5:                                ;   in Loop: Header=BB95_4 Depth=1
	s_add_nc_u64 s[18:19], s[6:7], s[18:19]
	v_mov_b32_e32 v12, v7
	global_load_b64 v[5:6], v8, s[18:19]
	s_mov_b32 s14, s27
	s_wait_loadcnt 0x0
	v_add_co_u32 v5, vcc_lo, v5, s16
	s_wait_alu 0xfffd
	v_add_co_ci_u32_e64 v6, null, s17, v6, vcc_lo
	s_delay_alu instid0(VALU_DEP_2) | instskip(SKIP_1) | instid1(VALU_DEP_2)
	v_add_co_u32 v5, vcc_lo, v5, v0
	s_wait_alu 0xfffd
	v_add_co_ci_u32_e64 v6, null, 0, v6, vcc_lo
.LBB95_6:                               ;   Parent Loop BB95_4 Depth=1
                                        ; =>  This Inner Loop Header: Depth=2
	flat_load_b64 v[13:14], v[5:6]
	v_add_co_u32 v5, vcc_lo, v5, s12
	s_wait_alu 0xfffd
	v_add_co_ci_u32_e64 v6, null, s13, v6, vcc_lo
	s_add_co_i32 s14, s14, -1
	s_delay_alu instid0(SALU_CYCLE_1)
	s_cmp_eq_u32 s14, 0
	s_wait_loadcnt_dscnt 0x0
	ds_store_b64 v12, v[13:14]
	v_add_nc_u32_e32 v12, 0xc0, v12
	s_cbranch_scc0 .LBB95_6
; %bb.7:                                ;   in Loop: Header=BB95_4 Depth=1
	v_mov_b32_e32 v5, 0
	v_mov_b32_e32 v6, 0x3ff00000
	s_and_b32 vcc_lo, exec_lo, s29
	s_wait_alu 0xfffe
	s_cbranch_vccz .LBB95_9
; %bb.8:                                ;   in Loop: Header=BB95_4 Depth=1
	ds_load_b64 v[5:6], v11
	s_wait_dscnt 0x0
	v_div_scale_f64 v[12:13], null, v[5:6], v[5:6], 1.0
	s_delay_alu instid0(VALU_DEP_1) | instskip(NEXT) | instid1(TRANS32_DEP_1)
	v_rcp_f64_e32 v[14:15], v[12:13]
	v_fma_f64 v[16:17], -v[12:13], v[14:15], 1.0
	s_delay_alu instid0(VALU_DEP_1) | instskip(NEXT) | instid1(VALU_DEP_1)
	v_fma_f64 v[14:15], v[14:15], v[16:17], v[14:15]
	v_fma_f64 v[16:17], -v[12:13], v[14:15], 1.0
	s_delay_alu instid0(VALU_DEP_1) | instskip(SKIP_1) | instid1(VALU_DEP_1)
	v_fma_f64 v[14:15], v[14:15], v[16:17], v[14:15]
	v_div_scale_f64 v[16:17], vcc_lo, 1.0, v[5:6], 1.0
	v_mul_f64_e32 v[18:19], v[16:17], v[14:15]
	s_delay_alu instid0(VALU_DEP_1) | instskip(SKIP_1) | instid1(VALU_DEP_1)
	v_fma_f64 v[12:13], -v[12:13], v[18:19], v[16:17]
	s_wait_alu 0xfffd
	v_div_fmas_f64 v[12:13], v[12:13], v[14:15], v[18:19]
	s_delay_alu instid0(VALU_DEP_1)
	v_div_fixup_f64 v[5:6], v[12:13], v[5:6], 1.0
.LBB95_9:                               ;   in Loop: Header=BB95_4 Depth=1
	ds_store_b64 v11, v[5:6]
.LBB95_10:                              ;   in Loop: Header=BB95_4 Depth=1
	s_or_b32 exec_lo, exec_lo, s3
	s_mov_b32 s14, -1
	s_or_b32 s35, s35, exec_lo
	; wave barrier
	s_wait_loadcnt_dscnt 0x0
	global_inv scope:SCOPE_SE
	s_and_saveexec_b32 s3, s1
	s_cbranch_execz .LBB95_3
; %bb.11:                               ;   in Loop: Header=BB95_4 Depth=1
	v_add_co_u32 v5, vcc_lo, v3, s10
	s_wait_alu 0xfffd
	v_add_co_ci_u32_e64 v6, null, s11, v4, vcc_lo
	s_delay_alu instid0(VALU_DEP_2) | instskip(SKIP_1) | instid1(VALU_DEP_2)
	v_add_co_u32 v12, vcc_lo, v5, v1
	s_wait_alu 0xfffd
	v_add_co_ci_u32_e64 v13, null, v6, v2, vcc_lo
	s_and_not1_b32 vcc_lo, exec_lo, s30
	s_wait_alu 0xfffe
	s_cbranch_vccnz .LBB95_32
; %bb.12:                               ;   in Loop: Header=BB95_4 Depth=1
	v_add_co_u32 v14, vcc_lo, v3, v9
	s_wait_alu 0xfffd
	v_add_co_ci_u32_e64 v15, null, v4, v10, vcc_lo
	s_mov_b32 s14, 0
	s_mov_b32 s18, s28
	s_branch .LBB95_14
.LBB95_13:                              ;   in Loop: Header=BB95_14 Depth=2
	s_cmp_gt_i32 s18, -1
	s_cselect_b32 s19, -1, 0
	s_add_co_i32 s20, s14, 1
	s_cmp_lt_u32 s14, 2
	s_cselect_b32 s14, -1, 0
	s_delay_alu instid0(SALU_CYCLE_1) | instskip(NEXT) | instid1(SALU_CYCLE_1)
	s_and_b32 s14, s19, s14
	s_and_b32 vcc_lo, exec_lo, s14
	s_wait_alu 0xfffe
	s_mov_b32 s14, s20
	s_cbranch_vccz .LBB95_31
.LBB95_14:                              ;   Parent Loop BB95_4 Depth=1
                                        ; =>  This Loop Header: Depth=2
                                        ;       Child Loop BB95_17 Depth 3
                                        ;         Child Loop BB95_18 Depth 4
                                        ;         Child Loop BB95_20 Depth 4
                                        ;           Child Loop BB95_21 Depth 5
                                        ;         Child Loop BB95_25 Depth 4
                                        ;           Child Loop BB95_27 Depth 5
	s_getpc_b64 s[20:21]
	s_wait_alu 0xfffe
	s_sext_i32_i16 s21, s21
	s_add_co_u32 s20, s20, __const._ZL30rocblas_trsm_small_left_deviceILi24ELi24ELb1EddPKPKdPKPdEv13rocblas_fill_18rocblas_operation_17rocblas_diagonal_iiT3_T4_lilT5_lili.step_sizes@rel32@lo+12
	s_wait_alu 0xfffe
	s_add_co_ci_u32 s21, s21, __const._ZL30rocblas_trsm_small_left_deviceILi24ELi24ELb1EddPKPKdPKPdEv13rocblas_fill_18rocblas_operation_17rocblas_diagonal_iiT3_T4_lilT5_lili.step_sizes@rel32@hi+24
	s_lshl_b64 s[22:23], s[14:15], 2
	s_wait_alu 0xfffe
	s_add_nc_u64 s[20:21], s[20:21], s[22:23]
	s_load_b32 s24, s[20:21], 0x0
	s_wait_kmcnt 0x0
	s_add_co_i32 s25, s24, -1
	s_wait_alu 0xfffe
	s_cmp_lt_i32 s18, s25
	s_cbranch_scc1 .LBB95_13
; %bb.15:                               ;   in Loop: Header=BB95_14 Depth=2
	s_mul_i32 s19, s18, 0xc0
	s_max_i32 s36, s24, 1
	s_add_co_i32 s37, s31, s19
	s_mul_i32 s38, s24, 0xffffff40
	s_mul_i32 s39, s18, 0xc8
	;; [unrolled: 1-line block ×3, first 2 shown]
	s_branch .LBB95_17
.LBB95_16:                              ;   in Loop: Header=BB95_17 Depth=3
	s_sub_co_i32 s18, s18, s24
	s_add_co_i32 s37, s37, s38
	s_add_co_i32 s39, s39, s40
	s_cmp_lt_i32 s18, s25
	s_cbranch_scc1 .LBB95_13
.LBB95_17:                              ;   Parent Loop BB95_4 Depth=1
                                        ;     Parent Loop BB95_14 Depth=2
                                        ; =>    This Loop Header: Depth=3
                                        ;         Child Loop BB95_18 Depth 4
                                        ;         Child Loop BB95_20 Depth 4
                                        ;           Child Loop BB95_21 Depth 5
                                        ;         Child Loop BB95_25 Depth 4
                                        ;           Child Loop BB95_27 Depth 5
	s_ashr_i32 s19, s18, 31
	s_delay_alu instid0(SALU_CYCLE_1)
	s_lshl_b64 s[20:21], s[18:19], 3
	s_wait_alu 0xfffe
	v_add_co_u32 v5, vcc_lo, v14, s20
	s_wait_alu 0xfffd
	v_add_co_ci_u32_e64 v6, null, s21, v15, vcc_lo
	s_mov_b32 s20, 0
	s_mov_b32 s21, s36
.LBB95_18:                              ;   Parent Loop BB95_4 Depth=1
                                        ;     Parent Loop BB95_14 Depth=2
                                        ;       Parent Loop BB95_17 Depth=3
                                        ; =>      This Inner Loop Header: Depth=4
	flat_load_b64 v[16:17], v[5:6]
	v_add_co_u32 v5, vcc_lo, v5, -8
	s_wait_alu 0xfffd
	v_add_co_ci_u32_e64 v6, null, -1, v6, vcc_lo
	s_wait_alu 0xfffe
	s_add_co_i32 s21, s21, -1
	s_wait_loadcnt_dscnt 0x0
	v_mul_f64_e32 v[16:17], s[4:5], v[16:17]
	scratch_store_b64 off, v[16:17], s20
	s_add_co_i32 s20, s20, 8
	s_wait_alu 0xfffe
	s_cmp_eq_u32 s21, 0
	s_cbranch_scc0 .LBB95_18
; %bb.19:                               ;   in Loop: Header=BB95_17 Depth=3
	s_cmp_le_i32 s28, s18
	s_mov_b32 s22, s37
	s_mov_b32 s20, s28
	s_cbranch_scc1 .LBB95_23
.LBB95_20:                              ;   Parent Loop BB95_4 Depth=1
                                        ;     Parent Loop BB95_14 Depth=2
                                        ;       Parent Loop BB95_17 Depth=3
                                        ; =>      This Loop Header: Depth=4
                                        ;           Child Loop BB95_21 Depth 5
	s_wait_alu 0xfffe
	s_ashr_i32 s21, s20, 31
	s_mov_b32 s23, s22
	s_wait_alu 0xfffe
	s_lshl_b64 s[42:43], s[20:21], 3
	s_mov_b32 s21, 0
	s_wait_alu 0xfffe
	v_add_co_u32 v5, vcc_lo, v12, s42
	s_wait_alu 0xfffd
	v_add_co_ci_u32_e64 v6, null, s43, v13, vcc_lo
	s_mov_b32 s41, s36
	flat_load_b64 v[5:6], v[5:6]
.LBB95_21:                              ;   Parent Loop BB95_4 Depth=1
                                        ;     Parent Loop BB95_14 Depth=2
                                        ;       Parent Loop BB95_17 Depth=3
                                        ;         Parent Loop BB95_20 Depth=4
                                        ; =>        This Inner Loop Header: Depth=5
	scratch_load_b64 v[16:17], off, s21
	v_mov_b32_e32 v18, s23
	s_wait_alu 0xfffe
	s_add_co_i32 s41, s41, -1
	s_addk_co_i32 s23, 0xff40
	ds_load_b64 v[18:19], v18
	s_wait_loadcnt_dscnt 0x0
	v_fma_f64 v[16:17], -v[5:6], v[18:19], v[16:17]
	scratch_store_b64 off, v[16:17], s21
	s_add_co_i32 s21, s21, 8
	s_wait_alu 0xfffe
	s_cmp_eq_u32 s41, 0
	s_cbranch_scc0 .LBB95_21
; %bb.22:                               ;   in Loop: Header=BB95_20 Depth=4
	s_add_co_i32 s20, s20, -1
	s_add_co_i32 s22, s22, -8
	s_wait_alu 0xfffe
	s_cmp_le_i32 s20, s18
	s_cbranch_scc0 .LBB95_20
.LBB95_23:                              ;   in Loop: Header=BB95_17 Depth=3
	s_mov_b32 s41, 0
	s_mov_b32 s42, s39
	s_branch .LBB95_25
.LBB95_24:                              ;   in Loop: Header=BB95_25 Depth=4
	s_wait_alu 0xfffe
	s_mulk_i32 s22, 0xc8
	s_lshl_b64 s[20:21], s[20:21], 3
	s_wait_alu 0xfffe
	v_mov_b32_e32 v16, s22
	s_lshl_b32 s22, s41, 3
	s_add_co_i32 s41, s41, 1
	s_addk_co_i32 s42, 0xff40
	s_wait_alu 0xfffe
	s_cmp_eq_u32 s41, s36
	ds_load_b64 v[16:17], v16
	s_wait_loadcnt_dscnt 0x0
	v_mul_f64_e32 v[5:6], v[16:17], v[5:6]
	v_add_co_u32 v16, vcc_lo, v12, s20
	s_wait_alu 0xfffd
	v_add_co_ci_u32_e64 v17, null, s21, v13, vcc_lo
	scratch_store_b64 off, v[5:6], s22
	flat_store_b64 v[16:17], v[5:6]
	s_cbranch_scc1 .LBB95_16
.LBB95_25:                              ;   Parent Loop BB95_4 Depth=1
                                        ;     Parent Loop BB95_14 Depth=2
                                        ;       Parent Loop BB95_17 Depth=3
                                        ; =>      This Loop Header: Depth=4
                                        ;           Child Loop BB95_27 Depth 5
	s_wait_alu 0xfffe
	s_cmp_lg_u32 s41, 0
	s_cbranch_scc0 .LBB95_29
; %bb.26:                               ;   in Loop: Header=BB95_25 Depth=4
	s_lshl_b32 s20, s41, 3
	s_mov_b32 s21, 0
	scratch_load_b64 v[5:6], off, s20
	s_mov_b32 s22, s42
	s_mov_b32 s23, s41
.LBB95_27:                              ;   Parent Loop BB95_4 Depth=1
                                        ;     Parent Loop BB95_14 Depth=2
                                        ;       Parent Loop BB95_17 Depth=3
                                        ;         Parent Loop BB95_25 Depth=4
                                        ; =>        This Inner Loop Header: Depth=5
	scratch_load_b64 v[16:17], off, s21
	s_wait_alu 0xfffe
	v_mov_b32_e32 v18, s22
	s_add_co_i32 s23, s23, -1
	s_add_co_i32 s22, s22, -8
	s_add_co_i32 s21, s21, 8
	s_wait_alu 0xfffe
	s_cmp_eq_u32 s23, 0
	ds_load_b64 v[18:19], v18
	s_wait_loadcnt_dscnt 0x0
	v_fma_f64 v[5:6], -v[16:17], v[18:19], v[5:6]
	scratch_store_b64 off, v[5:6], s20
	s_cbranch_scc0 .LBB95_27
; %bb.28:                               ;   in Loop: Header=BB95_25 Depth=4
	s_sub_co_i32 s22, s18, s41
	s_wait_alu 0xfffe
	s_ashr_i32 s23, s22, 31
	s_wait_alu 0xfffe
	s_mov_b64 s[20:21], s[22:23]
	s_branch .LBB95_24
.LBB95_29:                              ;   in Loop: Header=BB95_25 Depth=4
                                        ; implicit-def: $vgpr5_vgpr6
                                        ; implicit-def: $sgpr22
                                        ; implicit-def: $sgpr20_sgpr21
	s_cbranch_execz .LBB95_24
; %bb.30:                               ;   in Loop: Header=BB95_25 Depth=4
	scratch_load_b64 v[5:6], off, off
	s_mov_b64 s[20:21], s[18:19]
	s_mov_b32 s22, s18
	s_branch .LBB95_24
.LBB95_31:                              ;   in Loop: Header=BB95_4 Depth=1
	s_mov_b32 s14, 0
.LBB95_32:                              ;   in Loop: Header=BB95_4 Depth=1
	s_delay_alu instid0(SALU_CYCLE_1)
	s_and_b32 vcc_lo, exec_lo, s14
	s_wait_alu 0xfffe
	s_cbranch_vccz .LBB95_2
; %bb.33:                               ;   in Loop: Header=BB95_4 Depth=1
	v_add_co_u32 v14, vcc_lo, v3, v9
	s_wait_alu 0xfffd
	v_add_co_ci_u32_e64 v15, null, v4, v10, vcc_lo
	s_mov_b32 s18, 0
	s_mov_b32 s20, 0
	s_branch .LBB95_35
.LBB95_34:                              ;   in Loop: Header=BB95_35 Depth=2
	s_cmp_lt_i32 s18, s27
	s_cselect_b32 s14, -1, 0
	s_add_co_i32 s19, s20, 1
	s_cmp_lt_u32 s20, 2
	s_cselect_b32 s20, -1, 0
	s_wait_alu 0xfffe
	s_and_b32 s14, s14, s20
	s_mov_b32 s20, s19
	s_and_not1_b32 vcc_lo, exec_lo, s14
	s_wait_alu 0xfffe
	s_cbranch_vccnz .LBB95_2
.LBB95_35:                              ;   Parent Loop BB95_4 Depth=1
                                        ; =>  This Loop Header: Depth=2
                                        ;       Child Loop BB95_38 Depth 3
                                        ;         Child Loop BB95_39 Depth 4
                                        ;         Child Loop BB95_42 Depth 4
                                        ;           Child Loop BB95_43 Depth 5
                                        ;         Child Loop BB95_47 Depth 4
                                        ;           Child Loop BB95_49 Depth 5
	s_mov_b32 s21, s15
	s_getpc_b64 s[22:23]
	s_wait_alu 0xfffe
	s_sext_i32_i16 s23, s23
	s_add_co_u32 s22, s22, __const._ZL30rocblas_trsm_small_left_deviceILi24ELi24ELb1EddPKPKdPKPdEv13rocblas_fill_18rocblas_operation_17rocblas_diagonal_iiT3_T4_lilT5_lili.step_sizes@rel32@lo+12
	s_wait_alu 0xfffe
	s_add_co_ci_u32 s23, s23, __const._ZL30rocblas_trsm_small_left_deviceILi24ELi24ELb1EddPKPKdPKPdEv13rocblas_fill_18rocblas_operation_17rocblas_diagonal_iiT3_T4_lilT5_lili.step_sizes@rel32@hi+24
	s_lshl_b64 s[24:25], s[20:21], 2
	s_wait_alu 0xfffe
	s_add_nc_u64 s[22:23], s[22:23], s[24:25]
	s_load_b32 s22, s[22:23], 0x0
	s_wait_kmcnt 0x0
	s_add_co_i32 s21, s22, -1
	s_wait_alu 0xfffe
	s_add_co_i32 s14, s21, s18
	s_delay_alu instid0(SALU_CYCLE_1)
	s_cmp_ge_i32 s14, s27
	s_cbranch_scc1 .LBB95_34
; %bb.36:                               ;   in Loop: Header=BB95_35 Depth=2
	s_ashr_i32 s19, s18, 31
	s_ashr_i32 s23, s22, 31
	s_lshl_b64 s[24:25], s[18:19], 3
	s_max_i32 s36, s22, 1
	s_wait_alu 0xfffe
	v_add_co_u32 v3, vcc_lo, v14, s24
	s_wait_alu 0xfffd
	v_add_co_ci_u32_e64 v4, null, s25, v15, vcc_lo
	s_lshl_b64 s[24:25], s[22:23], 3
	s_lshl_b32 s19, s18, 3
	s_lshl_b32 s23, s22, 3
	s_mul_i32 s37, s18, 0xc8
	s_mul_i32 s38, s22, 0xc8
	s_branch .LBB95_38
.LBB95_37:                              ;   in Loop: Header=BB95_38 Depth=3
	v_add_co_u32 v3, vcc_lo, v3, s24
	s_add_co_i32 s18, s18, s22
	s_wait_alu 0xfffd
	v_add_co_ci_u32_e64 v4, null, s25, v4, vcc_lo
	s_add_co_i32 s14, s21, s18
	s_add_co_i32 s19, s19, s23
	;; [unrolled: 1-line block ×3, first 2 shown]
	s_cmp_ge_i32 s14, s27
	s_cbranch_scc1 .LBB95_34
.LBB95_38:                              ;   Parent Loop BB95_4 Depth=1
                                        ;     Parent Loop BB95_35 Depth=2
                                        ; =>    This Loop Header: Depth=3
                                        ;         Child Loop BB95_39 Depth 4
                                        ;         Child Loop BB95_42 Depth 4
                                        ;           Child Loop BB95_43 Depth 5
                                        ;         Child Loop BB95_47 Depth 4
                                        ;           Child Loop BB95_49 Depth 5
	v_dual_mov_b32 v6, v4 :: v_dual_mov_b32 v5, v3
	s_mov_b32 s14, 0
	s_mov_b32 s39, s36
.LBB95_39:                              ;   Parent Loop BB95_4 Depth=1
                                        ;     Parent Loop BB95_35 Depth=2
                                        ;       Parent Loop BB95_38 Depth=3
                                        ; =>      This Inner Loop Header: Depth=4
	flat_load_b64 v[16:17], v[5:6]
	v_add_co_u32 v5, vcc_lo, v5, 8
	s_wait_alu 0xfffd
	v_add_co_ci_u32_e64 v6, null, 0, v6, vcc_lo
	s_add_co_i32 s39, s39, -1
	s_wait_loadcnt_dscnt 0x0
	v_mul_f64_e32 v[16:17], s[4:5], v[16:17]
	scratch_store_b64 off, v[16:17], s14
	s_add_co_i32 s14, s14, 8
	s_cmp_eq_u32 s39, 0
	s_cbranch_scc0 .LBB95_39
; %bb.40:                               ;   in Loop: Header=BB95_38 Depth=3
	s_cmp_lt_i32 s18, 1
	s_cbranch_scc1 .LBB95_45
; %bb.41:                               ;   in Loop: Header=BB95_38 Depth=3
	s_mov_b32 s14, 0
	s_mov_b32 s39, s19
.LBB95_42:                              ;   Parent Loop BB95_4 Depth=1
                                        ;     Parent Loop BB95_35 Depth=2
                                        ;       Parent Loop BB95_38 Depth=3
                                        ; =>      This Loop Header: Depth=4
                                        ;           Child Loop BB95_43 Depth 5
	s_lshl_b64 s[40:41], s[14:15], 3
	s_mov_b32 s42, s36
	s_wait_alu 0xfffe
	v_add_co_u32 v5, vcc_lo, v12, s40
	s_wait_alu 0xfffd
	v_add_co_ci_u32_e64 v6, null, s41, v13, vcc_lo
	s_mov_b32 s40, 0
	s_mov_b32 s41, s39
	flat_load_b64 v[5:6], v[5:6]
.LBB95_43:                              ;   Parent Loop BB95_4 Depth=1
                                        ;     Parent Loop BB95_35 Depth=2
                                        ;       Parent Loop BB95_38 Depth=3
                                        ;         Parent Loop BB95_42 Depth=4
                                        ; =>        This Inner Loop Header: Depth=5
	scratch_load_b64 v[16:17], off, s40
	s_wait_alu 0xfffe
	v_mov_b32_e32 v18, s41
	s_add_co_i32 s42, s42, -1
	s_add_co_i32 s41, s41, 8
	ds_load_b64 v[18:19], v18
	s_wait_loadcnt_dscnt 0x0
	v_fma_f64 v[16:17], -v[5:6], v[18:19], v[16:17]
	scratch_store_b64 off, v[16:17], s40
	s_add_co_i32 s40, s40, 8
	s_wait_alu 0xfffe
	s_cmp_eq_u32 s42, 0
	s_cbranch_scc0 .LBB95_43
; %bb.44:                               ;   in Loop: Header=BB95_42 Depth=4
	s_add_co_i32 s14, s14, 1
	s_addk_co_i32 s39, 0xc0
	s_cmp_eq_u32 s14, s18
	s_cbranch_scc0 .LBB95_42
.LBB95_45:                              ;   in Loop: Header=BB95_38 Depth=3
	s_mov_b32 s14, 0
	s_mov_b32 s39, s37
	s_branch .LBB95_47
.LBB95_46:                              ;   in Loop: Header=BB95_47 Depth=4
	s_add_co_i32 s40, s14, s18
	s_lshl_b32 s42, s14, 3
	s_wait_alu 0xfffe
	s_mul_i32 s41, s40, 0xc8
	s_add_co_i32 s14, s14, 1
	s_wait_alu 0xfffe
	v_mov_b32_e32 v16, s41
	s_ashr_i32 s41, s40, 31
	s_add_co_i32 s39, s39, 8
	s_wait_alu 0xfffe
	s_lshl_b64 s[40:41], s[40:41], 3
	s_cmp_eq_u32 s14, s36
	ds_load_b64 v[16:17], v16
	s_wait_loadcnt_dscnt 0x0
	v_mul_f64_e32 v[5:6], v[16:17], v[5:6]
	s_wait_alu 0xfffe
	v_add_co_u32 v16, vcc_lo, v12, s40
	s_wait_alu 0xfffd
	v_add_co_ci_u32_e64 v17, null, s41, v13, vcc_lo
	scratch_store_b64 off, v[5:6], s42
	flat_store_b64 v[16:17], v[5:6]
	s_cbranch_scc1 .LBB95_37
.LBB95_47:                              ;   Parent Loop BB95_4 Depth=1
                                        ;     Parent Loop BB95_35 Depth=2
                                        ;       Parent Loop BB95_38 Depth=3
                                        ; =>      This Loop Header: Depth=4
                                        ;           Child Loop BB95_49 Depth 5
	s_cmp_lg_u32 s14, 0
	s_cbranch_scc0 .LBB95_51
; %bb.48:                               ;   in Loop: Header=BB95_47 Depth=4
	s_lshl_b32 s40, s14, 3
	s_mov_b32 s41, 0
	scratch_load_b64 v[5:6], off, s40
	s_mov_b32 s42, s39
	s_mov_b32 s43, s14
.LBB95_49:                              ;   Parent Loop BB95_4 Depth=1
                                        ;     Parent Loop BB95_35 Depth=2
                                        ;       Parent Loop BB95_38 Depth=3
                                        ;         Parent Loop BB95_47 Depth=4
                                        ; =>        This Inner Loop Header: Depth=5
	scratch_load_b64 v[16:17], off, s41
	s_wait_alu 0xfffe
	v_mov_b32_e32 v18, s42
	s_add_co_i32 s43, s43, -1
	s_addk_co_i32 s42, 0xc0
	s_add_co_i32 s41, s41, 8
	s_wait_alu 0xfffe
	s_cmp_eq_u32 s43, 0
	ds_load_b64 v[18:19], v18
	s_wait_loadcnt_dscnt 0x0
	v_fma_f64 v[5:6], -v[16:17], v[18:19], v[5:6]
	scratch_store_b64 off, v[5:6], s40
	s_cbranch_scc0 .LBB95_49
; %bb.50:                               ;   in Loop: Header=BB95_47 Depth=4
	s_branch .LBB95_46
.LBB95_51:                              ;   in Loop: Header=BB95_47 Depth=4
                                        ; implicit-def: $vgpr5_vgpr6
	s_cbranch_execz .LBB95_46
; %bb.52:                               ;   in Loop: Header=BB95_47 Depth=4
	scratch_load_b64 v[5:6], off, off
	s_branch .LBB95_46
.LBB95_53:
	s_or_b32 exec_lo, exec_lo, s33
	s_and_saveexec_b32 s0, s34
	s_wait_alu 0xfffe
	s_xor_b32 s0, exec_lo, s0
.LBB95_54:
	s_endpgm
	.section	.rodata,"a",@progbits
	.p2align	6, 0x0
	.amdhsa_kernel _ZL30rocblas_trsm_small_left_deviceILi24ELi24ELb1EddPKPKdPKPdEv13rocblas_fill_18rocblas_operation_17rocblas_diagonal_iiT3_T4_lilT5_lili
		.amdhsa_group_segment_fixed_size 4608
		.amdhsa_private_segment_fixed_size 208
		.amdhsa_kernarg_size 360
		.amdhsa_user_sgpr_count 2
		.amdhsa_user_sgpr_dispatch_ptr 0
		.amdhsa_user_sgpr_queue_ptr 0
		.amdhsa_user_sgpr_kernarg_segment_ptr 1
		.amdhsa_user_sgpr_dispatch_id 0
		.amdhsa_user_sgpr_private_segment_size 0
		.amdhsa_wavefront_size32 1
		.amdhsa_uses_dynamic_stack 0
		.amdhsa_enable_private_segment 1
		.amdhsa_system_sgpr_workgroup_id_x 1
		.amdhsa_system_sgpr_workgroup_id_y 0
		.amdhsa_system_sgpr_workgroup_id_z 1
		.amdhsa_system_sgpr_workgroup_info 0
		.amdhsa_system_vgpr_workitem_id 0
		.amdhsa_next_free_vgpr 193
		.amdhsa_next_free_sgpr 44
		.amdhsa_reserve_vcc 1
		.amdhsa_float_round_mode_32 0
		.amdhsa_float_round_mode_16_64 0
		.amdhsa_float_denorm_mode_32 3
		.amdhsa_float_denorm_mode_16_64 3
		.amdhsa_fp16_overflow 0
		.amdhsa_workgroup_processor_mode 1
		.amdhsa_memory_ordered 1
		.amdhsa_forward_progress 1
		.amdhsa_inst_pref_size 19
		.amdhsa_round_robin_scheduling 0
		.amdhsa_exception_fp_ieee_invalid_op 0
		.amdhsa_exception_fp_denorm_src 0
		.amdhsa_exception_fp_ieee_div_zero 0
		.amdhsa_exception_fp_ieee_overflow 0
		.amdhsa_exception_fp_ieee_underflow 0
		.amdhsa_exception_fp_ieee_inexact 0
		.amdhsa_exception_int_div_zero 0
	.end_amdhsa_kernel
	.section	.text._ZL30rocblas_trsm_small_left_deviceILi24ELi24ELb1EddPKPKdPKPdEv13rocblas_fill_18rocblas_operation_17rocblas_diagonal_iiT3_T4_lilT5_lili,"axG",@progbits,_ZL30rocblas_trsm_small_left_deviceILi24ELi24ELb1EddPKPKdPKPdEv13rocblas_fill_18rocblas_operation_17rocblas_diagonal_iiT3_T4_lilT5_lili,comdat
.Lfunc_end95:
	.size	_ZL30rocblas_trsm_small_left_deviceILi24ELi24ELb1EddPKPKdPKPdEv13rocblas_fill_18rocblas_operation_17rocblas_diagonal_iiT3_T4_lilT5_lili, .Lfunc_end95-_ZL30rocblas_trsm_small_left_deviceILi24ELi24ELb1EddPKPKdPKPdEv13rocblas_fill_18rocblas_operation_17rocblas_diagonal_iiT3_T4_lilT5_lili
                                        ; -- End function
	.set _ZL30rocblas_trsm_small_left_deviceILi24ELi24ELb1EddPKPKdPKPdEv13rocblas_fill_18rocblas_operation_17rocblas_diagonal_iiT3_T4_lilT5_lili.num_vgpr, 20
	.set _ZL30rocblas_trsm_small_left_deviceILi24ELi24ELb1EddPKPKdPKPdEv13rocblas_fill_18rocblas_operation_17rocblas_diagonal_iiT3_T4_lilT5_lili.num_agpr, 0
	.set _ZL30rocblas_trsm_small_left_deviceILi24ELi24ELb1EddPKPKdPKPdEv13rocblas_fill_18rocblas_operation_17rocblas_diagonal_iiT3_T4_lilT5_lili.numbered_sgpr, 44
	.set _ZL30rocblas_trsm_small_left_deviceILi24ELi24ELb1EddPKPKdPKPdEv13rocblas_fill_18rocblas_operation_17rocblas_diagonal_iiT3_T4_lilT5_lili.num_named_barrier, 0
	.set _ZL30rocblas_trsm_small_left_deviceILi24ELi24ELb1EddPKPKdPKPdEv13rocblas_fill_18rocblas_operation_17rocblas_diagonal_iiT3_T4_lilT5_lili.private_seg_size, 208
	.set _ZL30rocblas_trsm_small_left_deviceILi24ELi24ELb1EddPKPKdPKPdEv13rocblas_fill_18rocblas_operation_17rocblas_diagonal_iiT3_T4_lilT5_lili.uses_vcc, 1
	.set _ZL30rocblas_trsm_small_left_deviceILi24ELi24ELb1EddPKPKdPKPdEv13rocblas_fill_18rocblas_operation_17rocblas_diagonal_iiT3_T4_lilT5_lili.uses_flat_scratch, 0
	.set _ZL30rocblas_trsm_small_left_deviceILi24ELi24ELb1EddPKPKdPKPdEv13rocblas_fill_18rocblas_operation_17rocblas_diagonal_iiT3_T4_lilT5_lili.has_dyn_sized_stack, 0
	.set _ZL30rocblas_trsm_small_left_deviceILi24ELi24ELb1EddPKPKdPKPdEv13rocblas_fill_18rocblas_operation_17rocblas_diagonal_iiT3_T4_lilT5_lili.has_recursion, 0
	.set _ZL30rocblas_trsm_small_left_deviceILi24ELi24ELb1EddPKPKdPKPdEv13rocblas_fill_18rocblas_operation_17rocblas_diagonal_iiT3_T4_lilT5_lili.has_indirect_call, 0
	.section	.AMDGPU.csdata,"",@progbits
; Kernel info:
; codeLenInByte = 2372
; TotalNumSgprs: 46
; NumVgprs: 20
; ScratchSize: 208
; MemoryBound: 0
; FloatMode: 240
; IeeeMode: 1
; LDSByteSize: 4608 bytes/workgroup (compile time only)
; SGPRBlocks: 0
; VGPRBlocks: 24
; NumSGPRsForWavesPerEU: 46
; NumVGPRsForWavesPerEU: 193
; Occupancy: 7
; WaveLimiterHint : 1
; COMPUTE_PGM_RSRC2:SCRATCH_EN: 1
; COMPUTE_PGM_RSRC2:USER_SGPR: 2
; COMPUTE_PGM_RSRC2:TRAP_HANDLER: 0
; COMPUTE_PGM_RSRC2:TGID_X_EN: 1
; COMPUTE_PGM_RSRC2:TGID_Y_EN: 0
; COMPUTE_PGM_RSRC2:TGID_Z_EN: 1
; COMPUTE_PGM_RSRC2:TIDIG_COMP_CNT: 0
	.section	.text._ZL31rocblas_trsm_small_right_deviceIddPKPKdPKPdLi24EEv13rocblas_fill_18rocblas_operation_17rocblas_diagonal_iiT0_T1_lilT2_lili,"axG",@progbits,_ZL31rocblas_trsm_small_right_deviceIddPKPKdPKPdLi24EEv13rocblas_fill_18rocblas_operation_17rocblas_diagonal_iiT0_T1_lilT2_lili,comdat
	.globl	_ZL31rocblas_trsm_small_right_deviceIddPKPKdPKPdLi24EEv13rocblas_fill_18rocblas_operation_17rocblas_diagonal_iiT0_T1_lilT2_lili ; -- Begin function _ZL31rocblas_trsm_small_right_deviceIddPKPKdPKPdLi24EEv13rocblas_fill_18rocblas_operation_17rocblas_diagonal_iiT0_T1_lilT2_lili
	.p2align	8
	.type	_ZL31rocblas_trsm_small_right_deviceIddPKPKdPKPdLi24EEv13rocblas_fill_18rocblas_operation_17rocblas_diagonal_iiT0_T1_lilT2_lili,@function
_ZL31rocblas_trsm_small_right_deviceIddPKPKdPKPdLi24EEv13rocblas_fill_18rocblas_operation_17rocblas_diagonal_iiT0_T1_lilT2_lili: ; @_ZL31rocblas_trsm_small_right_deviceIddPKPKdPKPdLi24EEv13rocblas_fill_18rocblas_operation_17rocblas_diagonal_iiT0_T1_lilT2_lili
; %bb.0:
	s_load_b32 s22, s[0:1], 0x60
	s_lshr_b32 s2, ttmp7, 16
	s_wait_kmcnt 0x0
	s_cmp_ge_u32 s2, s22
	s_cbranch_scc1 .LBB96_82
; %bb.1:
	s_clause 0x6
	s_load_b96 s[16:18], s[0:1], 0x28
	s_load_b32 s30, s[0:1], 0x50
	s_load_b128 s[12:15], s[0:1], 0x0
	s_load_b32 s23, s[0:1], 0x10
	s_load_b32 s3, s[0:1], 0x68
	s_load_b128 s[4:7], s[0:1], 0x18
	s_load_b128 s[8:11], s[0:1], 0x40
	s_mul_i32 s0, ttmp9, 0xffffffe8
	v_dual_mov_b32 v8, 0 :: v_dual_lshlrev_b32 v13, 3, v0
	v_mul_u32_u24_e32 v1, 0xc0, v0
	v_lshlrev_b32_e32 v17, 3, v0
	v_mov_b32_e32 v9, 0x3ff00000
	s_delay_alu instid0(VALU_DEP_4)
	v_or_b32_e32 v10, 0x1200, v13
	s_mov_b32 s20, ttmp9
	v_add_nc_u32_e32 v16, v13, v1
	s_wait_kmcnt 0x0
	s_ashr_i32 s19, s18, 31
	s_ashr_i32 s31, s30, 31
	s_cmp_lg_u32 s12, 0x7a
	s_cselect_b32 s26, -1, 0
	s_min_i32 s1, s23, 24
	s_add_co_i32 s3, s3, -1
	s_add_co_i32 s0, s15, s0
	s_add_co_i32 s24, s1, -1
	s_cmp_ge_u32 ttmp9, s3
	s_mul_i32 s33, s1, 0xc0
	s_cselect_b32 s15, s0, 24
	s_ashr_i32 s21, ttmp9, 31
	s_cmp_eq_u32 s14, 0x84
	v_cmp_gt_i32_e32 vcc_lo, s15, v0
	s_cselect_b32 s25, -1, 0
	s_cmp_gt_i32 s23, 0
	v_cmp_gt_i32_e64 s0, s1, v0
	s_cselect_b32 s14, -1, 0
	s_cmp_lg_u32 s13, 0x6f
	v_add3_u32 v15, s33, v13, 0x1140
	s_cselect_b32 s13, -1, 0
	s_cmp_lg_u32 s12, 0x79
	s_mul_i32 s34, s1, 0xc8
	s_cselect_b32 s12, -1, 0
	s_or_b32 s26, s26, s13
	s_or_b32 s27, s12, s13
	s_cmp_gt_i32 s23, 3
	v_cndmask_b32_e64 v14, 0, 1, s12
	s_cselect_b32 s28, -1, 0
	s_lshl_b32 s36, s1, 3
	s_mov_b32 s3, 0
	s_mul_u64 s[12:13], s[20:21], 0xc0
	s_wait_alu 0xfffe
	s_and_b32 s29, vcc_lo, s14
	s_lshl_b64 s[14:15], s[18:19], 3
	s_lshl_b64 s[18:19], s[30:31], 3
	s_add_co_i32 s30, s34, 0xffffff20
	s_add_co_i32 s31, s33, 0xffffff40
	s_addk_co_i32 s33, 0xff38
	s_addk_co_i32 s34, 0xfcf8
	s_add_co_i32 s35, s36, -8
	s_addk_co_i32 s36, 0xff38
	s_lshl_b64 s[16:17], s[16:17], 3
	s_lshl_b64 s[10:11], s[10:11], 3
	s_branch .LBB96_3
.LBB96_2:                               ;   in Loop: Header=BB96_3 Depth=1
	s_wait_alu 0xfffe
	s_or_b32 exec_lo, exec_lo, s20
	s_add_co_i32 s2, s2, 0x10000
	s_delay_alu instid0(SALU_CYCLE_1)
	s_cmp_lt_u32 s2, s22
	s_cbranch_scc0 .LBB96_82
.LBB96_3:                               ; =>This Loop Header: Depth=1
                                        ;     Child Loop BB96_5 Depth 2
                                        ;     Child Loop BB96_10 Depth 2
	;; [unrolled: 1-line block ×3, first 2 shown]
                                        ;       Child Loop BB96_17 Depth 3
                                        ;     Child Loop BB96_23 Depth 2
                                        ;       Child Loop BB96_24 Depth 3
                                        ;     Child Loop BB96_28 Depth 2
	;; [unrolled: 2-line block ×3, first 2 shown]
                                        ;     Child Loop BB96_42 Depth 2
                                        ;       Child Loop BB96_43 Depth 3
                                        ;       Child Loop BB96_45 Depth 3
                                        ;     Child Loop BB96_49 Depth 2
                                        ;       Child Loop BB96_50 Depth 3
                                        ;     Child Loop BB96_57 Depth 2
                                        ;     Child Loop BB96_62 Depth 2
                                        ;       Child Loop BB96_63 Depth 3
                                        ;       Child Loop BB96_65 Depth 3
                                        ;     Child Loop BB96_70 Depth 2
                                        ;       Child Loop BB96_71 Depth 3
                                        ;     Child Loop BB96_77 Depth 2
	;; [unrolled: 2-line block ×3, first 2 shown]
	s_lshl_b64 s[20:21], s[2:3], 3
	s_wait_alu 0xfffe
	s_add_nc_u64 s[38:39], s[8:9], s[20:21]
	global_load_b64 v[0:1], v8, s[38:39]
	s_and_saveexec_b32 s37, s0
	s_cbranch_execz .LBB96_8
; %bb.4:                                ;   in Loop: Header=BB96_3 Depth=1
	s_add_nc_u64 s[20:21], s[6:7], s[20:21]
	v_mov_b32_e32 v4, v13
	global_load_b64 v[2:3], v8, s[20:21]
	s_mov_b32 s20, s1
	s_wait_loadcnt 0x0
	v_add_co_u32 v2, vcc_lo, v2, s16
	s_wait_alu 0xfffd
	v_add_co_ci_u32_e64 v3, null, s17, v3, vcc_lo
	s_delay_alu instid0(VALU_DEP_2) | instskip(SKIP_1) | instid1(VALU_DEP_2)
	v_add_co_u32 v2, vcc_lo, v2, v17
	s_wait_alu 0xfffd
	v_add_co_ci_u32_e64 v3, null, 0, v3, vcc_lo
.LBB96_5:                               ;   Parent Loop BB96_3 Depth=1
                                        ; =>  This Inner Loop Header: Depth=2
	flat_load_b64 v[5:6], v[2:3]
	s_wait_alu 0xfffe
	v_add_co_u32 v2, vcc_lo, v2, s14
	s_wait_alu 0xfffd
	v_add_co_ci_u32_e64 v3, null, s15, v3, vcc_lo
	s_add_co_i32 s20, s20, -1
	s_wait_alu 0xfffe
	s_cmp_eq_u32 s20, 0
	s_wait_loadcnt_dscnt 0x0
	ds_store_b64 v4, v[5:6]
	v_add_nc_u32_e32 v4, 0xc0, v4
	s_cbranch_scc0 .LBB96_5
; %bb.6:                                ;   in Loop: Header=BB96_3 Depth=1
	s_and_b32 vcc_lo, exec_lo, s25
	s_wait_alu 0xfffe
	s_cbranch_vccz .LBB96_8
; %bb.7:                                ;   in Loop: Header=BB96_3 Depth=1
	ds_store_b64 v16, v[8:9]
.LBB96_8:                               ;   in Loop: Header=BB96_3 Depth=1
	s_wait_alu 0xfffe
	s_or_b32 exec_lo, exec_lo, s37
	s_wait_loadcnt 0x0
	v_add_co_u32 v0, vcc_lo, v0, s10
	s_wait_alu 0xfffd
	v_add_co_ci_u32_e64 v1, null, s11, v1, vcc_lo
	s_delay_alu instid0(VALU_DEP_2) | instskip(SKIP_1) | instid1(VALU_DEP_2)
	v_add_co_u32 v18, vcc_lo, v0, s12
	s_wait_alu 0xfffd
	v_add_co_ci_u32_e64 v19, null, s13, v1, vcc_lo
	s_and_saveexec_b32 s20, s29
	s_cbranch_execz .LBB96_11
; %bb.9:                                ;   in Loop: Header=BB96_3 Depth=1
	v_add_co_u32 v0, vcc_lo, v18, v17
	s_wait_alu 0xfffd
	v_add_co_ci_u32_e64 v1, null, 0, v19, vcc_lo
	v_mov_b32_e32 v2, v10
	s_mov_b32 s21, s23
.LBB96_10:                              ;   Parent Loop BB96_3 Depth=1
                                        ; =>  This Inner Loop Header: Depth=2
	flat_load_b64 v[3:4], v[0:1]
	v_add_co_u32 v0, vcc_lo, v0, s18
	s_wait_alu 0xfffd
	v_add_co_ci_u32_e64 v1, null, s19, v1, vcc_lo
	s_wait_alu 0xfffe
	s_add_co_i32 s21, s21, -1
	s_wait_alu 0xfffe
	s_cmp_lg_u32 s21, 0
	s_wait_loadcnt_dscnt 0x0
	v_mul_f64_e32 v[3:4], s[4:5], v[3:4]
	ds_store_b64 v2, v[3:4]
	v_add_nc_u32_e32 v2, 0xc0, v2
	s_cbranch_scc1 .LBB96_10
.LBB96_11:                              ;   in Loop: Header=BB96_3 Depth=1
	s_wait_alu 0xfffe
	s_or_b32 exec_lo, exec_lo, s20
	s_delay_alu instid0(SALU_CYCLE_1)
	s_and_b32 vcc_lo, exec_lo, s27
	s_mov_b32 s20, -1
	s_wait_dscnt 0x0
	; wave barrier
	global_inv scope:SCOPE_SE
	s_wait_alu 0xfffe
	s_cbranch_vccz .LBB96_67
; %bb.12:                               ;   in Loop: Header=BB96_3 Depth=1
	s_and_b32 vcc_lo, exec_lo, s26
	s_wait_alu 0xfffe
	s_cbranch_vccz .LBB96_47
; %bb.13:                               ;   in Loop: Header=BB96_3 Depth=1
	v_cmp_ne_u32_e32 vcc_lo, 1, v14
	s_cbranch_vccnz .LBB96_26
; %bb.14:                               ;   in Loop: Header=BB96_3 Depth=1
	s_and_not1_b32 vcc_lo, exec_lo, s28
	s_mov_b32 s37, 0
	s_wait_alu 0xfffe
	s_cbranch_vccnz .LBB96_20
; %bb.15:                               ;   in Loop: Header=BB96_3 Depth=1
	s_mov_b32 s20, 0
	s_mov_b32 s21, 0
.LBB96_16:                              ;   Parent Loop BB96_3 Depth=1
                                        ; =>  This Loop Header: Depth=2
                                        ;       Child Loop BB96_17 Depth 3
	s_wait_alu 0xfffe
	v_mad_co_u64_u32 v[4:5], null, 0xc0, s21, v[10:11]
	s_or_b32 s37, s21, 3
	s_cmp_eq_u32 s21, 0
	s_wait_alu 0xfffe
	s_mulk_i32 s37, 0xc0
	s_wait_alu 0xfffe
	v_dual_mov_b32 v20, v10 :: v_dual_add_nc_u32 v7, s37, v10
	s_mov_b32 s37, s20
	ds_load_2addr_b64 v[0:3], v4 offset1:24
	ds_load_b64 v[11:12], v4 offset:384
	ds_load_b64 v[5:6], v7
	s_mov_b32 s38, s21
	s_cbranch_scc1 .LBB96_18
.LBB96_17:                              ;   Parent Loop BB96_3 Depth=1
                                        ;     Parent Loop BB96_16 Depth=2
                                        ; =>    This Inner Loop Header: Depth=3
	s_wait_alu 0xfffe
	v_mov_b32_e32 v25, s37
	s_add_co_i32 s38, s38, -1
	s_addk_co_i32 s37, 0xc0
	s_wait_alu 0xfffe
	s_cmp_eq_u32 s38, 0
	ds_load_b64 v[29:30], v20
	ds_load_b128 v[21:24], v25
	ds_load_b128 v[25:28], v25 offset:16
	v_add_nc_u32_e32 v20, 0xc0, v20
	s_wait_dscnt 0x1
	v_fma_f64 v[0:1], -v[29:30], v[21:22], v[0:1]
	v_fma_f64 v[2:3], -v[29:30], v[23:24], v[2:3]
	s_wait_dscnt 0x0
	v_fma_f64 v[11:12], -v[29:30], v[25:26], v[11:12]
	v_fma_f64 v[5:6], -v[29:30], v[27:28], v[5:6]
	s_cbranch_scc0 .LBB96_17
.LBB96_18:                              ;   in Loop: Header=BB96_16 Depth=2
	s_lshl_b32 s37, s21, 3
	s_mul_i32 s38, s21, 0xc0
	s_wait_alu 0xfffe
	s_or_b32 s39, s37, 8
	s_add_co_i32 s38, s37, s38
	s_add_co_i32 s20, s20, 32
	s_wait_alu 0xfffe
	v_mov_b32_e32 v40, s38
	s_addk_co_i32 s38, 0xc8
	ds_load_b128 v[20:23], v40
	ds_load_b128 v[24:27], v40 offset:16
	s_wait_alu 0xfffe
	s_sub_co_i32 s38, s38, s39
	s_wait_alu 0xfffe
	s_add_co_i32 s37, s38, s37
	s_wait_dscnt 0x1
	v_div_scale_f64 v[28:29], null, v[20:21], v[20:21], v[0:1]
	v_div_scale_f64 v[34:35], vcc_lo, v[0:1], v[20:21], v[0:1]
	s_delay_alu instid0(VALU_DEP_2) | instskip(NEXT) | instid1(TRANS32_DEP_1)
	v_rcp_f64_e32 v[30:31], v[28:29]
	v_fma_f64 v[32:33], -v[28:29], v[30:31], 1.0
	s_delay_alu instid0(VALU_DEP_1) | instskip(NEXT) | instid1(VALU_DEP_1)
	v_fma_f64 v[30:31], v[30:31], v[32:33], v[30:31]
	v_fma_f64 v[32:33], -v[28:29], v[30:31], 1.0
	s_delay_alu instid0(VALU_DEP_1) | instskip(NEXT) | instid1(VALU_DEP_1)
	v_fma_f64 v[30:31], v[30:31], v[32:33], v[30:31]
	v_mul_f64_e32 v[32:33], v[34:35], v[30:31]
	s_delay_alu instid0(VALU_DEP_1) | instskip(SKIP_1) | instid1(VALU_DEP_1)
	v_fma_f64 v[28:29], -v[28:29], v[32:33], v[34:35]
	s_wait_alu 0xfffd
	v_div_fmas_f64 v[28:29], v[28:29], v[30:31], v[32:33]
	s_delay_alu instid0(VALU_DEP_1) | instskip(NEXT) | instid1(VALU_DEP_1)
	v_div_fixup_f64 v[28:29], v[28:29], v[20:21], v[0:1]
	v_fma_f64 v[30:31], -v[28:29], v[22:23], v[2:3]
	ds_load_2addr_b64 v[0:3], v40 offset0:25 offset1:26
	ds_load_b128 v[20:23], v40 offset:400
	s_wait_dscnt 0x2
	v_fma_f64 v[11:12], -v[28:29], v[24:25], v[11:12]
	v_fma_f64 v[5:6], -v[28:29], v[26:27], v[5:6]
	s_wait_dscnt 0x1
	v_div_scale_f64 v[32:33], null, v[0:1], v[0:1], v[30:31]
	v_div_scale_f64 v[38:39], vcc_lo, v[30:31], v[0:1], v[30:31]
	s_delay_alu instid0(VALU_DEP_2) | instskip(NEXT) | instid1(TRANS32_DEP_1)
	v_rcp_f64_e32 v[34:35], v[32:33]
	v_fma_f64 v[36:37], -v[32:33], v[34:35], 1.0
	s_delay_alu instid0(VALU_DEP_1) | instskip(NEXT) | instid1(VALU_DEP_1)
	v_fma_f64 v[34:35], v[34:35], v[36:37], v[34:35]
	v_fma_f64 v[36:37], -v[32:33], v[34:35], 1.0
	s_delay_alu instid0(VALU_DEP_1) | instskip(NEXT) | instid1(VALU_DEP_1)
	v_fma_f64 v[34:35], v[34:35], v[36:37], v[34:35]
	v_mul_f64_e32 v[36:37], v[38:39], v[34:35]
	s_delay_alu instid0(VALU_DEP_1) | instskip(SKIP_1) | instid1(VALU_DEP_1)
	v_fma_f64 v[32:33], -v[32:33], v[36:37], v[38:39]
	s_wait_alu 0xfffd
	v_div_fmas_f64 v[32:33], v[32:33], v[34:35], v[36:37]
	s_delay_alu instid0(VALU_DEP_1) | instskip(NEXT) | instid1(VALU_DEP_1)
	v_div_fixup_f64 v[0:1], v[32:33], v[0:1], v[30:31]
	v_fma_f64 v[2:3], -v[0:1], v[2:3], v[11:12]
	s_wait_dscnt 0x0
	s_delay_alu instid0(VALU_DEP_1) | instskip(SKIP_1) | instid1(VALU_DEP_2)
	v_div_scale_f64 v[11:12], null, v[20:21], v[20:21], v[2:3]
	v_div_scale_f64 v[32:33], vcc_lo, v[2:3], v[20:21], v[2:3]
	v_rcp_f64_e32 v[24:25], v[11:12]
	s_delay_alu instid0(TRANS32_DEP_1) | instskip(NEXT) | instid1(VALU_DEP_1)
	v_fma_f64 v[30:31], -v[11:12], v[24:25], 1.0
	v_fma_f64 v[24:25], v[24:25], v[30:31], v[24:25]
	s_delay_alu instid0(VALU_DEP_1) | instskip(NEXT) | instid1(VALU_DEP_1)
	v_fma_f64 v[30:31], -v[11:12], v[24:25], 1.0
	v_fma_f64 v[24:25], v[24:25], v[30:31], v[24:25]
	s_delay_alu instid0(VALU_DEP_1) | instskip(NEXT) | instid1(VALU_DEP_1)
	v_mul_f64_e32 v[30:31], v[32:33], v[24:25]
	v_fma_f64 v[11:12], -v[11:12], v[30:31], v[32:33]
	s_wait_alu 0xfffd
	s_delay_alu instid0(VALU_DEP_1)
	v_div_fmas_f64 v[11:12], v[11:12], v[24:25], v[30:31]
	s_wait_alu 0xfffe
	v_mov_b32_e32 v24, s37
	s_add_co_i32 s37, s21, 4
	s_add_co_i32 s21, s21, 7
	ds_load_b64 v[24:25], v24 offset:24
	ds_load_b64 v[26:27], v40 offset:600
	s_wait_alu 0xfffe
	s_cmp_ge_i32 s21, s1
	ds_store_2addr_b64 v4, v[28:29], v[0:1] offset1:24
	s_wait_dscnt 0x2
	v_fma_f64 v[5:6], -v[0:1], v[24:25], v[5:6]
	v_div_fixup_f64 v[2:3], v[11:12], v[20:21], v[2:3]
	s_delay_alu instid0(VALU_DEP_1) | instskip(SKIP_1) | instid1(VALU_DEP_1)
	v_fma_f64 v[5:6], -v[2:3], v[22:23], v[5:6]
	s_wait_dscnt 0x1
	v_div_scale_f64 v[11:12], null, v[26:27], v[26:27], v[5:6]
	s_delay_alu instid0(VALU_DEP_1) | instskip(NEXT) | instid1(TRANS32_DEP_1)
	v_rcp_f64_e32 v[20:21], v[11:12]
	v_fma_f64 v[22:23], -v[11:12], v[20:21], 1.0
	s_delay_alu instid0(VALU_DEP_1) | instskip(NEXT) | instid1(VALU_DEP_1)
	v_fma_f64 v[20:21], v[20:21], v[22:23], v[20:21]
	v_fma_f64 v[22:23], -v[11:12], v[20:21], 1.0
	s_delay_alu instid0(VALU_DEP_1) | instskip(SKIP_1) | instid1(VALU_DEP_1)
	v_fma_f64 v[20:21], v[20:21], v[22:23], v[20:21]
	v_div_scale_f64 v[22:23], vcc_lo, v[5:6], v[26:27], v[5:6]
	v_mul_f64_e32 v[24:25], v[22:23], v[20:21]
	s_delay_alu instid0(VALU_DEP_1) | instskip(SKIP_1) | instid1(VALU_DEP_1)
	v_fma_f64 v[11:12], -v[11:12], v[24:25], v[22:23]
	s_wait_alu 0xfffd
	v_div_fmas_f64 v[11:12], v[11:12], v[20:21], v[24:25]
	s_delay_alu instid0(VALU_DEP_1)
	v_div_fixup_f64 v[5:6], v[11:12], v[26:27], v[5:6]
	ds_store_b64 v4, v[2:3] offset:384
	ds_store_b64 v7, v[5:6]
	s_cbranch_scc1 .LBB96_20
; %bb.19:                               ;   in Loop: Header=BB96_16 Depth=2
	s_mov_b32 s21, s37
	s_branch .LBB96_16
.LBB96_20:                              ;   in Loop: Header=BB96_3 Depth=1
	s_cmp_ge_i32 s37, s1
	s_cbranch_scc1 .LBB96_25
; %bb.21:                               ;   in Loop: Header=BB96_3 Depth=1
	s_lshl_b32 s20, s37, 3
	s_branch .LBB96_23
.LBB96_22:                              ;   in Loop: Header=BB96_23 Depth=2
	s_lshl_b32 s38, s37, 3
	s_add_co_i32 s37, s37, 1
	s_wait_alu 0xfffe
	s_add_co_i32 s21, s38, s21
	s_add_co_i32 s20, s20, 8
	s_wait_alu 0xfffe
	v_mov_b32_e32 v3, s21
	s_cmp_ge_i32 s37, s1
	ds_load_b64 v[3:4], v3
	s_wait_dscnt 0x0
	v_div_scale_f64 v[5:6], null, v[3:4], v[3:4], v[0:1]
	s_delay_alu instid0(VALU_DEP_1) | instskip(NEXT) | instid1(TRANS32_DEP_1)
	v_rcp_f64_e32 v[11:12], v[5:6]
	v_fma_f64 v[20:21], -v[5:6], v[11:12], 1.0
	s_delay_alu instid0(VALU_DEP_1) | instskip(NEXT) | instid1(VALU_DEP_1)
	v_fma_f64 v[11:12], v[11:12], v[20:21], v[11:12]
	v_fma_f64 v[20:21], -v[5:6], v[11:12], 1.0
	s_delay_alu instid0(VALU_DEP_1) | instskip(SKIP_1) | instid1(VALU_DEP_1)
	v_fma_f64 v[11:12], v[11:12], v[20:21], v[11:12]
	v_div_scale_f64 v[20:21], vcc_lo, v[0:1], v[3:4], v[0:1]
	v_mul_f64_e32 v[22:23], v[20:21], v[11:12]
	s_delay_alu instid0(VALU_DEP_1) | instskip(SKIP_1) | instid1(VALU_DEP_1)
	v_fma_f64 v[5:6], -v[5:6], v[22:23], v[20:21]
	s_wait_alu 0xfffd
	v_div_fmas_f64 v[5:6], v[5:6], v[11:12], v[22:23]
	s_delay_alu instid0(VALU_DEP_1)
	v_div_fixup_f64 v[0:1], v[5:6], v[3:4], v[0:1]
	ds_store_b64 v2, v[0:1]
	s_cbranch_scc1 .LBB96_25
.LBB96_23:                              ;   Parent Loop BB96_3 Depth=1
                                        ; =>  This Loop Header: Depth=2
                                        ;       Child Loop BB96_24 Depth 3
	s_mul_i32 s21, s37, 0xc0
	s_cmp_eq_u32 s37, 0
	s_wait_alu 0xfffe
	v_dual_mov_b32 v3, v10 :: v_dual_add_nc_u32 v2, s21, v10
	s_mov_b32 s38, s20
	s_mov_b32 s39, s37
	ds_load_b64 v[0:1], v2
	s_cbranch_scc1 .LBB96_22
.LBB96_24:                              ;   Parent Loop BB96_3 Depth=1
                                        ;     Parent Loop BB96_23 Depth=2
                                        ; =>    This Inner Loop Header: Depth=3
	s_wait_alu 0xfffe
	v_mov_b32_e32 v6, s38
	s_add_co_i32 s39, s39, -1
	s_addk_co_i32 s38, 0xc0
	s_wait_alu 0xfffe
	s_cmp_eq_u32 s39, 0
	ds_load_b64 v[4:5], v3
	ds_load_b64 v[6:7], v6
	v_add_nc_u32_e32 v3, 0xc0, v3
	s_wait_dscnt 0x0
	v_fma_f64 v[0:1], -v[4:5], v[6:7], v[0:1]
	s_cbranch_scc0 .LBB96_24
	s_branch .LBB96_22
.LBB96_25:                              ;   in Loop: Header=BB96_3 Depth=1
	s_mov_b32 s20, 0
.LBB96_26:                              ;   in Loop: Header=BB96_3 Depth=1
	s_wait_alu 0xfffe
	s_and_b32 vcc_lo, exec_lo, s20
	s_wait_alu 0xfffe
	s_cbranch_vccz .LBB96_46
; %bb.27:                               ;   in Loop: Header=BB96_3 Depth=1
	s_mov_b32 s37, s24
	s_and_not1_b32 vcc_lo, exec_lo, s28
	s_mov_b32 s20, s30
	s_mov_b32 s21, s24
	s_wait_alu 0xfffe
	s_cbranch_vccnz .LBB96_33
.LBB96_28:                              ;   Parent Loop BB96_3 Depth=1
                                        ; =>  This Loop Header: Depth=2
                                        ;       Child Loop BB96_29 Depth 3
	s_wait_alu 0xfffe
	s_mul_i32 s38, s21, 0xc0
	s_mov_b32 s39, s20
	s_wait_alu 0xfffe
	v_dual_mov_b32 v22, v15 :: v_dual_add_nc_u32 v11, s38, v10
	s_add_co_i32 s37, s38, 0xfffffdc0
	s_cmp_le_i32 s24, s21
	s_wait_alu 0xfffe
	v_add_nc_u32_e32 v21, s37, v10
	v_add_nc_u32_e32 v12, 0xffffff40, v11
	;; [unrolled: 1-line block ×3, first 2 shown]
	s_mov_b32 s40, s24
	ds_load_b64 v[6:7], v11
	ds_load_b64 v[4:5], v12
	;; [unrolled: 1-line block ×4, first 2 shown]
	s_cbranch_scc1 .LBB96_30
.LBB96_29:                              ;   Parent Loop BB96_3 Depth=1
                                        ;     Parent Loop BB96_28 Depth=2
                                        ; =>    This Inner Loop Header: Depth=3
	s_wait_alu 0xfffe
	v_mov_b32_e32 v27, s39
	s_add_co_i32 s40, s40, -1
	s_addk_co_i32 s39, 0xff40
	s_wait_alu 0xfffe
	s_cmp_le_i32 s40, s21
	ds_load_b64 v[31:32], v22
	ds_load_2addr_b64 v[23:26], v27 offset0:2 offset1:3
	ds_load_2addr_b64 v[27:30], v27 offset1:1
	v_add_nc_u32_e32 v22, 0xffffff40, v22
	s_wait_dscnt 0x1
	v_fma_f64 v[6:7], -v[31:32], v[25:26], v[6:7]
	v_fma_f64 v[4:5], -v[31:32], v[23:24], v[4:5]
	s_wait_dscnt 0x0
	v_fma_f64 v[2:3], -v[31:32], v[29:30], v[2:3]
	v_fma_f64 v[0:1], -v[31:32], v[27:28], v[0:1]
	s_cbranch_scc0 .LBB96_29
.LBB96_30:                              ;   in Loop: Header=BB96_28 Depth=2
	s_add_co_i32 s39, s21, -3
; %bb.31:                               ;   in Loop: Header=BB96_28 Depth=2
	s_lshl_b32 s40, s21, 3
	s_wait_alu 0xfffe
	s_lshl_b32 s39, s39, 3
	s_add_co_i32 s41, s40, s38
	s_wait_alu 0xfffe
	s_add_co_i32 s38, s38, s39
	s_add_co_i32 s42, s41, -8
	s_wait_alu 0xfffe
	s_add_co_i32 s39, s38, 0xffffff40
	v_mov_b32_e32 v22, s42
	s_add_co_i32 s42, s41, 0xffffff38
	s_sub_co_i32 s41, s41, 24
	s_wait_alu 0xfffe
	v_mov_b32_e32 v26, s42
	s_addk_co_i32 s38, 0xfe80
	ds_load_2addr_b64 v[22:25], v22 offset1:1
	s_add_co_i32 s40, s40, s37
	s_sub_co_i32 s20, s20, 32
	ds_load_b64 v[26:27], v26
	s_wait_alu 0xfffe
	s_sub_co_i32 s37, s40, 24
	s_wait_dscnt 0x1
	v_div_scale_f64 v[28:29], null, v[24:25], v[24:25], v[6:7]
	v_div_scale_f64 v[34:35], vcc_lo, v[6:7], v[24:25], v[6:7]
	s_delay_alu instid0(VALU_DEP_2) | instskip(NEXT) | instid1(TRANS32_DEP_1)
	v_rcp_f64_e32 v[30:31], v[28:29]
	v_fma_f64 v[32:33], -v[28:29], v[30:31], 1.0
	s_delay_alu instid0(VALU_DEP_1) | instskip(NEXT) | instid1(VALU_DEP_1)
	v_fma_f64 v[30:31], v[30:31], v[32:33], v[30:31]
	v_fma_f64 v[32:33], -v[28:29], v[30:31], 1.0
	s_delay_alu instid0(VALU_DEP_1) | instskip(NEXT) | instid1(VALU_DEP_1)
	v_fma_f64 v[30:31], v[30:31], v[32:33], v[30:31]
	v_mul_f64_e32 v[32:33], v[34:35], v[30:31]
	s_delay_alu instid0(VALU_DEP_1) | instskip(SKIP_1) | instid1(VALU_DEP_1)
	v_fma_f64 v[28:29], -v[28:29], v[32:33], v[34:35]
	s_wait_alu 0xfffd
	v_div_fmas_f64 v[28:29], v[28:29], v[30:31], v[32:33]
	s_delay_alu instid0(VALU_DEP_1) | instskip(NEXT) | instid1(VALU_DEP_1)
	v_div_fixup_f64 v[28:29], v[28:29], v[24:25], v[6:7]
	v_fma_f64 v[30:31], -v[28:29], v[22:23], v[4:5]
	s_wait_dscnt 0x0
	s_delay_alu instid0(VALU_DEP_1) | instskip(SKIP_1) | instid1(VALU_DEP_2)
	v_div_scale_f64 v[4:5], null, v[26:27], v[26:27], v[30:31]
	v_div_scale_f64 v[24:25], vcc_lo, v[30:31], v[26:27], v[30:31]
	v_rcp_f64_e32 v[6:7], v[4:5]
	s_delay_alu instid0(TRANS32_DEP_1) | instskip(NEXT) | instid1(VALU_DEP_1)
	v_fma_f64 v[22:23], -v[4:5], v[6:7], 1.0
	v_fma_f64 v[6:7], v[6:7], v[22:23], v[6:7]
	s_delay_alu instid0(VALU_DEP_1) | instskip(NEXT) | instid1(VALU_DEP_1)
	v_fma_f64 v[22:23], -v[4:5], v[6:7], 1.0
	v_fma_f64 v[6:7], v[6:7], v[22:23], v[6:7]
	s_delay_alu instid0(VALU_DEP_1) | instskip(NEXT) | instid1(VALU_DEP_1)
	v_mul_f64_e32 v[22:23], v[24:25], v[6:7]
	v_fma_f64 v[4:5], -v[4:5], v[22:23], v[24:25]
	s_wait_alu 0xfffd
	s_delay_alu instid0(VALU_DEP_1)
	v_div_fmas_f64 v[32:33], v[4:5], v[6:7], v[22:23]
	v_mov_b32_e32 v4, s41
	v_mov_b32_e32 v22, s39
	ds_load_2addr_b64 v[4:7], v4 offset1:1
	ds_load_2addr_b64 v[22:25], v22 offset1:1
	s_wait_dscnt 0x1
	v_fma_f64 v[2:3], -v[28:29], v[6:7], v[2:3]
	v_fma_f64 v[0:1], -v[28:29], v[4:5], v[0:1]
	v_div_fixup_f64 v[6:7], v[32:33], v[26:27], v[30:31]
	s_wait_alu 0xfffe
	v_mov_b32_e32 v30, s37
	s_add_co_i32 s37, s21, -4
	s_cmp_lt_i32 s21, 7
	ds_load_b64 v[30:31], v30
	s_wait_dscnt 0x1
	v_fma_f64 v[2:3], -v[6:7], v[24:25], v[2:3]
	v_mov_b32_e32 v24, s38
	v_fma_f64 v[0:1], -v[6:7], v[22:23], v[0:1]
	ds_load_2addr_b64 v[24:27], v24 offset1:1
	s_wait_dscnt 0x0
	v_div_scale_f64 v[32:33], null, v[26:27], v[26:27], v[2:3]
	v_div_scale_f64 v[38:39], vcc_lo, v[2:3], v[26:27], v[2:3]
	s_delay_alu instid0(VALU_DEP_2) | instskip(NEXT) | instid1(TRANS32_DEP_1)
	v_rcp_f64_e32 v[34:35], v[32:33]
	v_fma_f64 v[36:37], -v[32:33], v[34:35], 1.0
	s_delay_alu instid0(VALU_DEP_1) | instskip(NEXT) | instid1(VALU_DEP_1)
	v_fma_f64 v[34:35], v[34:35], v[36:37], v[34:35]
	v_fma_f64 v[36:37], -v[32:33], v[34:35], 1.0
	s_delay_alu instid0(VALU_DEP_1) | instskip(NEXT) | instid1(VALU_DEP_1)
	v_fma_f64 v[34:35], v[34:35], v[36:37], v[34:35]
	v_mul_f64_e32 v[36:37], v[38:39], v[34:35]
	s_delay_alu instid0(VALU_DEP_1) | instskip(SKIP_1) | instid1(VALU_DEP_1)
	v_fma_f64 v[32:33], -v[32:33], v[36:37], v[38:39]
	s_wait_alu 0xfffd
	v_div_fmas_f64 v[4:5], v[32:33], v[34:35], v[36:37]
	s_delay_alu instid0(VALU_DEP_1) | instskip(NEXT) | instid1(VALU_DEP_1)
	v_div_fixup_f64 v[2:3], v[4:5], v[26:27], v[2:3]
	v_fma_f64 v[0:1], -v[2:3], v[24:25], v[0:1]
	s_delay_alu instid0(VALU_DEP_1) | instskip(NEXT) | instid1(VALU_DEP_1)
	v_div_scale_f64 v[4:5], null, v[30:31], v[30:31], v[0:1]
	v_rcp_f64_e32 v[22:23], v[4:5]
	s_delay_alu instid0(TRANS32_DEP_1) | instskip(NEXT) | instid1(VALU_DEP_1)
	v_fma_f64 v[24:25], -v[4:5], v[22:23], 1.0
	v_fma_f64 v[22:23], v[22:23], v[24:25], v[22:23]
	s_delay_alu instid0(VALU_DEP_1) | instskip(NEXT) | instid1(VALU_DEP_1)
	v_fma_f64 v[24:25], -v[4:5], v[22:23], 1.0
	v_fma_f64 v[22:23], v[22:23], v[24:25], v[22:23]
	v_div_scale_f64 v[24:25], vcc_lo, v[0:1], v[30:31], v[0:1]
	s_delay_alu instid0(VALU_DEP_1) | instskip(NEXT) | instid1(VALU_DEP_1)
	v_mul_f64_e32 v[26:27], v[24:25], v[22:23]
	v_fma_f64 v[4:5], -v[4:5], v[26:27], v[24:25]
	s_wait_alu 0xfffd
	s_delay_alu instid0(VALU_DEP_1) | instskip(NEXT) | instid1(VALU_DEP_1)
	v_div_fmas_f64 v[4:5], v[4:5], v[22:23], v[26:27]
	v_div_fixup_f64 v[0:1], v[4:5], v[30:31], v[0:1]
	ds_store_b64 v11, v[28:29]
	ds_store_b64 v12, v[6:7]
	;; [unrolled: 1-line block ×4, first 2 shown]
	s_cbranch_scc1 .LBB96_33
; %bb.32:                               ;   in Loop: Header=BB96_28 Depth=2
	s_wait_alu 0xfffe
	s_mov_b32 s21, s37
	s_branch .LBB96_28
.LBB96_33:                              ;   in Loop: Header=BB96_3 Depth=1
	s_wait_alu 0xfffe
	s_cmp_lt_i32 s37, 0
	s_cbranch_scc1 .LBB96_46
; %bb.34:                               ;   in Loop: Header=BB96_3 Depth=1
	s_bitcmp1_b32 s37, 0
	s_cselect_b32 s20, -1, 0
	s_wait_alu 0xfffe
	s_and_b32 vcc_lo, exec_lo, s20
	s_mov_b32 s20, s37
	s_wait_alu 0xfffe
	s_cbranch_vccnz .LBB96_39
; %bb.35:                               ;   in Loop: Header=BB96_3 Depth=1
	s_mul_i32 s20, s37, 0xc0
	s_cmp_le_i32 s24, s37
	s_wait_alu 0xfffe
	v_add_nc_u32_e32 v2, s20, v10
	ds_load_b64 v[0:1], v2
	s_cbranch_scc1 .LBB96_38
; %bb.36:                               ;   in Loop: Header=BB96_3 Depth=1
	v_mov_b32_e32 v3, v15
	s_lshl_b32 s21, s37, 3
	s_mov_b32 s38, s24
	s_wait_alu 0xfffe
	s_add_co_i32 s21, s31, s21
.LBB96_37:                              ;   Parent Loop BB96_3 Depth=1
                                        ; =>  This Inner Loop Header: Depth=2
	s_wait_alu 0xfffe
	v_mov_b32_e32 v6, s21
	s_add_co_i32 s38, s38, -1
	s_addk_co_i32 s21, 0xff40
	s_wait_alu 0xfffe
	s_cmp_gt_i32 s38, s37
	ds_load_b64 v[4:5], v3
	ds_load_b64 v[6:7], v6
	v_add_nc_u32_e32 v3, 0xffffff40, v3
	s_wait_dscnt 0x0
	v_fma_f64 v[0:1], -v[4:5], v[6:7], v[0:1]
	s_cbranch_scc1 .LBB96_37
.LBB96_38:                              ;   in Loop: Header=BB96_3 Depth=1
	s_lshl_b32 s21, s37, 3
	s_wait_alu 0xfffe
	s_add_co_i32 s20, s21, s20
	s_wait_alu 0xfffe
	v_mov_b32_e32 v3, s20
	s_add_co_i32 s20, s37, -1
	ds_load_b64 v[3:4], v3
	s_wait_dscnt 0x0
	v_div_scale_f64 v[5:6], null, v[3:4], v[3:4], v[0:1]
	s_delay_alu instid0(VALU_DEP_1) | instskip(NEXT) | instid1(TRANS32_DEP_1)
	v_rcp_f64_e32 v[11:12], v[5:6]
	v_fma_f64 v[20:21], -v[5:6], v[11:12], 1.0
	s_delay_alu instid0(VALU_DEP_1) | instskip(NEXT) | instid1(VALU_DEP_1)
	v_fma_f64 v[11:12], v[11:12], v[20:21], v[11:12]
	v_fma_f64 v[20:21], -v[5:6], v[11:12], 1.0
	s_delay_alu instid0(VALU_DEP_1) | instskip(SKIP_1) | instid1(VALU_DEP_1)
	v_fma_f64 v[11:12], v[11:12], v[20:21], v[11:12]
	v_div_scale_f64 v[20:21], vcc_lo, v[0:1], v[3:4], v[0:1]
	v_mul_f64_e32 v[22:23], v[20:21], v[11:12]
	s_delay_alu instid0(VALU_DEP_1) | instskip(SKIP_1) | instid1(VALU_DEP_1)
	v_fma_f64 v[5:6], -v[5:6], v[22:23], v[20:21]
	s_wait_alu 0xfffd
	v_div_fmas_f64 v[5:6], v[5:6], v[11:12], v[22:23]
	s_delay_alu instid0(VALU_DEP_1)
	v_div_fixup_f64 v[0:1], v[5:6], v[3:4], v[0:1]
	ds_store_b64 v2, v[0:1]
.LBB96_39:                              ;   in Loop: Header=BB96_3 Depth=1
	s_cmp_eq_u32 s37, 0
	s_cbranch_scc1 .LBB96_46
; %bb.40:                               ;   in Loop: Header=BB96_3 Depth=1
	s_wait_alu 0xfffe
	s_lshl_b32 s37, s20, 3
	s_wait_alu 0xfffe
	s_add_co_i32 s21, s31, s37
	s_add_co_i32 s37, s33, s37
	s_branch .LBB96_42
.LBB96_41:                              ;   in Loop: Header=BB96_42 Depth=2
	s_addk_co_i32 s38, 0xff38
	s_add_co_i32 s21, s21, -16
	s_wait_alu 0xfffe
	v_mov_b32_e32 v0, s38
	s_add_co_i32 s38, s20, -2
	s_add_co_i32 s37, s37, -16
	s_cmp_lt_i32 s20, 2
	s_wait_alu 0xfffe
	s_mov_b32 s20, s38
	ds_load_b64 v[0:1], v0
	s_wait_dscnt 0x0
	v_div_scale_f64 v[6:7], null, v[0:1], v[0:1], v[2:3]
	s_delay_alu instid0(VALU_DEP_1) | instskip(NEXT) | instid1(TRANS32_DEP_1)
	v_rcp_f64_e32 v[11:12], v[6:7]
	v_fma_f64 v[20:21], -v[6:7], v[11:12], 1.0
	s_delay_alu instid0(VALU_DEP_1) | instskip(NEXT) | instid1(VALU_DEP_1)
	v_fma_f64 v[11:12], v[11:12], v[20:21], v[11:12]
	v_fma_f64 v[20:21], -v[6:7], v[11:12], 1.0
	s_delay_alu instid0(VALU_DEP_1) | instskip(SKIP_1) | instid1(VALU_DEP_1)
	v_fma_f64 v[11:12], v[11:12], v[20:21], v[11:12]
	v_div_scale_f64 v[20:21], vcc_lo, v[2:3], v[0:1], v[2:3]
	v_mul_f64_e32 v[22:23], v[20:21], v[11:12]
	s_delay_alu instid0(VALU_DEP_1) | instskip(SKIP_1) | instid1(VALU_DEP_1)
	v_fma_f64 v[6:7], -v[6:7], v[22:23], v[20:21]
	s_wait_alu 0xfffd
	v_div_fmas_f64 v[6:7], v[6:7], v[11:12], v[22:23]
	s_delay_alu instid0(VALU_DEP_1)
	v_div_fixup_f64 v[0:1], v[6:7], v[0:1], v[2:3]
	ds_store_b64 v5, v[0:1]
	s_cbranch_scc1 .LBB96_46
.LBB96_42:                              ;   Parent Loop BB96_3 Depth=1
                                        ; =>  This Loop Header: Depth=2
                                        ;       Child Loop BB96_43 Depth 3
                                        ;       Child Loop BB96_45 Depth 3
	s_wait_alu 0xfffe
	s_mul_i32 s39, s20, 0xc0
	v_mov_b32_e32 v2, v15
	s_wait_alu 0xfffe
	v_add_nc_u32_e32 v4, s39, v10
	s_cmp_le_i32 s24, s20
	s_mov_b32 s38, s21
	s_mov_b32 s40, s24
	ds_load_b64 v[0:1], v4
	s_cbranch_scc1 .LBB96_44
.LBB96_43:                              ;   Parent Loop BB96_3 Depth=1
                                        ;     Parent Loop BB96_42 Depth=2
                                        ; =>    This Inner Loop Header: Depth=3
	s_wait_alu 0xfffe
	v_mov_b32_e32 v3, s38
	s_add_co_i32 s40, s40, -1
	s_addk_co_i32 s38, 0xff40
	s_wait_alu 0xfffe
	s_cmp_le_i32 s40, s20
	ds_load_b64 v[5:6], v2
	ds_load_b64 v[11:12], v3
	v_add_nc_u32_e32 v2, 0xffffff40, v2
	s_wait_dscnt 0x0
	v_fma_f64 v[0:1], -v[5:6], v[11:12], v[0:1]
	s_cbranch_scc0 .LBB96_43
.LBB96_44:                              ;   in Loop: Header=BB96_42 Depth=2
	s_lshl_b32 s38, s20, 3
	s_mov_b32 s40, s1
	s_wait_alu 0xfffe
	s_add_co_i32 s38, s38, s39
	s_addk_co_i32 s39, 0xff40
	s_wait_alu 0xfffe
	v_dual_mov_b32 v2, s38 :: v_dual_add_nc_u32 v5, s39, v10
	s_cmp_le_i32 s1, s20
	s_mov_b32 s39, s37
	ds_load_b64 v[6:7], v2
	ds_load_b64 v[2:3], v5
	s_wait_dscnt 0x1
	v_div_scale_f64 v[11:12], null, v[6:7], v[6:7], v[0:1]
	s_delay_alu instid0(VALU_DEP_1) | instskip(NEXT) | instid1(TRANS32_DEP_1)
	v_rcp_f64_e32 v[20:21], v[11:12]
	v_fma_f64 v[22:23], -v[11:12], v[20:21], 1.0
	s_delay_alu instid0(VALU_DEP_1) | instskip(NEXT) | instid1(VALU_DEP_1)
	v_fma_f64 v[20:21], v[20:21], v[22:23], v[20:21]
	v_fma_f64 v[22:23], -v[11:12], v[20:21], 1.0
	s_delay_alu instid0(VALU_DEP_1) | instskip(SKIP_1) | instid1(VALU_DEP_1)
	v_fma_f64 v[20:21], v[20:21], v[22:23], v[20:21]
	v_div_scale_f64 v[22:23], vcc_lo, v[0:1], v[6:7], v[0:1]
	v_mul_f64_e32 v[24:25], v[22:23], v[20:21]
	s_delay_alu instid0(VALU_DEP_1) | instskip(SKIP_1) | instid1(VALU_DEP_1)
	v_fma_f64 v[11:12], -v[11:12], v[24:25], v[22:23]
	s_wait_alu 0xfffd
	v_div_fmas_f64 v[11:12], v[11:12], v[20:21], v[24:25]
	s_delay_alu instid0(VALU_DEP_1)
	v_div_fixup_f64 v[6:7], v[11:12], v[6:7], v[0:1]
	v_mov_b32_e32 v0, v15
	ds_store_b64 v4, v[6:7]
	s_cbranch_scc1 .LBB96_41
.LBB96_45:                              ;   Parent Loop BB96_3 Depth=1
                                        ;     Parent Loop BB96_42 Depth=2
                                        ; =>    This Inner Loop Header: Depth=3
	s_wait_alu 0xfffe
	v_mov_b32_e32 v1, s39
	s_add_co_i32 s40, s40, -1
	s_addk_co_i32 s39, 0xff40
	s_wait_alu 0xfffe
	s_cmp_gt_i32 s40, s20
	ds_load_b64 v[6:7], v0
	ds_load_b64 v[11:12], v1
	v_add_nc_u32_e32 v0, 0xffffff40, v0
	s_wait_dscnt 0x0
	v_fma_f64 v[2:3], -v[6:7], v[11:12], v[2:3]
	s_cbranch_scc1 .LBB96_45
	s_branch .LBB96_41
.LBB96_46:                              ;   in Loop: Header=BB96_3 Depth=1
	s_mov_b32 s20, 0
.LBB96_47:                              ;   in Loop: Header=BB96_3 Depth=1
	s_wait_alu 0xfffe
	s_and_not1_b32 vcc_lo, exec_lo, s20
	s_wait_alu 0xfffe
	s_cbranch_vccnz .LBB96_66
; %bb.48:                               ;   in Loop: Header=BB96_3 Depth=1
	s_mov_b32 s37, s24
	s_and_not1_b32 vcc_lo, exec_lo, s28
	s_mov_b32 s20, s34
	s_mov_b32 s21, s24
	s_wait_alu 0xfffe
	s_cbranch_vccnz .LBB96_53
.LBB96_49:                              ;   Parent Loop BB96_3 Depth=1
                                        ; =>  This Loop Header: Depth=2
                                        ;       Child Loop BB96_50 Depth 3
	s_wait_alu 0xfffe
	s_mul_i32 s37, s21, 24
	s_cmp_le_i32 s24, s21
	s_wait_alu 0xfffe
	v_lshl_add_u32 v11, s37, 3, v10
	s_mov_b32 s38, s20
	s_mov_b32 s39, s24
	s_delay_alu instid0(VALU_DEP_1)
	v_dual_mov_b32 v22, v15 :: v_dual_add_nc_u32 v21, 0xfffffdc0, v11
	v_add_nc_u32_e32 v12, 0xffffff40, v11
	v_add_nc_u32_e32 v20, 0xfffffe80, v11
	ds_load_b64 v[6:7], v11
	ds_load_b64 v[4:5], v12
	;; [unrolled: 1-line block ×4, first 2 shown]
	s_cbranch_scc1 .LBB96_51
.LBB96_50:                              ;   Parent Loop BB96_3 Depth=1
                                        ;     Parent Loop BB96_49 Depth=2
                                        ; =>    This Inner Loop Header: Depth=3
	s_wait_alu 0xfffe
	v_mov_b32_e32 v27, s38
	s_add_co_i32 s39, s39, -1
	s_add_co_i32 s38, s38, -8
	s_wait_alu 0xfffe
	s_cmp_le_i32 s39, s21
	ds_load_b64 v[31:32], v22
	ds_load_2addr_b64 v[23:26], v27 offset0:48 offset1:72
	ds_load_2addr_b64 v[27:30], v27 offset1:24
	v_add_nc_u32_e32 v22, 0xffffff40, v22
	s_wait_dscnt 0x1
	v_fma_f64 v[6:7], -v[31:32], v[25:26], v[6:7]
	v_fma_f64 v[4:5], -v[31:32], v[23:24], v[4:5]
	s_wait_dscnt 0x0
	v_fma_f64 v[2:3], -v[31:32], v[29:30], v[2:3]
	v_fma_f64 v[0:1], -v[31:32], v[27:28], v[0:1]
	s_cbranch_scc0 .LBB96_50
.LBB96_51:                              ;   in Loop: Header=BB96_49 Depth=2
	s_mul_i32 s38, s21, 0xc8
	s_lshl_b32 s37, s37, 3
	s_wait_alu 0xfffe
	v_mov_b32_e32 v22, s38
	s_lshl_b32 s38, s21, 3
	s_addk_co_i32 s20, 0xfd00
	s_wait_alu 0xfffe
	s_add_co_i32 s37, s37, s38
	s_wait_alu 0xfffe
	s_add_co_i32 s38, s37, 0xffffff38
	ds_load_b64 v[26:27], v22
	s_wait_alu 0xfffe
	v_mov_b32_e32 v22, s38
	s_add_co_i32 s38, s37, 0xfffffe80
	ds_load_2addr_b64 v[22:25], v22 offset1:1
	s_wait_dscnt 0x1
	v_div_scale_f64 v[28:29], null, v[26:27], v[26:27], v[6:7]
	v_div_scale_f64 v[34:35], vcc_lo, v[6:7], v[26:27], v[6:7]
	s_delay_alu instid0(VALU_DEP_2) | instskip(NEXT) | instid1(TRANS32_DEP_1)
	v_rcp_f64_e32 v[30:31], v[28:29]
	v_fma_f64 v[32:33], -v[28:29], v[30:31], 1.0
	s_delay_alu instid0(VALU_DEP_1) | instskip(NEXT) | instid1(VALU_DEP_1)
	v_fma_f64 v[30:31], v[30:31], v[32:33], v[30:31]
	v_fma_f64 v[32:33], -v[28:29], v[30:31], 1.0
	s_delay_alu instid0(VALU_DEP_1) | instskip(NEXT) | instid1(VALU_DEP_1)
	v_fma_f64 v[30:31], v[30:31], v[32:33], v[30:31]
	v_mul_f64_e32 v[32:33], v[34:35], v[30:31]
	s_delay_alu instid0(VALU_DEP_1) | instskip(SKIP_1) | instid1(VALU_DEP_1)
	v_fma_f64 v[28:29], -v[28:29], v[32:33], v[34:35]
	s_wait_alu 0xfffd
	v_div_fmas_f64 v[28:29], v[28:29], v[30:31], v[32:33]
	s_delay_alu instid0(VALU_DEP_1) | instskip(SKIP_1) | instid1(VALU_DEP_1)
	v_div_fixup_f64 v[30:31], v[28:29], v[26:27], v[6:7]
	s_wait_dscnt 0x0
	v_fma_f64 v[24:25], -v[30:31], v[24:25], v[4:5]
	s_delay_alu instid0(VALU_DEP_1) | instskip(SKIP_1) | instid1(VALU_DEP_2)
	v_div_scale_f64 v[4:5], null, v[22:23], v[22:23], v[24:25]
	v_div_scale_f64 v[28:29], vcc_lo, v[24:25], v[22:23], v[24:25]
	v_rcp_f64_e32 v[6:7], v[4:5]
	s_delay_alu instid0(TRANS32_DEP_1) | instskip(NEXT) | instid1(VALU_DEP_1)
	v_fma_f64 v[26:27], -v[4:5], v[6:7], 1.0
	v_fma_f64 v[6:7], v[6:7], v[26:27], v[6:7]
	s_delay_alu instid0(VALU_DEP_1) | instskip(NEXT) | instid1(VALU_DEP_1)
	v_fma_f64 v[26:27], -v[4:5], v[6:7], 1.0
	v_fma_f64 v[6:7], v[6:7], v[26:27], v[6:7]
	s_delay_alu instid0(VALU_DEP_1) | instskip(NEXT) | instid1(VALU_DEP_1)
	v_mul_f64_e32 v[26:27], v[28:29], v[6:7]
	v_fma_f64 v[4:5], -v[4:5], v[26:27], v[28:29]
	s_wait_alu 0xfffd
	s_delay_alu instid0(VALU_DEP_1)
	v_div_fmas_f64 v[26:27], v[4:5], v[6:7], v[26:27]
	s_wait_alu 0xfffe
	v_mov_b32_e32 v4, s38
	s_add_co_i32 s38, s37, 0xfffffe70
	ds_load_b64 v[28:29], v4
	s_wait_alu 0xfffe
	v_mov_b32_e32 v4, s38
	s_add_co_i32 s38, s37, 0xfffffdb8
	s_addk_co_i32 s37, 0xfda8
	ds_load_2addr_b64 v[4:7], v4 offset1:1
	s_wait_dscnt 0x1
	v_fma_f64 v[2:3], -v[30:31], v[28:29], v[2:3]
	v_div_fixup_f64 v[32:33], v[26:27], v[22:23], v[24:25]
	s_wait_dscnt 0x0
	s_delay_alu instid0(VALU_DEP_1) | instskip(NEXT) | instid1(VALU_DEP_1)
	v_fma_f64 v[2:3], -v[32:33], v[6:7], v[2:3]
	v_div_scale_f64 v[6:7], null, v[4:5], v[4:5], v[2:3]
	v_div_scale_f64 v[26:27], vcc_lo, v[2:3], v[4:5], v[2:3]
	s_delay_alu instid0(VALU_DEP_2) | instskip(NEXT) | instid1(TRANS32_DEP_1)
	v_rcp_f64_e32 v[22:23], v[6:7]
	v_fma_f64 v[24:25], -v[6:7], v[22:23], 1.0
	s_delay_alu instid0(VALU_DEP_1) | instskip(NEXT) | instid1(VALU_DEP_1)
	v_fma_f64 v[22:23], v[22:23], v[24:25], v[22:23]
	v_fma_f64 v[24:25], -v[6:7], v[22:23], 1.0
	s_delay_alu instid0(VALU_DEP_1) | instskip(SKIP_4) | instid1(VALU_DEP_1)
	v_fma_f64 v[34:35], v[22:23], v[24:25], v[22:23]
	s_wait_alu 0xfffe
	v_mov_b32_e32 v22, s38
	ds_load_2addr_b64 v[22:25], v22 offset1:1
	v_mul_f64_e32 v[36:37], v[26:27], v[34:35]
	v_fma_f64 v[6:7], -v[6:7], v[36:37], v[26:27]
	v_mov_b32_e32 v26, s37
	s_add_co_i32 s37, s21, -4
	s_cmp_lt_i32 s21, 7
	ds_load_2addr_b64 v[26:29], v26 offset1:1
	s_wait_dscnt 0x1
	v_fma_f64 v[0:1], -v[30:31], v[24:25], v[0:1]
	s_wait_alu 0xfffd
	v_div_fmas_f64 v[6:7], v[6:7], v[34:35], v[36:37]
	s_delay_alu instid0(VALU_DEP_2) | instskip(NEXT) | instid1(VALU_DEP_2)
	v_fma_f64 v[0:1], -v[32:33], v[22:23], v[0:1]
	v_div_fixup_f64 v[2:3], v[6:7], v[4:5], v[2:3]
	s_wait_dscnt 0x0
	s_delay_alu instid0(VALU_DEP_1) | instskip(NEXT) | instid1(VALU_DEP_1)
	v_fma_f64 v[0:1], -v[2:3], v[28:29], v[0:1]
	v_div_scale_f64 v[4:5], null, v[26:27], v[26:27], v[0:1]
	s_delay_alu instid0(VALU_DEP_1) | instskip(NEXT) | instid1(TRANS32_DEP_1)
	v_rcp_f64_e32 v[6:7], v[4:5]
	v_fma_f64 v[22:23], -v[4:5], v[6:7], 1.0
	s_delay_alu instid0(VALU_DEP_1) | instskip(NEXT) | instid1(VALU_DEP_1)
	v_fma_f64 v[6:7], v[6:7], v[22:23], v[6:7]
	v_fma_f64 v[22:23], -v[4:5], v[6:7], 1.0
	s_delay_alu instid0(VALU_DEP_1) | instskip(SKIP_1) | instid1(VALU_DEP_1)
	v_fma_f64 v[6:7], v[6:7], v[22:23], v[6:7]
	v_div_scale_f64 v[22:23], vcc_lo, v[0:1], v[26:27], v[0:1]
	v_mul_f64_e32 v[24:25], v[22:23], v[6:7]
	s_delay_alu instid0(VALU_DEP_1) | instskip(SKIP_1) | instid1(VALU_DEP_1)
	v_fma_f64 v[4:5], -v[4:5], v[24:25], v[22:23]
	s_wait_alu 0xfffd
	v_div_fmas_f64 v[4:5], v[4:5], v[6:7], v[24:25]
	s_delay_alu instid0(VALU_DEP_1)
	v_div_fixup_f64 v[0:1], v[4:5], v[26:27], v[0:1]
	ds_store_b64 v11, v[30:31]
	ds_store_b64 v12, v[32:33]
	;; [unrolled: 1-line block ×4, first 2 shown]
	s_cbranch_scc1 .LBB96_53
; %bb.52:                               ;   in Loop: Header=BB96_49 Depth=2
	s_wait_alu 0xfffe
	s_mov_b32 s21, s37
	s_branch .LBB96_49
.LBB96_53:                              ;   in Loop: Header=BB96_3 Depth=1
	s_wait_alu 0xfffe
	s_cmp_lt_i32 s37, 0
	s_cbranch_scc1 .LBB96_66
; %bb.54:                               ;   in Loop: Header=BB96_3 Depth=1
	s_bitcmp1_b32 s37, 0
	s_cselect_b32 s20, -1, 0
	s_wait_alu 0xfffe
	s_and_b32 vcc_lo, exec_lo, s20
	s_mov_b32 s20, s37
	s_wait_alu 0xfffe
	s_cbranch_vccnz .LBB96_59
; %bb.55:                               ;   in Loop: Header=BB96_3 Depth=1
	v_mad_co_u64_u32 v[0:1], null, 0xc0, s37, v[10:11]
	s_cmp_le_i32 s24, s37
	ds_load_b64 v[1:2], v0
	s_cbranch_scc1 .LBB96_58
; %bb.56:                               ;   in Loop: Header=BB96_3 Depth=1
	v_mov_b32_e32 v3, v15
	s_mul_i32 s20, s37, 0xc0
	s_mov_b32 s21, s24
	s_wait_alu 0xfffe
	s_add_co_i32 s20, s35, s20
.LBB96_57:                              ;   Parent Loop BB96_3 Depth=1
                                        ; =>  This Inner Loop Header: Depth=2
	s_wait_alu 0xfffe
	v_mov_b32_e32 v6, s20
	s_add_co_i32 s21, s21, -1
	s_add_co_i32 s20, s20, -8
	s_wait_alu 0xfffe
	s_cmp_gt_u32 s21, s37
	ds_load_b64 v[4:5], v3
	ds_load_b64 v[6:7], v6
	v_add_nc_u32_e32 v3, 0xffffff40, v3
	s_wait_dscnt 0x0
	v_fma_f64 v[1:2], -v[4:5], v[6:7], v[1:2]
	s_cbranch_scc1 .LBB96_57
.LBB96_58:                              ;   in Loop: Header=BB96_3 Depth=1
	s_mul_i32 s20, s37, 0xc8
	s_wait_alu 0xfffe
	v_mov_b32_e32 v3, s20
	s_add_co_i32 s20, s37, -1
	ds_load_b64 v[3:4], v3
	s_wait_dscnt 0x0
	v_div_scale_f64 v[5:6], null, v[3:4], v[3:4], v[1:2]
	s_delay_alu instid0(VALU_DEP_1) | instskip(NEXT) | instid1(TRANS32_DEP_1)
	v_rcp_f64_e32 v[11:12], v[5:6]
	v_fma_f64 v[20:21], -v[5:6], v[11:12], 1.0
	s_delay_alu instid0(VALU_DEP_1) | instskip(NEXT) | instid1(VALU_DEP_1)
	v_fma_f64 v[11:12], v[11:12], v[20:21], v[11:12]
	v_fma_f64 v[20:21], -v[5:6], v[11:12], 1.0
	s_delay_alu instid0(VALU_DEP_1) | instskip(SKIP_1) | instid1(VALU_DEP_1)
	v_fma_f64 v[11:12], v[11:12], v[20:21], v[11:12]
	v_div_scale_f64 v[20:21], vcc_lo, v[1:2], v[3:4], v[1:2]
	v_mul_f64_e32 v[22:23], v[20:21], v[11:12]
	s_delay_alu instid0(VALU_DEP_1) | instskip(SKIP_1) | instid1(VALU_DEP_1)
	v_fma_f64 v[5:6], -v[5:6], v[22:23], v[20:21]
	s_wait_alu 0xfffd
	v_div_fmas_f64 v[5:6], v[5:6], v[11:12], v[22:23]
	s_delay_alu instid0(VALU_DEP_1)
	v_div_fixup_f64 v[1:2], v[5:6], v[3:4], v[1:2]
	ds_store_b64 v0, v[1:2]
.LBB96_59:                              ;   in Loop: Header=BB96_3 Depth=1
	s_cmp_eq_u32 s37, 0
	s_cbranch_scc1 .LBB96_66
; %bb.60:                               ;   in Loop: Header=BB96_3 Depth=1
	s_wait_alu 0xfffe
	s_mul_i32 s37, s20, 0xc0
	s_wait_alu 0xfffe
	s_add_co_i32 s21, s35, s37
	s_add_co_i32 s37, s36, s37
	s_branch .LBB96_62
.LBB96_61:                              ;   in Loop: Header=BB96_62 Depth=2
	s_addk_co_i32 s38, 0xff38
	s_add_co_i32 s20, s20, -2
	s_wait_alu 0xfffe
	v_mov_b32_e32 v0, s38
	s_addk_co_i32 s21, 0xfe80
	s_addk_co_i32 s37, 0xfe80
	s_cmp_eq_u32 s39, 0
	ds_load_b64 v[0:1], v0
	s_wait_dscnt 0x0
	v_div_scale_f64 v[6:7], null, v[0:1], v[0:1], v[3:4]
	s_delay_alu instid0(VALU_DEP_1) | instskip(NEXT) | instid1(TRANS32_DEP_1)
	v_rcp_f64_e32 v[11:12], v[6:7]
	v_fma_f64 v[20:21], -v[6:7], v[11:12], 1.0
	s_delay_alu instid0(VALU_DEP_1) | instskip(NEXT) | instid1(VALU_DEP_1)
	v_fma_f64 v[11:12], v[11:12], v[20:21], v[11:12]
	v_fma_f64 v[20:21], -v[6:7], v[11:12], 1.0
	s_delay_alu instid0(VALU_DEP_1) | instskip(SKIP_1) | instid1(VALU_DEP_1)
	v_fma_f64 v[11:12], v[11:12], v[20:21], v[11:12]
	v_div_scale_f64 v[20:21], vcc_lo, v[3:4], v[0:1], v[3:4]
	v_mul_f64_e32 v[22:23], v[20:21], v[11:12]
	s_delay_alu instid0(VALU_DEP_1) | instskip(SKIP_1) | instid1(VALU_DEP_1)
	v_fma_f64 v[6:7], -v[6:7], v[22:23], v[20:21]
	s_wait_alu 0xfffd
	v_div_fmas_f64 v[6:7], v[6:7], v[11:12], v[22:23]
	s_delay_alu instid0(VALU_DEP_1)
	v_div_fixup_f64 v[0:1], v[6:7], v[0:1], v[3:4]
	ds_store_b64 v5, v[0:1]
	s_cbranch_scc1 .LBB96_66
.LBB96_62:                              ;   Parent Loop BB96_3 Depth=1
                                        ; =>  This Loop Header: Depth=2
                                        ;       Child Loop BB96_63 Depth 3
                                        ;       Child Loop BB96_65 Depth 3
	v_mad_co_u64_u32 v[0:1], null, 0xc0, s20, v[10:11]
	v_mov_b32_e32 v3, v15
	s_cmp_le_i32 s24, s20
	s_wait_alu 0xfffe
	s_mov_b32 s38, s21
	s_mov_b32 s39, s24
	ds_load_b64 v[1:2], v0
	s_cbranch_scc1 .LBB96_64
.LBB96_63:                              ;   Parent Loop BB96_3 Depth=1
                                        ;     Parent Loop BB96_62 Depth=2
                                        ; =>    This Inner Loop Header: Depth=3
	s_wait_alu 0xfffe
	v_mov_b32_e32 v6, s38
	s_add_co_i32 s39, s39, -1
	s_add_co_i32 s38, s38, -8
	s_wait_alu 0xfffe
	s_cmp_le_u32 s39, s20
	ds_load_b64 v[4:5], v3
	ds_load_b64 v[6:7], v6
	v_add_nc_u32_e32 v3, 0xffffff40, v3
	s_wait_dscnt 0x0
	v_fma_f64 v[1:2], -v[4:5], v[6:7], v[1:2]
	s_cbranch_scc0 .LBB96_63
.LBB96_64:                              ;   in Loop: Header=BB96_62 Depth=2
	s_mul_i32 s38, s20, 0xc8
	v_add_nc_u32_e32 v5, 0xffffff40, v0
	s_wait_alu 0xfffe
	v_mov_b32_e32 v3, s38
	s_add_co_i32 s39, s20, -1
	s_cmp_le_i32 s1, s20
	s_mov_b32 s40, s37
	s_mov_b32 s41, s24
	ds_load_b64 v[6:7], v3
	ds_load_b64 v[3:4], v5
	s_wait_dscnt 0x1
	v_div_scale_f64 v[11:12], null, v[6:7], v[6:7], v[1:2]
	s_delay_alu instid0(VALU_DEP_1) | instskip(NEXT) | instid1(TRANS32_DEP_1)
	v_rcp_f64_e32 v[20:21], v[11:12]
	v_fma_f64 v[22:23], -v[11:12], v[20:21], 1.0
	s_delay_alu instid0(VALU_DEP_1) | instskip(NEXT) | instid1(VALU_DEP_1)
	v_fma_f64 v[20:21], v[20:21], v[22:23], v[20:21]
	v_fma_f64 v[22:23], -v[11:12], v[20:21], 1.0
	s_delay_alu instid0(VALU_DEP_1) | instskip(SKIP_1) | instid1(VALU_DEP_1)
	v_fma_f64 v[20:21], v[20:21], v[22:23], v[20:21]
	v_div_scale_f64 v[22:23], vcc_lo, v[1:2], v[6:7], v[1:2]
	v_mul_f64_e32 v[24:25], v[22:23], v[20:21]
	s_delay_alu instid0(VALU_DEP_1) | instskip(SKIP_1) | instid1(VALU_DEP_1)
	v_fma_f64 v[11:12], -v[11:12], v[24:25], v[22:23]
	s_wait_alu 0xfffd
	v_div_fmas_f64 v[11:12], v[11:12], v[20:21], v[24:25]
	s_delay_alu instid0(VALU_DEP_1)
	v_div_fixup_f64 v[6:7], v[11:12], v[6:7], v[1:2]
	v_mov_b32_e32 v1, v15
	ds_store_b64 v0, v[6:7]
	s_cbranch_scc1 .LBB96_61
.LBB96_65:                              ;   Parent Loop BB96_3 Depth=1
                                        ;     Parent Loop BB96_62 Depth=2
                                        ; =>    This Inner Loop Header: Depth=3
	s_wait_alu 0xfffe
	v_mov_b32_e32 v0, s40
	s_add_co_i32 s41, s41, -1
	s_add_co_i32 s40, s40, -8
	s_wait_alu 0xfffe
	s_cmp_gt_u32 s41, s39
	ds_load_b64 v[6:7], v1
	ds_load_b64 v[11:12], v0
	v_add_nc_u32_e32 v1, 0xffffff40, v1
	s_wait_dscnt 0x0
	v_fma_f64 v[3:4], -v[6:7], v[11:12], v[3:4]
	s_cbranch_scc1 .LBB96_65
	s_branch .LBB96_61
.LBB96_66:                              ;   in Loop: Header=BB96_3 Depth=1
	s_mov_b32 s20, 0
.LBB96_67:                              ;   in Loop: Header=BB96_3 Depth=1
	s_wait_alu 0xfffe
	s_and_not1_b32 vcc_lo, exec_lo, s20
	s_wait_alu 0xfffe
	s_cbranch_vccnz .LBB96_79
; %bb.68:                               ;   in Loop: Header=BB96_3 Depth=1
	s_and_not1_b32 vcc_lo, exec_lo, s28
	s_mov_b32 s37, 0
	s_wait_alu 0xfffe
	s_cbranch_vccnz .LBB96_74
; %bb.69:                               ;   in Loop: Header=BB96_3 Depth=1
	s_mov_b32 s20, 0
	s_mov_b32 s21, 0
.LBB96_70:                              ;   Parent Loop BB96_3 Depth=1
                                        ; =>  This Loop Header: Depth=2
                                        ;       Child Loop BB96_71 Depth 3
	s_wait_alu 0xfffe
	s_mul_i32 s37, s21, 24
	v_mov_b32_e32 v12, v10
	s_wait_alu 0xfffe
	v_lshl_add_u32 v11, s37, 3, v10
	s_cmp_eq_u32 s21, 0
	s_mov_b32 s38, s20
	s_mov_b32 s39, s21
	ds_load_2addr_b64 v[4:7], v11 offset1:24
	ds_load_2addr_b64 v[0:3], v11 offset0:48 offset1:72
	s_cbranch_scc1 .LBB96_72
.LBB96_71:                              ;   Parent Loop BB96_3 Depth=1
                                        ;     Parent Loop BB96_70 Depth=2
                                        ; =>    This Inner Loop Header: Depth=3
	s_wait_alu 0xfffe
	v_mov_b32_e32 v24, s38
	s_add_co_i32 s39, s39, -1
	s_add_co_i32 s38, s38, 8
	s_wait_alu 0xfffe
	s_cmp_eq_u32 s39, 0
	ds_load_b64 v[28:29], v12
	ds_load_2addr_b64 v[20:23], v24 offset1:24
	ds_load_2addr_b64 v[24:27], v24 offset0:48 offset1:72
	v_add_nc_u32_e32 v12, 0xc0, v12
	s_wait_dscnt 0x1
	v_fma_f64 v[4:5], -v[28:29], v[20:21], v[4:5]
	v_fma_f64 v[6:7], -v[28:29], v[22:23], v[6:7]
	s_wait_dscnt 0x0
	v_fma_f64 v[0:1], -v[28:29], v[24:25], v[0:1]
	v_fma_f64 v[2:3], -v[28:29], v[26:27], v[2:3]
	s_cbranch_scc0 .LBB96_71
.LBB96_72:                              ;   in Loop: Header=BB96_70 Depth=2
	s_mul_i32 s38, s21, 0xc8
	s_lshl_b32 s37, s37, 3
	s_wait_alu 0xfffe
	v_mov_b32_e32 v12, s38
	s_lshl_b32 s38, s21, 3
	s_addk_co_i32 s20, 0x300
	s_wait_alu 0xfffe
	s_add_co_i32 s37, s37, s38
	ds_load_b64 v[24:25], v12
	s_wait_alu 0xfffe
	v_mov_b32_e32 v12, s37
	s_add_co_i32 s37, s21, 4
	s_add_co_i32 s21, s21, 7
	s_wait_alu 0xfffe
	s_cmp_ge_i32 s21, s1
	ds_load_b128 v[20:23], v12 offset:192
	s_wait_dscnt 0x1
	v_div_scale_f64 v[26:27], null, v[24:25], v[24:25], v[4:5]
	v_div_scale_f64 v[32:33], vcc_lo, v[4:5], v[24:25], v[4:5]
	s_delay_alu instid0(VALU_DEP_2) | instskip(NEXT) | instid1(TRANS32_DEP_1)
	v_rcp_f64_e32 v[28:29], v[26:27]
	v_fma_f64 v[30:31], -v[26:27], v[28:29], 1.0
	s_delay_alu instid0(VALU_DEP_1) | instskip(NEXT) | instid1(VALU_DEP_1)
	v_fma_f64 v[28:29], v[28:29], v[30:31], v[28:29]
	v_fma_f64 v[30:31], -v[26:27], v[28:29], 1.0
	s_delay_alu instid0(VALU_DEP_1) | instskip(NEXT) | instid1(VALU_DEP_1)
	v_fma_f64 v[28:29], v[28:29], v[30:31], v[28:29]
	v_mul_f64_e32 v[30:31], v[32:33], v[28:29]
	s_delay_alu instid0(VALU_DEP_1) | instskip(SKIP_1) | instid1(VALU_DEP_1)
	v_fma_f64 v[26:27], -v[26:27], v[30:31], v[32:33]
	s_wait_alu 0xfffd
	v_div_fmas_f64 v[26:27], v[26:27], v[28:29], v[30:31]
	s_delay_alu instid0(VALU_DEP_1) | instskip(SKIP_1) | instid1(VALU_DEP_1)
	v_div_fixup_f64 v[24:25], v[26:27], v[24:25], v[4:5]
	s_wait_dscnt 0x0
	v_fma_f64 v[20:21], -v[24:25], v[20:21], v[6:7]
	s_delay_alu instid0(VALU_DEP_1) | instskip(SKIP_1) | instid1(VALU_DEP_2)
	v_div_scale_f64 v[4:5], null, v[22:23], v[22:23], v[20:21]
	v_div_scale_f64 v[28:29], vcc_lo, v[20:21], v[22:23], v[20:21]
	v_rcp_f64_e32 v[6:7], v[4:5]
	s_delay_alu instid0(TRANS32_DEP_1) | instskip(NEXT) | instid1(VALU_DEP_1)
	v_fma_f64 v[26:27], -v[4:5], v[6:7], 1.0
	v_fma_f64 v[6:7], v[6:7], v[26:27], v[6:7]
	s_delay_alu instid0(VALU_DEP_1) | instskip(NEXT) | instid1(VALU_DEP_1)
	v_fma_f64 v[26:27], -v[4:5], v[6:7], 1.0
	v_fma_f64 v[6:7], v[6:7], v[26:27], v[6:7]
	s_delay_alu instid0(VALU_DEP_1) | instskip(NEXT) | instid1(VALU_DEP_1)
	v_mul_f64_e32 v[26:27], v[28:29], v[6:7]
	v_fma_f64 v[4:5], -v[4:5], v[26:27], v[28:29]
	s_wait_alu 0xfffd
	s_delay_alu instid0(VALU_DEP_1)
	v_div_fmas_f64 v[26:27], v[4:5], v[6:7], v[26:27]
	ds_load_b128 v[4:7], v12 offset:384
	ds_load_b64 v[28:29], v12 offset:400
	s_wait_dscnt 0x1
	v_fma_f64 v[0:1], -v[24:25], v[4:5], v[0:1]
	v_div_fixup_f64 v[26:27], v[26:27], v[22:23], v[20:21]
	s_delay_alu instid0(VALU_DEP_1) | instskip(SKIP_1) | instid1(VALU_DEP_1)
	v_fma_f64 v[0:1], -v[26:27], v[6:7], v[0:1]
	s_wait_dscnt 0x0
	v_div_scale_f64 v[4:5], null, v[28:29], v[28:29], v[0:1]
	v_div_scale_f64 v[22:23], vcc_lo, v[0:1], v[28:29], v[0:1]
	s_delay_alu instid0(VALU_DEP_2) | instskip(NEXT) | instid1(TRANS32_DEP_1)
	v_rcp_f64_e32 v[6:7], v[4:5]
	v_fma_f64 v[20:21], -v[4:5], v[6:7], 1.0
	s_delay_alu instid0(VALU_DEP_1) | instskip(NEXT) | instid1(VALU_DEP_1)
	v_fma_f64 v[6:7], v[6:7], v[20:21], v[6:7]
	v_fma_f64 v[20:21], -v[4:5], v[6:7], 1.0
	s_delay_alu instid0(VALU_DEP_1) | instskip(NEXT) | instid1(VALU_DEP_1)
	v_fma_f64 v[30:31], v[6:7], v[20:21], v[6:7]
	v_mul_f64_e32 v[32:33], v[22:23], v[30:31]
	s_delay_alu instid0(VALU_DEP_1)
	v_fma_f64 v[34:35], -v[4:5], v[32:33], v[22:23]
	ds_load_b128 v[4:7], v12 offset:576
	ds_load_b128 v[20:23], v12 offset:592
	s_wait_dscnt 0x1
	v_fma_f64 v[2:3], -v[24:25], v[4:5], v[2:3]
	s_wait_alu 0xfffd
	v_div_fmas_f64 v[4:5], v[34:35], v[30:31], v[32:33]
	s_delay_alu instid0(VALU_DEP_2) | instskip(NEXT) | instid1(VALU_DEP_2)
	v_fma_f64 v[2:3], -v[26:27], v[6:7], v[2:3]
	v_div_fixup_f64 v[0:1], v[4:5], v[28:29], v[0:1]
	s_wait_dscnt 0x0
	s_delay_alu instid0(VALU_DEP_1) | instskip(NEXT) | instid1(VALU_DEP_1)
	v_fma_f64 v[2:3], -v[0:1], v[20:21], v[2:3]
	v_div_scale_f64 v[4:5], null, v[22:23], v[22:23], v[2:3]
	s_delay_alu instid0(VALU_DEP_1) | instskip(NEXT) | instid1(TRANS32_DEP_1)
	v_rcp_f64_e32 v[6:7], v[4:5]
	v_fma_f64 v[20:21], -v[4:5], v[6:7], 1.0
	s_delay_alu instid0(VALU_DEP_1) | instskip(NEXT) | instid1(VALU_DEP_1)
	v_fma_f64 v[6:7], v[6:7], v[20:21], v[6:7]
	v_fma_f64 v[20:21], -v[4:5], v[6:7], 1.0
	s_delay_alu instid0(VALU_DEP_1) | instskip(SKIP_1) | instid1(VALU_DEP_1)
	v_fma_f64 v[6:7], v[6:7], v[20:21], v[6:7]
	v_div_scale_f64 v[20:21], vcc_lo, v[2:3], v[22:23], v[2:3]
	v_mul_f64_e32 v[28:29], v[20:21], v[6:7]
	s_delay_alu instid0(VALU_DEP_1) | instskip(SKIP_1) | instid1(VALU_DEP_1)
	v_fma_f64 v[4:5], -v[4:5], v[28:29], v[20:21]
	s_wait_alu 0xfffd
	v_div_fmas_f64 v[4:5], v[4:5], v[6:7], v[28:29]
	s_delay_alu instid0(VALU_DEP_1)
	v_div_fixup_f64 v[2:3], v[4:5], v[22:23], v[2:3]
	ds_store_2addr_b64 v11, v[24:25], v[26:27] offset1:24
	ds_store_2addr_b64 v11, v[0:1], v[2:3] offset0:48 offset1:72
	s_cbranch_scc1 .LBB96_74
; %bb.73:                               ;   in Loop: Header=BB96_70 Depth=2
	s_mov_b32 s21, s37
	s_branch .LBB96_70
.LBB96_74:                              ;   in Loop: Header=BB96_3 Depth=1
	s_cmp_ge_i32 s37, s1
	s_cbranch_scc1 .LBB96_79
; %bb.75:                               ;   in Loop: Header=BB96_3 Depth=1
	s_mul_i32 s20, s37, 0xc0
	s_branch .LBB96_77
.LBB96_76:                              ;   in Loop: Header=BB96_77 Depth=2
	s_mul_i32 s21, s37, 0xc8
	s_add_co_i32 s37, s37, 1
	s_wait_alu 0xfffe
	v_mov_b32_e32 v3, s21
	s_addk_co_i32 s20, 0xc0
	s_cmp_ge_i32 s37, s1
	ds_load_b64 v[3:4], v3
	s_wait_dscnt 0x0
	v_div_scale_f64 v[5:6], null, v[3:4], v[3:4], v[1:2]
	s_delay_alu instid0(VALU_DEP_1) | instskip(NEXT) | instid1(TRANS32_DEP_1)
	v_rcp_f64_e32 v[11:12], v[5:6]
	v_fma_f64 v[20:21], -v[5:6], v[11:12], 1.0
	s_delay_alu instid0(VALU_DEP_1) | instskip(NEXT) | instid1(VALU_DEP_1)
	v_fma_f64 v[11:12], v[11:12], v[20:21], v[11:12]
	v_fma_f64 v[20:21], -v[5:6], v[11:12], 1.0
	s_delay_alu instid0(VALU_DEP_1) | instskip(SKIP_1) | instid1(VALU_DEP_1)
	v_fma_f64 v[11:12], v[11:12], v[20:21], v[11:12]
	v_div_scale_f64 v[20:21], vcc_lo, v[1:2], v[3:4], v[1:2]
	v_mul_f64_e32 v[22:23], v[20:21], v[11:12]
	s_delay_alu instid0(VALU_DEP_1) | instskip(SKIP_1) | instid1(VALU_DEP_1)
	v_fma_f64 v[5:6], -v[5:6], v[22:23], v[20:21]
	s_wait_alu 0xfffd
	v_div_fmas_f64 v[5:6], v[5:6], v[11:12], v[22:23]
	s_delay_alu instid0(VALU_DEP_1)
	v_div_fixup_f64 v[1:2], v[5:6], v[3:4], v[1:2]
	ds_store_b64 v0, v[1:2]
	s_cbranch_scc1 .LBB96_79
.LBB96_77:                              ;   Parent Loop BB96_3 Depth=1
                                        ; =>  This Loop Header: Depth=2
                                        ;       Child Loop BB96_78 Depth 3
	v_mad_co_u64_u32 v[0:1], null, 0xc0, s37, v[10:11]
	v_mov_b32_e32 v3, v10
	s_cmp_eq_u32 s37, 0
	s_wait_alu 0xfffe
	s_mov_b32 s21, s20
	s_mov_b32 s38, s37
	ds_load_b64 v[1:2], v0
	s_cbranch_scc1 .LBB96_76
.LBB96_78:                              ;   Parent Loop BB96_3 Depth=1
                                        ;     Parent Loop BB96_77 Depth=2
                                        ; =>    This Inner Loop Header: Depth=3
	s_wait_alu 0xfffe
	v_mov_b32_e32 v6, s21
	s_add_co_i32 s38, s38, -1
	s_add_co_i32 s21, s21, 8
	s_wait_alu 0xfffe
	s_cmp_eq_u32 s38, 0
	ds_load_b64 v[4:5], v3
	ds_load_b64 v[6:7], v6
	v_add_nc_u32_e32 v3, 0xc0, v3
	s_wait_dscnt 0x0
	v_fma_f64 v[1:2], -v[4:5], v[6:7], v[1:2]
	s_cbranch_scc0 .LBB96_78
	s_branch .LBB96_76
.LBB96_79:                              ;   in Loop: Header=BB96_3 Depth=1
	s_and_saveexec_b32 s20, s29
	s_cbranch_execz .LBB96_2
; %bb.80:                               ;   in Loop: Header=BB96_3 Depth=1
	v_add_co_u32 v0, vcc_lo, v18, v17
	s_wait_alu 0xfffd
	v_add_co_ci_u32_e64 v1, null, 0, v19, vcc_lo
	v_mov_b32_e32 v2, v10
	s_mov_b32 s21, s23
.LBB96_81:                              ;   Parent Loop BB96_3 Depth=1
                                        ; =>  This Inner Loop Header: Depth=2
	ds_load_b64 v[3:4], v2
	v_add_nc_u32_e32 v2, 0xc0, v2
	s_wait_alu 0xfffe
	s_add_co_i32 s21, s21, -1
	s_wait_alu 0xfffe
	s_cmp_lg_u32 s21, 0
	s_wait_dscnt 0x0
	flat_store_b64 v[0:1], v[3:4]
	v_add_co_u32 v0, vcc_lo, v0, s18
	s_wait_alu 0xfffd
	v_add_co_ci_u32_e64 v1, null, s19, v1, vcc_lo
	s_cbranch_scc1 .LBB96_81
	s_branch .LBB96_2
.LBB96_82:
	s_endpgm
	.section	.rodata,"a",@progbits
	.p2align	6, 0x0
	.amdhsa_kernel _ZL31rocblas_trsm_small_right_deviceIddPKPKdPKPdLi24EEv13rocblas_fill_18rocblas_operation_17rocblas_diagonal_iiT0_T1_lilT2_lili
		.amdhsa_group_segment_fixed_size 9216
		.amdhsa_private_segment_fixed_size 0
		.amdhsa_kernarg_size 360
		.amdhsa_user_sgpr_count 2
		.amdhsa_user_sgpr_dispatch_ptr 0
		.amdhsa_user_sgpr_queue_ptr 0
		.amdhsa_user_sgpr_kernarg_segment_ptr 1
		.amdhsa_user_sgpr_dispatch_id 0
		.amdhsa_user_sgpr_private_segment_size 0
		.amdhsa_wavefront_size32 1
		.amdhsa_uses_dynamic_stack 0
		.amdhsa_enable_private_segment 0
		.amdhsa_system_sgpr_workgroup_id_x 1
		.amdhsa_system_sgpr_workgroup_id_y 0
		.amdhsa_system_sgpr_workgroup_id_z 1
		.amdhsa_system_sgpr_workgroup_info 0
		.amdhsa_system_vgpr_workitem_id 0
		.amdhsa_next_free_vgpr 241
		.amdhsa_next_free_sgpr 43
		.amdhsa_reserve_vcc 1
		.amdhsa_float_round_mode_32 0
		.amdhsa_float_round_mode_16_64 0
		.amdhsa_float_denorm_mode_32 3
		.amdhsa_float_denorm_mode_16_64 3
		.amdhsa_fp16_overflow 0
		.amdhsa_workgroup_processor_mode 1
		.amdhsa_memory_ordered 1
		.amdhsa_forward_progress 1
		.amdhsa_inst_pref_size 54
		.amdhsa_round_robin_scheduling 0
		.amdhsa_exception_fp_ieee_invalid_op 0
		.amdhsa_exception_fp_denorm_src 0
		.amdhsa_exception_fp_ieee_div_zero 0
		.amdhsa_exception_fp_ieee_overflow 0
		.amdhsa_exception_fp_ieee_underflow 0
		.amdhsa_exception_fp_ieee_inexact 0
		.amdhsa_exception_int_div_zero 0
	.end_amdhsa_kernel
	.section	.text._ZL31rocblas_trsm_small_right_deviceIddPKPKdPKPdLi24EEv13rocblas_fill_18rocblas_operation_17rocblas_diagonal_iiT0_T1_lilT2_lili,"axG",@progbits,_ZL31rocblas_trsm_small_right_deviceIddPKPKdPKPdLi24EEv13rocblas_fill_18rocblas_operation_17rocblas_diagonal_iiT0_T1_lilT2_lili,comdat
.Lfunc_end96:
	.size	_ZL31rocblas_trsm_small_right_deviceIddPKPKdPKPdLi24EEv13rocblas_fill_18rocblas_operation_17rocblas_diagonal_iiT0_T1_lilT2_lili, .Lfunc_end96-_ZL31rocblas_trsm_small_right_deviceIddPKPKdPKPdLi24EEv13rocblas_fill_18rocblas_operation_17rocblas_diagonal_iiT0_T1_lilT2_lili
                                        ; -- End function
	.set _ZL31rocblas_trsm_small_right_deviceIddPKPKdPKPdLi24EEv13rocblas_fill_18rocblas_operation_17rocblas_diagonal_iiT0_T1_lilT2_lili.num_vgpr, 41
	.set _ZL31rocblas_trsm_small_right_deviceIddPKPKdPKPdLi24EEv13rocblas_fill_18rocblas_operation_17rocblas_diagonal_iiT0_T1_lilT2_lili.num_agpr, 0
	.set _ZL31rocblas_trsm_small_right_deviceIddPKPKdPKPdLi24EEv13rocblas_fill_18rocblas_operation_17rocblas_diagonal_iiT0_T1_lilT2_lili.numbered_sgpr, 43
	.set _ZL31rocblas_trsm_small_right_deviceIddPKPKdPKPdLi24EEv13rocblas_fill_18rocblas_operation_17rocblas_diagonal_iiT0_T1_lilT2_lili.num_named_barrier, 0
	.set _ZL31rocblas_trsm_small_right_deviceIddPKPKdPKPdLi24EEv13rocblas_fill_18rocblas_operation_17rocblas_diagonal_iiT0_T1_lilT2_lili.private_seg_size, 0
	.set _ZL31rocblas_trsm_small_right_deviceIddPKPKdPKPdLi24EEv13rocblas_fill_18rocblas_operation_17rocblas_diagonal_iiT0_T1_lilT2_lili.uses_vcc, 1
	.set _ZL31rocblas_trsm_small_right_deviceIddPKPKdPKPdLi24EEv13rocblas_fill_18rocblas_operation_17rocblas_diagonal_iiT0_T1_lilT2_lili.uses_flat_scratch, 0
	.set _ZL31rocblas_trsm_small_right_deviceIddPKPKdPKPdLi24EEv13rocblas_fill_18rocblas_operation_17rocblas_diagonal_iiT0_T1_lilT2_lili.has_dyn_sized_stack, 0
	.set _ZL31rocblas_trsm_small_right_deviceIddPKPKdPKPdLi24EEv13rocblas_fill_18rocblas_operation_17rocblas_diagonal_iiT0_T1_lilT2_lili.has_recursion, 0
	.set _ZL31rocblas_trsm_small_right_deviceIddPKPKdPKPdLi24EEv13rocblas_fill_18rocblas_operation_17rocblas_diagonal_iiT0_T1_lilT2_lili.has_indirect_call, 0
	.section	.AMDGPU.csdata,"",@progbits
; Kernel info:
; codeLenInByte = 6820
; TotalNumSgprs: 45
; NumVgprs: 41
; ScratchSize: 0
; MemoryBound: 0
; FloatMode: 240
; IeeeMode: 1
; LDSByteSize: 9216 bytes/workgroup (compile time only)
; SGPRBlocks: 0
; VGPRBlocks: 30
; NumSGPRsForWavesPerEU: 45
; NumVGPRsForWavesPerEU: 241
; Occupancy: 4
; WaveLimiterHint : 0
; COMPUTE_PGM_RSRC2:SCRATCH_EN: 0
; COMPUTE_PGM_RSRC2:USER_SGPR: 2
; COMPUTE_PGM_RSRC2:TRAP_HANDLER: 0
; COMPUTE_PGM_RSRC2:TGID_X_EN: 1
; COMPUTE_PGM_RSRC2:TGID_Y_EN: 0
; COMPUTE_PGM_RSRC2:TGID_Z_EN: 1
; COMPUTE_PGM_RSRC2:TIDIG_COMP_CNT: 0
	.section	.text._ZL38rocblas_trsm_small_left_device_sharedBILi28ELi28ELb0EddPKPKdPKPdEv13rocblas_fill_18rocblas_operation_17rocblas_diagonal_iiT3_T4_lilT5_lili,"axG",@progbits,_ZL38rocblas_trsm_small_left_device_sharedBILi28ELi28ELb0EddPKPKdPKPdEv13rocblas_fill_18rocblas_operation_17rocblas_diagonal_iiT3_T4_lilT5_lili,comdat
	.globl	_ZL38rocblas_trsm_small_left_device_sharedBILi28ELi28ELb0EddPKPKdPKPdEv13rocblas_fill_18rocblas_operation_17rocblas_diagonal_iiT3_T4_lilT5_lili ; -- Begin function _ZL38rocblas_trsm_small_left_device_sharedBILi28ELi28ELb0EddPKPKdPKPdEv13rocblas_fill_18rocblas_operation_17rocblas_diagonal_iiT3_T4_lilT5_lili
	.p2align	8
	.type	_ZL38rocblas_trsm_small_left_device_sharedBILi28ELi28ELb0EddPKPKdPKPdEv13rocblas_fill_18rocblas_operation_17rocblas_diagonal_iiT3_T4_lilT5_lili,@function
_ZL38rocblas_trsm_small_left_device_sharedBILi28ELi28ELb0EddPKPKdPKPdEv13rocblas_fill_18rocblas_operation_17rocblas_diagonal_iiT3_T4_lilT5_lili: ; @_ZL38rocblas_trsm_small_left_device_sharedBILi28ELi28ELb0EddPKPKdPKPdEv13rocblas_fill_18rocblas_operation_17rocblas_diagonal_iiT3_T4_lilT5_lili
; %bb.0:
	s_load_b32 s22, s[0:1], 0x60
	s_lshr_b32 s2, ttmp7, 16
	s_wait_kmcnt 0x0
	s_cmp_ge_u32 s2, s22
	s_cbranch_scc1 .LBB97_57
; %bb.1:
	s_clause 0x5
	s_load_b96 s[16:18], s[0:1], 0x28
	s_load_b32 s20, s[0:1], 0x50
	s_load_b128 s[12:15], s[0:1], 0x4
	s_load_b32 s3, s[0:1], 0x68
	s_load_b128 s[4:7], s[0:1], 0x18
	s_load_b128 s[8:11], s[0:1], 0x40
	s_mul_i32 s0, ttmp9, 0xffffffe4
	s_mul_i32 s24, ttmp9, 28
	v_dual_mov_b32 v9, 0 :: v_dual_lshlrev_b32 v8, 3, v0
	v_mul_u32_u24_e32 v4, 0xe0, v0
	s_mov_b32 s19, 0
	s_delay_alu instid0(VALU_DEP_2) | instskip(NEXT) | instid1(VALU_DEP_2)
	v_add_nc_u32_e32 v1, 0x1880, v8
	v_add_nc_u32_e32 v10, v8, v4
	s_wait_kmcnt 0x0
	s_ashr_i32 s29, s18, 31
	v_mad_co_i64_i32 v[2:3], null, s20, v0, 0
	s_min_i32 s1, s14, 28
	s_add_co_i32 s3, s3, -1
	s_ashr_i32 s21, s20, 31
	s_add_co_i32 s15, s15, s0
	s_add_co_i32 s23, s1, -1
	s_cmp_ge_u32 ttmp9, s3
	v_lshlrev_b64_e32 v[2:3], 3, v[2:3]
	s_cselect_b32 s3, s15, 28
	s_ashr_i32 s25, s24, 31
	s_cmp_lg_u32 s13, 0x84
	v_cmp_gt_i32_e32 vcc_lo, s3, v0
	s_wait_alu 0xfffe
	s_mul_u64 s[20:21], s[20:21], s[24:25]
	s_cselect_b32 s24, -1, 0
	s_cmp_gt_i32 s14, 0
	v_cmp_gt_i32_e64 s0, s1, v0
	v_lshlrev_b32_e32 v0, 3, v0
	s_mov_b32 s28, s18
	s_cselect_b32 s3, -1, 0
	s_cmp_lg_u32 s12, 0x6f
	s_mul_i32 s27, s1, 0xe0
	s_cselect_b32 s25, -1, 0
	s_wait_alu 0xfffe
	s_and_b32 s26, vcc_lo, s3
	s_lshl_b64 s[12:13], s[28:29], 3
	s_addk_co_i32 s27, 0xff20
	s_lshl_b64 s[14:15], s[16:17], 3
	s_lshl_b64 s[10:11], s[10:11], 3
	;; [unrolled: 1-line block ×3, first 2 shown]
	s_branch .LBB97_3
.LBB97_2:                               ;   in Loop: Header=BB97_3 Depth=1
	s_wait_alu 0xfffe
	s_or_b32 exec_lo, exec_lo, s3
	s_add_co_i32 s2, s2, 0x10000
	s_wait_alu 0xfffe
	s_cmp_lt_u32 s2, s22
	s_cbranch_scc0 .LBB97_57
.LBB97_3:                               ; =>This Loop Header: Depth=1
                                        ;     Child Loop BB97_5 Depth 2
                                        ;     Child Loop BB97_11 Depth 2
                                        ;     Child Loop BB97_15 Depth 2
                                        ;       Child Loop BB97_18 Depth 3
                                        ;         Child Loop BB97_19 Depth 4
                                        ;         Child Loop BB97_22 Depth 4
                                        ;           Child Loop BB97_23 Depth 5
                                        ;         Child Loop BB97_27 Depth 4
                                        ;           Child Loop BB97_29 Depth 5
                                        ;     Child Loop BB97_37 Depth 2
                                        ;       Child Loop BB97_40 Depth 3
                                        ;         Child Loop BB97_41 Depth 4
                                        ;         Child Loop BB97_43 Depth 4
                                        ;           Child Loop BB97_44 Depth 5
                                        ;         Child Loop BB97_48 Depth 4
                                        ;           Child Loop BB97_50 Depth 5
                                        ;     Child Loop BB97_56 Depth 2
	s_mov_b32 s3, s19
	s_wait_alu 0xfffe
	s_lshl_b64 s[20:21], s[2:3], 3
	s_wait_alu 0xfffe
	s_add_nc_u64 s[28:29], s[8:9], s[20:21]
	global_load_b64 v[4:5], v9, s[28:29]
	s_and_saveexec_b32 s3, s0
	s_cbranch_execz .LBB97_9
; %bb.4:                                ;   in Loop: Header=BB97_3 Depth=1
	s_add_nc_u64 s[20:21], s[6:7], s[20:21]
	v_mov_b32_e32 v11, v8
	global_load_b64 v[6:7], v9, s[20:21]
	s_mov_b32 s18, s1
	s_wait_loadcnt 0x0
	v_add_co_u32 v6, vcc_lo, v6, s14
	s_wait_alu 0xfffd
	v_add_co_ci_u32_e64 v7, null, s15, v7, vcc_lo
	s_delay_alu instid0(VALU_DEP_2) | instskip(SKIP_1) | instid1(VALU_DEP_2)
	v_add_co_u32 v6, vcc_lo, v6, v0
	s_wait_alu 0xfffd
	v_add_co_ci_u32_e64 v7, null, 0, v7, vcc_lo
.LBB97_5:                               ;   Parent Loop BB97_3 Depth=1
                                        ; =>  This Inner Loop Header: Depth=2
	flat_load_b64 v[12:13], v[6:7]
	v_add_co_u32 v6, vcc_lo, v6, s12
	s_wait_alu 0xfffd
	v_add_co_ci_u32_e64 v7, null, s13, v7, vcc_lo
	s_add_co_i32 s18, s18, -1
	s_delay_alu instid0(SALU_CYCLE_1)
	s_cmp_eq_u32 s18, 0
	s_wait_loadcnt_dscnt 0x0
	ds_store_b64 v11, v[12:13]
	v_add_nc_u32_e32 v11, 0xe0, v11
	s_cbranch_scc0 .LBB97_5
; %bb.6:                                ;   in Loop: Header=BB97_3 Depth=1
	v_mov_b32_e32 v6, 0
	v_mov_b32_e32 v7, 0x3ff00000
	s_and_b32 vcc_lo, exec_lo, s24
	s_wait_alu 0xfffe
	s_cbranch_vccz .LBB97_8
; %bb.7:                                ;   in Loop: Header=BB97_3 Depth=1
	ds_load_b64 v[6:7], v10
	s_wait_dscnt 0x0
	v_div_scale_f64 v[11:12], null, v[6:7], v[6:7], 1.0
	s_delay_alu instid0(VALU_DEP_1) | instskip(NEXT) | instid1(TRANS32_DEP_1)
	v_rcp_f64_e32 v[13:14], v[11:12]
	v_fma_f64 v[15:16], -v[11:12], v[13:14], 1.0
	s_delay_alu instid0(VALU_DEP_1) | instskip(NEXT) | instid1(VALU_DEP_1)
	v_fma_f64 v[13:14], v[13:14], v[15:16], v[13:14]
	v_fma_f64 v[15:16], -v[11:12], v[13:14], 1.0
	s_delay_alu instid0(VALU_DEP_1) | instskip(SKIP_1) | instid1(VALU_DEP_1)
	v_fma_f64 v[13:14], v[13:14], v[15:16], v[13:14]
	v_div_scale_f64 v[15:16], vcc_lo, 1.0, v[6:7], 1.0
	v_mul_f64_e32 v[17:18], v[15:16], v[13:14]
	s_delay_alu instid0(VALU_DEP_1) | instskip(SKIP_1) | instid1(VALU_DEP_1)
	v_fma_f64 v[11:12], -v[11:12], v[17:18], v[15:16]
	s_wait_alu 0xfffd
	v_div_fmas_f64 v[11:12], v[11:12], v[13:14], v[17:18]
	s_delay_alu instid0(VALU_DEP_1)
	v_div_fixup_f64 v[6:7], v[11:12], v[6:7], 1.0
.LBB97_8:                               ;   in Loop: Header=BB97_3 Depth=1
	ds_store_b64 v10, v[6:7]
.LBB97_9:                               ;   in Loop: Header=BB97_3 Depth=1
	s_wait_alu 0xfffe
	s_or_b32 exec_lo, exec_lo, s3
	s_wait_loadcnt 0x0
	v_add_co_u32 v4, vcc_lo, v4, s10
	s_wait_alu 0xfffd
	v_add_co_ci_u32_e64 v5, null, s11, v5, vcc_lo
	s_delay_alu instid0(VALU_DEP_2) | instskip(SKIP_1) | instid1(VALU_DEP_2)
	v_add_co_u32 v7, vcc_lo, v4, s16
	s_wait_alu 0xfffd
	v_add_co_ci_u32_e64 v11, null, s17, v5, vcc_lo
	s_and_saveexec_b32 s3, s26
	s_cbranch_execz .LBB97_12
; %bb.10:                               ;   in Loop: Header=BB97_3 Depth=1
	v_add_co_u32 v4, vcc_lo, v7, v2
	s_wait_alu 0xfffd
	v_add_co_ci_u32_e64 v5, null, v11, v3, vcc_lo
	v_mov_b32_e32 v6, v1
	s_mov_b32 s18, s1
.LBB97_11:                              ;   Parent Loop BB97_3 Depth=1
                                        ; =>  This Inner Loop Header: Depth=2
	flat_load_b64 v[12:13], v[4:5]
	v_add_co_u32 v4, vcc_lo, v4, 8
	s_wait_alu 0xfffd
	v_add_co_ci_u32_e64 v5, null, 0, v5, vcc_lo
	s_add_co_i32 s18, s18, -1
	s_delay_alu instid0(SALU_CYCLE_1)
	s_cmp_lg_u32 s18, 0
	s_wait_loadcnt_dscnt 0x0
	v_mul_f64_e32 v[12:13], s[4:5], v[12:13]
	ds_store_b64 v6, v[12:13]
	v_add_nc_u32_e32 v6, 0xe0, v6
	s_cbranch_scc1 .LBB97_11
.LBB97_12:                              ;   in Loop: Header=BB97_3 Depth=1
	s_wait_alu 0xfffe
	s_or_b32 exec_lo, exec_lo, s3
	s_delay_alu instid0(SALU_CYCLE_1)
	s_and_not1_b32 vcc_lo, exec_lo, s25
	s_mov_b32 s3, -1
	s_wait_dscnt 0x0
	; wave barrier
	global_inv scope:SCOPE_SE
	s_wait_alu 0xfffe
	s_cbranch_vccnz .LBB97_34
; %bb.13:                               ;   in Loop: Header=BB97_3 Depth=1
	s_mov_b32 s18, 0
	s_delay_alu instid0(SALU_CYCLE_1)
	s_mov_b32 s3, s18
	s_branch .LBB97_15
.LBB97_14:                              ;   in Loop: Header=BB97_15 Depth=2
	s_cmp_lt_i32 s3, s1
	s_cselect_b32 s20, -1, 0
	s_add_co_i32 s21, s18, 1
	s_cmp_lt_u32 s18, 2
	s_cselect_b32 s18, -1, 0
	s_wait_alu 0xfffe
	s_and_b32 s18, s20, s18
	s_delay_alu instid0(SALU_CYCLE_1)
	s_and_b32 vcc_lo, exec_lo, s18
	s_mov_b32 s18, s21
	s_wait_alu 0xfffe
	s_cbranch_vccz .LBB97_33
.LBB97_15:                              ;   Parent Loop BB97_3 Depth=1
                                        ; =>  This Loop Header: Depth=2
                                        ;       Child Loop BB97_18 Depth 3
                                        ;         Child Loop BB97_19 Depth 4
                                        ;         Child Loop BB97_22 Depth 4
                                        ;           Child Loop BB97_23 Depth 5
                                        ;         Child Loop BB97_27 Depth 4
                                        ;           Child Loop BB97_29 Depth 5
	s_getpc_b64 s[20:21]
	s_wait_alu 0xfffe
	s_sext_i32_i16 s21, s21
	s_add_co_u32 s20, s20, __const._ZL38rocblas_trsm_small_left_device_sharedBILi28ELi28ELb0EddPKPKdPKPdEv13rocblas_fill_18rocblas_operation_17rocblas_diagonal_iiT3_T4_lilT5_lili.step_sizes@rel32@lo+12
	s_wait_alu 0xfffe
	s_add_co_ci_u32 s21, s21, __const._ZL38rocblas_trsm_small_left_device_sharedBILi28ELi28ELb0EddPKPKdPKPdEv13rocblas_fill_18rocblas_operation_17rocblas_diagonal_iiT3_T4_lilT5_lili.step_sizes@rel32@hi+24
	s_lshl_b64 s[28:29], s[18:19], 2
	s_wait_alu 0xfffe
	s_add_nc_u64 s[20:21], s[20:21], s[28:29]
	s_load_b32 s20, s[20:21], 0x0
	s_wait_kmcnt 0x0
	s_add_co_i32 s21, s20, -1
	s_wait_alu 0xfffe
	s_add_co_i32 s28, s21, s3
	s_wait_alu 0xfffe
	s_cmp_ge_i32 s28, s1
	s_cbranch_scc1 .LBB97_14
; %bb.16:                               ;   in Loop: Header=BB97_15 Depth=2
	s_mul_i32 s28, s3, 0xe0
	s_max_i32 s29, s20, 1
	s_wait_alu 0xfffe
	v_add_nc_u32_e32 v6, s28, v1
	s_mul_i32 s30, s20, 0xe0
	s_mul_i32 s31, s3, 0xe8
	;; [unrolled: 1-line block ×3, first 2 shown]
	s_branch .LBB97_18
.LBB97_17:                              ;   in Loop: Header=BB97_18 Depth=3
	s_add_co_i32 s3, s3, s20
	v_add_nc_u32_e32 v6, s30, v6
	s_wait_alu 0xfffe
	s_add_co_i32 s34, s21, s3
	s_add_co_i32 s28, s28, s30
	;; [unrolled: 1-line block ×3, first 2 shown]
	s_wait_alu 0xfffe
	s_cmp_ge_i32 s34, s1
	s_cbranch_scc1 .LBB97_14
.LBB97_18:                              ;   Parent Loop BB97_3 Depth=1
                                        ;     Parent Loop BB97_15 Depth=2
                                        ; =>    This Loop Header: Depth=3
                                        ;         Child Loop BB97_19 Depth 4
                                        ;         Child Loop BB97_22 Depth 4
                                        ;           Child Loop BB97_23 Depth 5
                                        ;         Child Loop BB97_27 Depth 4
                                        ;           Child Loop BB97_29 Depth 5
	v_mov_b32_e32 v4, v6
	s_mov_b32 s34, 0
	s_mov_b32 s35, s29
.LBB97_19:                              ;   Parent Loop BB97_3 Depth=1
                                        ;     Parent Loop BB97_15 Depth=2
                                        ;       Parent Loop BB97_18 Depth=3
                                        ; =>      This Inner Loop Header: Depth=4
	ds_load_b64 v[12:13], v4
	v_add_nc_u32_e32 v4, 0xe0, v4
	s_wait_alu 0xfffe
	s_add_co_i32 s35, s35, -1
	s_wait_dscnt 0x0
	scratch_store_b64 off, v[12:13], s34
	s_add_co_i32 s34, s34, 8
	s_wait_alu 0xfffe
	s_cmp_eq_u32 s35, 0
	s_cbranch_scc0 .LBB97_19
; %bb.20:                               ;   in Loop: Header=BB97_18 Depth=3
	s_cmp_lt_i32 s3, 1
	s_cbranch_scc1 .LBB97_25
; %bb.21:                               ;   in Loop: Header=BB97_18 Depth=3
	s_mov_b32 s34, 0
	s_mov_b32 s35, s28
.LBB97_22:                              ;   Parent Loop BB97_3 Depth=1
                                        ;     Parent Loop BB97_15 Depth=2
                                        ;       Parent Loop BB97_18 Depth=3
                                        ; =>      This Loop Header: Depth=4
                                        ;           Child Loop BB97_23 Depth 5
	s_wait_alu 0xfffe
	v_mad_co_u64_u32 v[4:5], null, 0xe0, s34, v[1:2]
	s_mov_b32 s36, 0
	s_mov_b32 s37, s35
	;; [unrolled: 1-line block ×3, first 2 shown]
	ds_load_b64 v[4:5], v4
.LBB97_23:                              ;   Parent Loop BB97_3 Depth=1
                                        ;     Parent Loop BB97_15 Depth=2
                                        ;       Parent Loop BB97_18 Depth=3
                                        ;         Parent Loop BB97_22 Depth=4
                                        ; =>        This Inner Loop Header: Depth=5
	scratch_load_b64 v[12:13], off, s36
	s_wait_alu 0xfffe
	v_mov_b32_e32 v14, s37
	s_add_co_i32 s38, s38, -1
	s_addk_co_i32 s37, 0xe0
	ds_load_b64 v[14:15], v14
	s_wait_loadcnt_dscnt 0x0
	v_fma_f64 v[12:13], -v[4:5], v[14:15], v[12:13]
	scratch_store_b64 off, v[12:13], s36
	s_add_co_i32 s36, s36, 8
	s_wait_alu 0xfffe
	s_cmp_eq_u32 s38, 0
	s_cbranch_scc0 .LBB97_23
; %bb.24:                               ;   in Loop: Header=BB97_22 Depth=4
	s_add_co_i32 s34, s34, 1
	s_add_co_i32 s35, s35, 8
	s_wait_alu 0xfffe
	s_cmp_eq_u32 s34, s3
	s_cbranch_scc0 .LBB97_22
.LBB97_25:                              ;   in Loop: Header=BB97_18 Depth=3
	s_mul_i32 s34, s3, 0xe0
	s_mov_b32 s35, 0
	s_wait_alu 0xfffe
	s_mov_b32 s36, s31
	s_branch .LBB97_27
.LBB97_26:                              ;   in Loop: Header=BB97_27 Depth=4
	s_wait_alu 0xfffe
	s_mulk_i32 s38, 0xe8
	s_addk_co_i32 s36, 0xe0
	s_wait_alu 0xfffe
	v_mov_b32_e32 v12, s38
	s_lshl_b32 s38, s35, 3
	s_add_co_i32 s35, s35, 1
	s_wait_alu 0xfffe
	s_cmp_eq_u32 s35, s29
	ds_load_b64 v[12:13], v12
	s_wait_loadcnt_dscnt 0x0
	v_mul_f64_e32 v[4:5], v[12:13], v[4:5]
	v_add_nc_u32_e32 v12, s37, v1
	scratch_store_b64 off, v[4:5], s38
	ds_store_b64 v12, v[4:5]
	s_cbranch_scc1 .LBB97_17
.LBB97_27:                              ;   Parent Loop BB97_3 Depth=1
                                        ;     Parent Loop BB97_15 Depth=2
                                        ;       Parent Loop BB97_18 Depth=3
                                        ; =>      This Loop Header: Depth=4
                                        ;           Child Loop BB97_29 Depth 5
	s_cmp_lg_u32 s35, 0
	s_cbranch_scc0 .LBB97_31
; %bb.28:                               ;   in Loop: Header=BB97_27 Depth=4
	s_lshl_b32 s39, s35, 3
	s_add_co_i32 s38, s35, s3
	scratch_load_b64 v[4:5], off, s39
	s_wait_alu 0xfffe
	s_mul_i32 s37, s38, 0xe0
	s_mov_b32 s40, 0
	s_mov_b32 s41, s36
	;; [unrolled: 1-line block ×3, first 2 shown]
.LBB97_29:                              ;   Parent Loop BB97_3 Depth=1
                                        ;     Parent Loop BB97_15 Depth=2
                                        ;       Parent Loop BB97_18 Depth=3
                                        ;         Parent Loop BB97_27 Depth=4
                                        ; =>        This Inner Loop Header: Depth=5
	scratch_load_b64 v[12:13], off, s40
	s_wait_alu 0xfffe
	v_mov_b32_e32 v14, s41
	s_add_co_i32 s42, s42, -1
	s_add_co_i32 s40, s40, 8
	s_add_co_i32 s41, s41, 8
	s_cmp_eq_u32 s42, 0
	ds_load_b64 v[14:15], v14
	s_wait_loadcnt_dscnt 0x0
	v_fma_f64 v[4:5], -v[12:13], v[14:15], v[4:5]
	scratch_store_b64 off, v[4:5], s39
	s_cbranch_scc0 .LBB97_29
; %bb.30:                               ;   in Loop: Header=BB97_27 Depth=4
	s_branch .LBB97_26
.LBB97_31:                              ;   in Loop: Header=BB97_27 Depth=4
                                        ; implicit-def: $vgpr4_vgpr5
                                        ; implicit-def: $sgpr38
                                        ; implicit-def: $sgpr37
	s_cbranch_execz .LBB97_26
; %bb.32:                               ;   in Loop: Header=BB97_27 Depth=4
	scratch_load_b64 v[4:5], off, off
	s_mov_b32 s37, s34
	s_mov_b32 s38, s3
	s_branch .LBB97_26
.LBB97_33:                              ;   in Loop: Header=BB97_3 Depth=1
	s_mov_b32 s3, 0
.LBB97_34:                              ;   in Loop: Header=BB97_3 Depth=1
	s_wait_alu 0xfffe
	s_and_b32 vcc_lo, exec_lo, s3
	s_wait_alu 0xfffe
	s_cbranch_vccz .LBB97_54
; %bb.35:                               ;   in Loop: Header=BB97_3 Depth=1
	s_mov_b32 s18, 0
	s_mov_b32 s3, s23
	s_branch .LBB97_37
.LBB97_36:                              ;   in Loop: Header=BB97_37 Depth=2
	s_cmp_gt_i32 s3, -1
	s_cselect_b32 s20, -1, 0
	s_add_co_i32 s21, s18, 1
	s_cmp_lt_u32 s18, 2
	s_cselect_b32 s18, -1, 0
	s_wait_alu 0xfffe
	s_and_b32 s18, s20, s18
	s_delay_alu instid0(SALU_CYCLE_1)
	s_and_not1_b32 vcc_lo, exec_lo, s18
	s_mov_b32 s18, s21
	s_wait_alu 0xfffe
	s_cbranch_vccnz .LBB97_54
.LBB97_37:                              ;   Parent Loop BB97_3 Depth=1
                                        ; =>  This Loop Header: Depth=2
                                        ;       Child Loop BB97_40 Depth 3
                                        ;         Child Loop BB97_41 Depth 4
                                        ;         Child Loop BB97_43 Depth 4
                                        ;           Child Loop BB97_44 Depth 5
                                        ;         Child Loop BB97_48 Depth 4
                                        ;           Child Loop BB97_50 Depth 5
	s_getpc_b64 s[20:21]
	s_wait_alu 0xfffe
	s_sext_i32_i16 s21, s21
	s_add_co_u32 s20, s20, __const._ZL38rocblas_trsm_small_left_device_sharedBILi28ELi28ELb0EddPKPKdPKPdEv13rocblas_fill_18rocblas_operation_17rocblas_diagonal_iiT3_T4_lilT5_lili.step_sizes@rel32@lo+12
	s_wait_alu 0xfffe
	s_add_co_ci_u32 s21, s21, __const._ZL38rocblas_trsm_small_left_device_sharedBILi28ELi28ELb0EddPKPKdPKPdEv13rocblas_fill_18rocblas_operation_17rocblas_diagonal_iiT3_T4_lilT5_lili.step_sizes@rel32@hi+24
	s_lshl_b64 s[28:29], s[18:19], 2
	s_wait_alu 0xfffe
	s_add_nc_u64 s[20:21], s[20:21], s[28:29]
	s_load_b32 s20, s[20:21], 0x0
	s_wait_kmcnt 0x0
	s_add_co_i32 s21, s20, -1
	s_wait_alu 0xfffe
	s_cmp_lt_i32 s3, s21
	s_cbranch_scc1 .LBB97_36
; %bb.38:                               ;   in Loop: Header=BB97_37 Depth=2
	v_mad_co_u64_u32 v[4:5], null, 0xe0, s3, v[1:2]
	s_lshl_b32 s30, s3, 3
	s_lshl_b32 s31, s20, 3
	s_max_i32 s28, s20, 1
	s_mul_i32 s29, s20, 0xffffff20
	s_wait_alu 0xfffe
	s_add_co_i32 s30, s27, s30
	s_sub_co_i32 s31, 0, s31
	s_mul_i32 s33, s3, 0xe8
	s_mul_i32 s34, s20, 0xffffff18
	s_branch .LBB97_40
.LBB97_39:                              ;   in Loop: Header=BB97_40 Depth=3
	v_add_nc_u32_e32 v4, s29, v4
	s_sub_co_i32 s3, s3, s20
	s_add_co_i32 s30, s30, s31
	s_add_co_i32 s33, s33, s34
	s_wait_alu 0xfffe
	s_cmp_lt_i32 s3, s21
	s_cbranch_scc1 .LBB97_36
.LBB97_40:                              ;   Parent Loop BB97_3 Depth=1
                                        ;     Parent Loop BB97_37 Depth=2
                                        ; =>    This Loop Header: Depth=3
                                        ;         Child Loop BB97_41 Depth 4
                                        ;         Child Loop BB97_43 Depth 4
                                        ;           Child Loop BB97_44 Depth 5
                                        ;         Child Loop BB97_48 Depth 4
                                        ;           Child Loop BB97_50 Depth 5
	v_mov_b32_e32 v5, v4
	s_mov_b32 s35, 0
	s_mov_b32 s36, s28
.LBB97_41:                              ;   Parent Loop BB97_3 Depth=1
                                        ;     Parent Loop BB97_37 Depth=2
                                        ;       Parent Loop BB97_40 Depth=3
                                        ; =>      This Inner Loop Header: Depth=4
	ds_load_b64 v[12:13], v5
	v_add_nc_u32_e32 v5, 0xffffff20, v5
	s_wait_alu 0xfffe
	s_add_co_i32 s36, s36, -1
	s_wait_dscnt 0x0
	scratch_store_b64 off, v[12:13], s35
	s_add_co_i32 s35, s35, 8
	s_wait_alu 0xfffe
	s_cmp_eq_u32 s36, 0
	s_cbranch_scc0 .LBB97_41
; %bb.42:                               ;   in Loop: Header=BB97_40 Depth=3
	s_cmp_le_i32 s23, s3
	s_mov_b32 s35, s30
	s_mov_b32 s36, s23
	s_cbranch_scc1 .LBB97_46
.LBB97_43:                              ;   Parent Loop BB97_3 Depth=1
                                        ;     Parent Loop BB97_37 Depth=2
                                        ;       Parent Loop BB97_40 Depth=3
                                        ; =>      This Loop Header: Depth=4
                                        ;           Child Loop BB97_44 Depth 5
	s_wait_alu 0xfffe
	v_mad_co_u64_u32 v[5:6], null, 0xe0, s36, v[1:2]
	s_mov_b32 s37, 0
	s_mov_b32 s38, s35
	;; [unrolled: 1-line block ×3, first 2 shown]
	ds_load_b64 v[5:6], v5
.LBB97_44:                              ;   Parent Loop BB97_3 Depth=1
                                        ;     Parent Loop BB97_37 Depth=2
                                        ;       Parent Loop BB97_40 Depth=3
                                        ;         Parent Loop BB97_43 Depth=4
                                        ; =>        This Inner Loop Header: Depth=5
	scratch_load_b64 v[12:13], off, s37
	s_wait_alu 0xfffe
	v_mov_b32_e32 v14, s38
	s_add_co_i32 s39, s39, -1
	s_add_co_i32 s38, s38, -8
	ds_load_b64 v[14:15], v14
	s_wait_loadcnt_dscnt 0x0
	v_fma_f64 v[12:13], -v[5:6], v[14:15], v[12:13]
	scratch_store_b64 off, v[12:13], s37
	s_add_co_i32 s37, s37, 8
	s_wait_alu 0xfffe
	s_cmp_eq_u32 s39, 0
	s_cbranch_scc0 .LBB97_44
; %bb.45:                               ;   in Loop: Header=BB97_43 Depth=4
	s_add_co_i32 s36, s36, -1
	s_addk_co_i32 s35, 0xff20
	s_wait_alu 0xfffe
	s_cmp_le_i32 s36, s3
	s_cbranch_scc0 .LBB97_43
.LBB97_46:                              ;   in Loop: Header=BB97_40 Depth=3
	s_mov_b32 s35, 0
	s_mov_b32 s36, s33
	s_branch .LBB97_48
.LBB97_47:                              ;   in Loop: Header=BB97_48 Depth=4
	s_wait_alu 0xfffe
	s_mul_i32 s38, s37, 0xe8
	s_add_co_i32 s36, s36, -8
	s_wait_alu 0xfffe
	v_mov_b32_e32 v12, s38
	ds_load_b64 v[12:13], v12
	s_wait_loadcnt_dscnt 0x0
	v_mul_f64_e32 v[5:6], v[12:13], v[5:6]
	v_mad_co_u64_u32 v[12:13], null, 0xe0, s37, v[1:2]
	s_lshl_b32 s37, s35, 3
	s_add_co_i32 s35, s35, 1
	s_wait_alu 0xfffe
	s_cmp_eq_u32 s35, s28
	scratch_store_b64 off, v[5:6], s37
	ds_store_b64 v12, v[5:6]
	s_cbranch_scc1 .LBB97_39
.LBB97_48:                              ;   Parent Loop BB97_3 Depth=1
                                        ;     Parent Loop BB97_37 Depth=2
                                        ;       Parent Loop BB97_40 Depth=3
                                        ; =>      This Loop Header: Depth=4
                                        ;           Child Loop BB97_50 Depth 5
	s_wait_alu 0xfffe
	s_cmp_lg_u32 s35, 0
	s_cbranch_scc0 .LBB97_52
; %bb.49:                               ;   in Loop: Header=BB97_48 Depth=4
	s_lshl_b32 s38, s35, 3
	s_sub_co_i32 s37, s3, s35
	scratch_load_b64 v[5:6], off, s38
	s_mov_b32 s39, 0
	s_mov_b32 s40, s36
	;; [unrolled: 1-line block ×3, first 2 shown]
.LBB97_50:                              ;   Parent Loop BB97_3 Depth=1
                                        ;     Parent Loop BB97_37 Depth=2
                                        ;       Parent Loop BB97_40 Depth=3
                                        ;         Parent Loop BB97_48 Depth=4
                                        ; =>        This Inner Loop Header: Depth=5
	scratch_load_b64 v[12:13], off, s39
	s_wait_alu 0xfffe
	v_mov_b32_e32 v14, s40
	s_add_co_i32 s41, s41, -1
	s_addk_co_i32 s40, 0xff20
	s_add_co_i32 s39, s39, 8
	s_wait_alu 0xfffe
	s_cmp_eq_u32 s41, 0
	ds_load_b64 v[14:15], v14
	s_wait_loadcnt_dscnt 0x0
	v_fma_f64 v[5:6], -v[12:13], v[14:15], v[5:6]
	scratch_store_b64 off, v[5:6], s38
	s_cbranch_scc0 .LBB97_50
; %bb.51:                               ;   in Loop: Header=BB97_48 Depth=4
	s_branch .LBB97_47
.LBB97_52:                              ;   in Loop: Header=BB97_48 Depth=4
                                        ; implicit-def: $vgpr5_vgpr6
                                        ; implicit-def: $sgpr37
	s_cbranch_execz .LBB97_47
; %bb.53:                               ;   in Loop: Header=BB97_48 Depth=4
	scratch_load_b64 v[5:6], off, off
	s_mov_b32 s37, s3
	s_branch .LBB97_47
.LBB97_54:                              ;   in Loop: Header=BB97_3 Depth=1
	s_wait_storecnt 0x0
	; wave barrier
	s_wait_loadcnt_dscnt 0x0
	global_inv scope:SCOPE_SE
	s_and_saveexec_b32 s3, s26
	s_cbranch_execz .LBB97_2
; %bb.55:                               ;   in Loop: Header=BB97_3 Depth=1
	v_add_co_u32 v4, vcc_lo, v7, v2
	s_wait_alu 0xfffd
	v_add_co_ci_u32_e64 v5, null, v11, v3, vcc_lo
	v_mov_b32_e32 v6, v1
	s_mov_b32 s18, s1
.LBB97_56:                              ;   Parent Loop BB97_3 Depth=1
                                        ; =>  This Inner Loop Header: Depth=2
	ds_load_b64 v[11:12], v6
	v_add_nc_u32_e32 v6, 0xe0, v6
	s_add_co_i32 s18, s18, -1
	s_delay_alu instid0(SALU_CYCLE_1)
	s_cmp_lg_u32 s18, 0
	s_wait_dscnt 0x0
	flat_store_b64 v[4:5], v[11:12]
	v_add_co_u32 v4, vcc_lo, v4, 8
	s_wait_alu 0xfffd
	v_add_co_ci_u32_e64 v5, null, 0, v5, vcc_lo
	s_cbranch_scc1 .LBB97_56
	s_branch .LBB97_2
.LBB97_57:
	s_endpgm
	.section	.rodata,"a",@progbits
	.p2align	6, 0x0
	.amdhsa_kernel _ZL38rocblas_trsm_small_left_device_sharedBILi28ELi28ELb0EddPKPKdPKPdEv13rocblas_fill_18rocblas_operation_17rocblas_diagonal_iiT3_T4_lilT5_lili
		.amdhsa_group_segment_fixed_size 12544
		.amdhsa_private_segment_fixed_size 240
		.amdhsa_kernarg_size 360
		.amdhsa_user_sgpr_count 2
		.amdhsa_user_sgpr_dispatch_ptr 0
		.amdhsa_user_sgpr_queue_ptr 0
		.amdhsa_user_sgpr_kernarg_segment_ptr 1
		.amdhsa_user_sgpr_dispatch_id 0
		.amdhsa_user_sgpr_private_segment_size 0
		.amdhsa_wavefront_size32 1
		.amdhsa_uses_dynamic_stack 0
		.amdhsa_enable_private_segment 1
		.amdhsa_system_sgpr_workgroup_id_x 1
		.amdhsa_system_sgpr_workgroup_id_y 0
		.amdhsa_system_sgpr_workgroup_id_z 1
		.amdhsa_system_sgpr_workgroup_info 0
		.amdhsa_system_vgpr_workitem_id 0
		.amdhsa_next_free_vgpr 241
		.amdhsa_next_free_sgpr 43
		.amdhsa_reserve_vcc 1
		.amdhsa_float_round_mode_32 0
		.amdhsa_float_round_mode_16_64 0
		.amdhsa_float_denorm_mode_32 3
		.amdhsa_float_denorm_mode_16_64 3
		.amdhsa_fp16_overflow 0
		.amdhsa_workgroup_processor_mode 1
		.amdhsa_memory_ordered 1
		.amdhsa_forward_progress 1
		.amdhsa_inst_pref_size 19
		.amdhsa_round_robin_scheduling 0
		.amdhsa_exception_fp_ieee_invalid_op 0
		.amdhsa_exception_fp_denorm_src 0
		.amdhsa_exception_fp_ieee_div_zero 0
		.amdhsa_exception_fp_ieee_overflow 0
		.amdhsa_exception_fp_ieee_underflow 0
		.amdhsa_exception_fp_ieee_inexact 0
		.amdhsa_exception_int_div_zero 0
	.end_amdhsa_kernel
	.section	.text._ZL38rocblas_trsm_small_left_device_sharedBILi28ELi28ELb0EddPKPKdPKPdEv13rocblas_fill_18rocblas_operation_17rocblas_diagonal_iiT3_T4_lilT5_lili,"axG",@progbits,_ZL38rocblas_trsm_small_left_device_sharedBILi28ELi28ELb0EddPKPKdPKPdEv13rocblas_fill_18rocblas_operation_17rocblas_diagonal_iiT3_T4_lilT5_lili,comdat
.Lfunc_end97:
	.size	_ZL38rocblas_trsm_small_left_device_sharedBILi28ELi28ELb0EddPKPKdPKPdEv13rocblas_fill_18rocblas_operation_17rocblas_diagonal_iiT3_T4_lilT5_lili, .Lfunc_end97-_ZL38rocblas_trsm_small_left_device_sharedBILi28ELi28ELb0EddPKPKdPKPdEv13rocblas_fill_18rocblas_operation_17rocblas_diagonal_iiT3_T4_lilT5_lili
                                        ; -- End function
	.set _ZL38rocblas_trsm_small_left_device_sharedBILi28ELi28ELb0EddPKPKdPKPdEv13rocblas_fill_18rocblas_operation_17rocblas_diagonal_iiT3_T4_lilT5_lili.num_vgpr, 19
	.set _ZL38rocblas_trsm_small_left_device_sharedBILi28ELi28ELb0EddPKPKdPKPdEv13rocblas_fill_18rocblas_operation_17rocblas_diagonal_iiT3_T4_lilT5_lili.num_agpr, 0
	.set _ZL38rocblas_trsm_small_left_device_sharedBILi28ELi28ELb0EddPKPKdPKPdEv13rocblas_fill_18rocblas_operation_17rocblas_diagonal_iiT3_T4_lilT5_lili.numbered_sgpr, 43
	.set _ZL38rocblas_trsm_small_left_device_sharedBILi28ELi28ELb0EddPKPKdPKPdEv13rocblas_fill_18rocblas_operation_17rocblas_diagonal_iiT3_T4_lilT5_lili.num_named_barrier, 0
	.set _ZL38rocblas_trsm_small_left_device_sharedBILi28ELi28ELb0EddPKPKdPKPdEv13rocblas_fill_18rocblas_operation_17rocblas_diagonal_iiT3_T4_lilT5_lili.private_seg_size, 240
	.set _ZL38rocblas_trsm_small_left_device_sharedBILi28ELi28ELb0EddPKPKdPKPdEv13rocblas_fill_18rocblas_operation_17rocblas_diagonal_iiT3_T4_lilT5_lili.uses_vcc, 1
	.set _ZL38rocblas_trsm_small_left_device_sharedBILi28ELi28ELb0EddPKPKdPKPdEv13rocblas_fill_18rocblas_operation_17rocblas_diagonal_iiT3_T4_lilT5_lili.uses_flat_scratch, 0
	.set _ZL38rocblas_trsm_small_left_device_sharedBILi28ELi28ELb0EddPKPKdPKPdEv13rocblas_fill_18rocblas_operation_17rocblas_diagonal_iiT3_T4_lilT5_lili.has_dyn_sized_stack, 0
	.set _ZL38rocblas_trsm_small_left_device_sharedBILi28ELi28ELb0EddPKPKdPKPdEv13rocblas_fill_18rocblas_operation_17rocblas_diagonal_iiT3_T4_lilT5_lili.has_recursion, 0
	.set _ZL38rocblas_trsm_small_left_device_sharedBILi28ELi28ELb0EddPKPKdPKPdEv13rocblas_fill_18rocblas_operation_17rocblas_diagonal_iiT3_T4_lilT5_lili.has_indirect_call, 0
	.section	.AMDGPU.csdata,"",@progbits
; Kernel info:
; codeLenInByte = 2388
; TotalNumSgprs: 45
; NumVgprs: 19
; ScratchSize: 240
; MemoryBound: 0
; FloatMode: 240
; IeeeMode: 1
; LDSByteSize: 12544 bytes/workgroup (compile time only)
; SGPRBlocks: 0
; VGPRBlocks: 30
; NumSGPRsForWavesPerEU: 45
; NumVGPRsForWavesPerEU: 241
; Occupancy: 3
; WaveLimiterHint : 0
; COMPUTE_PGM_RSRC2:SCRATCH_EN: 1
; COMPUTE_PGM_RSRC2:USER_SGPR: 2
; COMPUTE_PGM_RSRC2:TRAP_HANDLER: 0
; COMPUTE_PGM_RSRC2:TGID_X_EN: 1
; COMPUTE_PGM_RSRC2:TGID_Y_EN: 0
; COMPUTE_PGM_RSRC2:TGID_Z_EN: 1
; COMPUTE_PGM_RSRC2:TIDIG_COMP_CNT: 0
	.section	.text._ZL30rocblas_trsm_small_left_deviceILi28ELi28ELb0EddPKPKdPKPdEv13rocblas_fill_18rocblas_operation_17rocblas_diagonal_iiT3_T4_lilT5_lili,"axG",@progbits,_ZL30rocblas_trsm_small_left_deviceILi28ELi28ELb0EddPKPKdPKPdEv13rocblas_fill_18rocblas_operation_17rocblas_diagonal_iiT3_T4_lilT5_lili,comdat
	.globl	_ZL30rocblas_trsm_small_left_deviceILi28ELi28ELb0EddPKPKdPKPdEv13rocblas_fill_18rocblas_operation_17rocblas_diagonal_iiT3_T4_lilT5_lili ; -- Begin function _ZL30rocblas_trsm_small_left_deviceILi28ELi28ELb0EddPKPKdPKPdEv13rocblas_fill_18rocblas_operation_17rocblas_diagonal_iiT3_T4_lilT5_lili
	.p2align	8
	.type	_ZL30rocblas_trsm_small_left_deviceILi28ELi28ELb0EddPKPKdPKPdEv13rocblas_fill_18rocblas_operation_17rocblas_diagonal_iiT3_T4_lilT5_lili,@function
_ZL30rocblas_trsm_small_left_deviceILi28ELi28ELb0EddPKPKdPKPdEv13rocblas_fill_18rocblas_operation_17rocblas_diagonal_iiT3_T4_lilT5_lili: ; @_ZL30rocblas_trsm_small_left_deviceILi28ELi28ELb0EddPKPKdPKPdEv13rocblas_fill_18rocblas_operation_17rocblas_diagonal_iiT3_T4_lilT5_lili
; %bb.0:
	s_load_b32 s28, s[0:1], 0x60
	s_lshr_b32 s2, ttmp7, 16
	s_wait_kmcnt 0x0
	s_cmp_ge_u32 s2, s28
	s_cbranch_scc1 .LBB98_54
; %bb.1:
	s_clause 0x5
	s_load_b96 s[16:18], s[0:1], 0x28
	s_load_b128 s[12:15], s[0:1], 0x4
	s_load_b32 s3, s[0:1], 0x68
	s_load_b32 s20, s[0:1], 0x50
	s_load_b128 s[4:7], s[0:1], 0x18
	s_load_b128 s[8:11], s[0:1], 0x40
	v_mad_co_u64_u32 v[1:2], null, ttmp9, 28, v[0:1]
	s_mul_i32 s0, ttmp9, 0xffffffe4
	v_dual_mov_b32 v10, 0 :: v_dual_lshlrev_b32 v9, 3, v0
	v_mul_u32_u24_e32 v3, 0xe0, v0
	s_mov_b32 s35, 0
                                        ; implicit-def: $sgpr36
                                        ; implicit-def: $sgpr37
	s_delay_alu instid0(VALU_DEP_1)
	v_add_nc_u32_e32 v13, v9, v3
	s_wait_kmcnt 0x0
	s_ashr_i32 s19, s18, 31
	s_min_i32 s29, s14, 28
	s_add_co_i32 s3, s3, -1
	v_mad_co_i64_i32 v[1:2], null, s20, v1, 0
	s_wait_alu 0xfffe
	s_add_co_i32 s1, s15, s0
	s_add_co_i32 s30, s29, -1
	s_cmp_ge_u32 ttmp9, s3
	v_cmp_gt_i32_e64 s0, s29, v0
	s_wait_alu 0xfffe
	s_cselect_b32 s1, s1, 28
	s_cmp_lg_u32 s13, 0x84
	v_lshlrev_b64_e32 v[1:2], 3, v[1:2]
	s_cselect_b32 s31, -1, 0
	s_cmp_lg_u32 s12, 0x6f
	s_wait_alu 0xfffe
	v_cmp_gt_i32_e64 s1, s1, v0
	s_cselect_b32 s33, -1, 0
	s_lshl_b64 s[10:11], s[10:11], 3
	v_lshlrev_b32_e32 v0, 3, v0
	v_add_co_u32 v11, vcc_lo, v1, s10
	s_delay_alu instid0(VALU_DEP_1)
	v_add_co_ci_u32_e64 v12, null, s11, v2, vcc_lo
	s_mul_i32 s34, s29, 0xe0
	s_lshl_b64 s[12:13], s[18:19], 3
	s_addk_co_i32 s34, 0xff20
	s_mov_b32 s15, 0
	s_lshl_b64 s[16:17], s[16:17], 3
	s_branch .LBB98_4
.LBB98_2:                               ;   in Loop: Header=BB98_4 Depth=1
	s_add_co_i32 s2, s2, 0x10000
	s_delay_alu instid0(SALU_CYCLE_1)
	s_cmp_ge_u32 s2, s28
	s_cselect_b32 s14, -1, 0
	s_and_not1_b32 s37, s37, exec_lo
	s_or_not1_b32 s14, s14, exec_lo
.LBB98_3:                               ;   in Loop: Header=BB98_4 Depth=1
	s_or_b32 exec_lo, exec_lo, s3
	s_delay_alu instid0(SALU_CYCLE_1) | instskip(NEXT) | instid1(SALU_CYCLE_1)
	s_and_b32 s3, exec_lo, s14
	s_or_b32 s35, s3, s35
	s_and_not1_b32 s3, s36, exec_lo
	s_and_b32 s14, s37, exec_lo
	s_delay_alu instid0(SALU_CYCLE_1)
	s_or_b32 s36, s3, s14
	s_and_not1_b32 exec_lo, exec_lo, s35
	s_cbranch_execz .LBB98_53
.LBB98_4:                               ; =>This Loop Header: Depth=1
                                        ;     Child Loop BB98_6 Depth 2
                                        ;     Child Loop BB98_14 Depth 2
                                        ;       Child Loop BB98_17 Depth 3
                                        ;         Child Loop BB98_18 Depth 4
                                        ;         Child Loop BB98_21 Depth 4
                                        ;           Child Loop BB98_22 Depth 5
                                        ;         Child Loop BB98_26 Depth 4
                                        ;           Child Loop BB98_28 Depth 5
                                        ;     Child Loop BB98_36 Depth 2
                                        ;       Child Loop BB98_39 Depth 3
                                        ;         Child Loop BB98_40 Depth 4
                                        ;         Child Loop BB98_42 Depth 4
                                        ;           Child Loop BB98_43 Depth 5
                                        ;         Child Loop BB98_47 Depth 4
                                        ;           Child Loop BB98_49 Depth 5
	s_mov_b32 s3, s15
	s_delay_alu instid0(SALU_CYCLE_1) | instskip(NEXT) | instid1(SALU_CYCLE_1)
	s_lshl_b64 s[18:19], s[2:3], 3
	s_add_nc_u64 s[20:21], s[8:9], s[18:19]
	global_load_b64 v[3:4], v10, s[20:21]
	s_and_saveexec_b32 s3, s0
	s_cbranch_execz .LBB98_10
; %bb.5:                                ;   in Loop: Header=BB98_4 Depth=1
	s_add_nc_u64 s[18:19], s[6:7], s[18:19]
	v_mov_b32_e32 v7, v9
	global_load_b64 v[5:6], v10, s[18:19]
	s_mov_b32 s14, s29
	s_wait_loadcnt 0x0
	v_add_co_u32 v5, vcc_lo, v5, s16
	s_wait_alu 0xfffd
	v_add_co_ci_u32_e64 v6, null, s17, v6, vcc_lo
	s_delay_alu instid0(VALU_DEP_2) | instskip(SKIP_1) | instid1(VALU_DEP_2)
	v_add_co_u32 v5, vcc_lo, v5, v0
	s_wait_alu 0xfffd
	v_add_co_ci_u32_e64 v6, null, 0, v6, vcc_lo
.LBB98_6:                               ;   Parent Loop BB98_4 Depth=1
                                        ; =>  This Inner Loop Header: Depth=2
	flat_load_b64 v[14:15], v[5:6]
	v_add_co_u32 v5, vcc_lo, v5, s12
	s_wait_alu 0xfffd
	v_add_co_ci_u32_e64 v6, null, s13, v6, vcc_lo
	s_add_co_i32 s14, s14, -1
	s_delay_alu instid0(SALU_CYCLE_1)
	s_cmp_eq_u32 s14, 0
	s_wait_loadcnt_dscnt 0x0
	ds_store_b64 v7, v[14:15]
	v_add_nc_u32_e32 v7, 0xe0, v7
	s_cbranch_scc0 .LBB98_6
; %bb.7:                                ;   in Loop: Header=BB98_4 Depth=1
	v_mov_b32_e32 v5, 0
	v_mov_b32_e32 v6, 0x3ff00000
	s_and_b32 vcc_lo, exec_lo, s31
	s_wait_alu 0xfffe
	s_cbranch_vccz .LBB98_9
; %bb.8:                                ;   in Loop: Header=BB98_4 Depth=1
	ds_load_b64 v[5:6], v13
	s_wait_dscnt 0x0
	v_div_scale_f64 v[7:8], null, v[5:6], v[5:6], 1.0
	s_delay_alu instid0(VALU_DEP_1) | instskip(NEXT) | instid1(TRANS32_DEP_1)
	v_rcp_f64_e32 v[14:15], v[7:8]
	v_fma_f64 v[16:17], -v[7:8], v[14:15], 1.0
	s_delay_alu instid0(VALU_DEP_1) | instskip(NEXT) | instid1(VALU_DEP_1)
	v_fma_f64 v[14:15], v[14:15], v[16:17], v[14:15]
	v_fma_f64 v[16:17], -v[7:8], v[14:15], 1.0
	s_delay_alu instid0(VALU_DEP_1) | instskip(SKIP_1) | instid1(VALU_DEP_1)
	v_fma_f64 v[14:15], v[14:15], v[16:17], v[14:15]
	v_div_scale_f64 v[16:17], vcc_lo, 1.0, v[5:6], 1.0
	v_mul_f64_e32 v[18:19], v[16:17], v[14:15]
	s_delay_alu instid0(VALU_DEP_1) | instskip(SKIP_1) | instid1(VALU_DEP_1)
	v_fma_f64 v[7:8], -v[7:8], v[18:19], v[16:17]
	s_wait_alu 0xfffd
	v_div_fmas_f64 v[7:8], v[7:8], v[14:15], v[18:19]
	s_delay_alu instid0(VALU_DEP_1)
	v_div_fixup_f64 v[5:6], v[7:8], v[5:6], 1.0
.LBB98_9:                               ;   in Loop: Header=BB98_4 Depth=1
	ds_store_b64 v13, v[5:6]
.LBB98_10:                              ;   in Loop: Header=BB98_4 Depth=1
	s_or_b32 exec_lo, exec_lo, s3
	s_mov_b32 s14, -1
	s_or_b32 s37, s37, exec_lo
	; wave barrier
	s_wait_loadcnt_dscnt 0x0
	global_inv scope:SCOPE_SE
	s_and_saveexec_b32 s3, s1
	s_cbranch_execz .LBB98_3
; %bb.11:                               ;   in Loop: Header=BB98_4 Depth=1
	v_add_co_u32 v5, vcc_lo, v3, s10
	s_wait_alu 0xfffd
	v_add_co_ci_u32_e64 v6, null, s11, v4, vcc_lo
	s_delay_alu instid0(VALU_DEP_2) | instskip(SKIP_1) | instid1(VALU_DEP_2)
	v_add_co_u32 v14, vcc_lo, v5, v1
	s_wait_alu 0xfffd
	v_add_co_ci_u32_e64 v15, null, v6, v2, vcc_lo
	s_and_not1_b32 vcc_lo, exec_lo, s33
	s_wait_alu 0xfffe
	s_cbranch_vccnz .LBB98_33
; %bb.12:                               ;   in Loop: Header=BB98_4 Depth=1
	v_add_co_u32 v16, vcc_lo, v3, v11
	s_wait_alu 0xfffd
	v_add_co_ci_u32_e64 v17, null, v4, v12, vcc_lo
	s_mov_b32 s20, 0
	s_mov_b32 s18, 0
	s_branch .LBB98_14
.LBB98_13:                              ;   in Loop: Header=BB98_14 Depth=2
	s_cmp_lt_i32 s18, s29
	s_cselect_b32 s14, -1, 0
	s_add_co_i32 s19, s20, 1
	s_cmp_lt_u32 s20, 2
	s_cselect_b32 s20, -1, 0
	s_wait_alu 0xfffe
	s_and_b32 s14, s14, s20
	s_mov_b32 s20, s19
	s_and_b32 vcc_lo, exec_lo, s14
	s_wait_alu 0xfffe
	s_cbranch_vccz .LBB98_32
.LBB98_14:                              ;   Parent Loop BB98_4 Depth=1
                                        ; =>  This Loop Header: Depth=2
                                        ;       Child Loop BB98_17 Depth 3
                                        ;         Child Loop BB98_18 Depth 4
                                        ;         Child Loop BB98_21 Depth 4
                                        ;           Child Loop BB98_22 Depth 5
                                        ;         Child Loop BB98_26 Depth 4
                                        ;           Child Loop BB98_28 Depth 5
	s_mov_b32 s21, s15
	s_getpc_b64 s[22:23]
	s_wait_alu 0xfffe
	s_sext_i32_i16 s23, s23
	s_add_co_u32 s22, s22, __const._ZL30rocblas_trsm_small_left_deviceILi28ELi28ELb0EddPKPKdPKPdEv13rocblas_fill_18rocblas_operation_17rocblas_diagonal_iiT3_T4_lilT5_lili.step_sizes@rel32@lo+12
	s_wait_alu 0xfffe
	s_add_co_ci_u32 s23, s23, __const._ZL30rocblas_trsm_small_left_deviceILi28ELi28ELb0EddPKPKdPKPdEv13rocblas_fill_18rocblas_operation_17rocblas_diagonal_iiT3_T4_lilT5_lili.step_sizes@rel32@hi+24
	s_lshl_b64 s[24:25], s[20:21], 2
	s_wait_alu 0xfffe
	s_add_nc_u64 s[22:23], s[22:23], s[24:25]
	s_load_b32 s22, s[22:23], 0x0
	s_wait_kmcnt 0x0
	s_add_co_i32 s21, s22, -1
	s_wait_alu 0xfffe
	s_add_co_i32 s14, s21, s18
	s_delay_alu instid0(SALU_CYCLE_1)
	s_cmp_ge_i32 s14, s29
	s_cbranch_scc1 .LBB98_13
; %bb.15:                               ;   in Loop: Header=BB98_14 Depth=2
	s_ashr_i32 s19, s18, 31
	s_ashr_i32 s23, s22, 31
	s_lshl_b64 s[24:25], s[18:19], 3
	s_max_i32 s38, s22, 1
	s_wait_alu 0xfffe
	v_add_co_u32 v5, vcc_lo, v16, s24
	s_wait_alu 0xfffd
	v_add_co_ci_u32_e64 v6, null, s25, v17, vcc_lo
	s_lshl_b64 s[24:25], s[22:23], 3
	s_mul_i32 s19, s18, 0xe0
	s_mul_i32 s23, s22, 0xe0
	s_mul_i32 s39, s18, 0xe8
	s_mul_i32 s40, s22, 0xe8
	s_branch .LBB98_17
.LBB98_16:                              ;   in Loop: Header=BB98_17 Depth=3
	v_add_co_u32 v5, vcc_lo, v5, s24
	s_add_co_i32 s18, s18, s22
	s_wait_alu 0xfffd
	v_add_co_ci_u32_e64 v6, null, s25, v6, vcc_lo
	s_add_co_i32 s14, s21, s18
	s_add_co_i32 s19, s19, s23
	;; [unrolled: 1-line block ×3, first 2 shown]
	s_cmp_ge_i32 s14, s29
	s_cbranch_scc1 .LBB98_13
.LBB98_17:                              ;   Parent Loop BB98_4 Depth=1
                                        ;     Parent Loop BB98_14 Depth=2
                                        ; =>    This Loop Header: Depth=3
                                        ;         Child Loop BB98_18 Depth 4
                                        ;         Child Loop BB98_21 Depth 4
                                        ;           Child Loop BB98_22 Depth 5
                                        ;         Child Loop BB98_26 Depth 4
                                        ;           Child Loop BB98_28 Depth 5
	v_dual_mov_b32 v8, v6 :: v_dual_mov_b32 v7, v5
	s_mov_b32 s14, 0
	s_mov_b32 s26, s38
.LBB98_18:                              ;   Parent Loop BB98_4 Depth=1
                                        ;     Parent Loop BB98_14 Depth=2
                                        ;       Parent Loop BB98_17 Depth=3
                                        ; =>      This Inner Loop Header: Depth=4
	flat_load_b64 v[18:19], v[7:8]
	v_add_co_u32 v7, vcc_lo, v7, 8
	s_wait_alu 0xfffd
	v_add_co_ci_u32_e64 v8, null, 0, v8, vcc_lo
	s_wait_alu 0xfffe
	s_add_co_i32 s26, s26, -1
	s_wait_loadcnt_dscnt 0x0
	v_mul_f64_e32 v[18:19], s[4:5], v[18:19]
	scratch_store_b64 off, v[18:19], s14
	s_add_co_i32 s14, s14, 8
	s_wait_alu 0xfffe
	s_cmp_eq_u32 s26, 0
	s_cbranch_scc0 .LBB98_18
; %bb.19:                               ;   in Loop: Header=BB98_17 Depth=3
	s_cmp_lt_i32 s18, 1
	s_cbranch_scc1 .LBB98_24
; %bb.20:                               ;   in Loop: Header=BB98_17 Depth=3
	s_mov_b32 s14, 0
	s_mov_b32 s26, s19
.LBB98_21:                              ;   Parent Loop BB98_4 Depth=1
                                        ;     Parent Loop BB98_14 Depth=2
                                        ;       Parent Loop BB98_17 Depth=3
                                        ; =>      This Loop Header: Depth=4
                                        ;           Child Loop BB98_22 Depth 5
	s_lshl_b64 s[42:43], s[14:15], 3
	s_mov_b32 s27, 0
	s_wait_alu 0xfffe
	v_add_co_u32 v7, vcc_lo, v14, s42
	s_wait_alu 0xfffd
	v_add_co_ci_u32_e64 v8, null, s43, v15, vcc_lo
	s_mov_b32 s41, s26
	s_mov_b32 s42, s38
	flat_load_b64 v[7:8], v[7:8]
.LBB98_22:                              ;   Parent Loop BB98_4 Depth=1
                                        ;     Parent Loop BB98_14 Depth=2
                                        ;       Parent Loop BB98_17 Depth=3
                                        ;         Parent Loop BB98_21 Depth=4
                                        ; =>        This Inner Loop Header: Depth=5
	scratch_load_b64 v[18:19], off, s27
	s_wait_alu 0xfffe
	v_mov_b32_e32 v20, s41
	s_add_co_i32 s42, s42, -1
	s_addk_co_i32 s41, 0xe0
	ds_load_b64 v[20:21], v20
	s_wait_loadcnt_dscnt 0x0
	v_fma_f64 v[18:19], -v[7:8], v[20:21], v[18:19]
	scratch_store_b64 off, v[18:19], s27
	s_add_co_i32 s27, s27, 8
	s_wait_alu 0xfffe
	s_cmp_eq_u32 s42, 0
	s_cbranch_scc0 .LBB98_22
; %bb.23:                               ;   in Loop: Header=BB98_21 Depth=4
	s_add_co_i32 s14, s14, 1
	s_add_co_i32 s26, s26, 8
	s_cmp_eq_u32 s14, s18
	s_cbranch_scc0 .LBB98_21
.LBB98_24:                              ;   in Loop: Header=BB98_17 Depth=3
	s_mov_b32 s14, 0
	s_mov_b32 s41, s39
	s_branch .LBB98_26
.LBB98_25:                              ;   in Loop: Header=BB98_26 Depth=4
	s_wait_alu 0xfffe
	s_mul_i32 s27, s26, 0xe8
	s_lshl_b32 s42, s14, 3
	s_wait_alu 0xfffe
	v_mov_b32_e32 v18, s27
	s_ashr_i32 s27, s26, 31
	s_add_co_i32 s14, s14, 1
	s_wait_alu 0xfffe
	s_lshl_b64 s[26:27], s[26:27], 3
	s_addk_co_i32 s41, 0xe0
	ds_load_b64 v[18:19], v18
	s_cmp_eq_u32 s14, s38
	s_wait_loadcnt_dscnt 0x0
	v_mul_f64_e32 v[7:8], v[18:19], v[7:8]
	s_wait_alu 0xfffe
	v_add_co_u32 v18, vcc_lo, v14, s26
	s_wait_alu 0xfffd
	v_add_co_ci_u32_e64 v19, null, s27, v15, vcc_lo
	scratch_store_b64 off, v[7:8], s42
	flat_store_b64 v[18:19], v[7:8]
	s_cbranch_scc1 .LBB98_16
.LBB98_26:                              ;   Parent Loop BB98_4 Depth=1
                                        ;     Parent Loop BB98_14 Depth=2
                                        ;       Parent Loop BB98_17 Depth=3
                                        ; =>      This Loop Header: Depth=4
                                        ;           Child Loop BB98_28 Depth 5
	s_cmp_lg_u32 s14, 0
	s_cbranch_scc0 .LBB98_30
; %bb.27:                               ;   in Loop: Header=BB98_26 Depth=4
	s_lshl_b32 s27, s14, 3
	s_add_co_i32 s26, s14, s18
	scratch_load_b64 v[7:8], off, s27
	s_mov_b32 s42, 0
	s_wait_alu 0xfffe
	s_mov_b32 s43, s41
	s_mov_b32 s44, s14
.LBB98_28:                              ;   Parent Loop BB98_4 Depth=1
                                        ;     Parent Loop BB98_14 Depth=2
                                        ;       Parent Loop BB98_17 Depth=3
                                        ;         Parent Loop BB98_26 Depth=4
                                        ; =>        This Inner Loop Header: Depth=5
	scratch_load_b64 v[18:19], off, s42
	s_wait_alu 0xfffe
	v_mov_b32_e32 v20, s43
	s_add_co_i32 s44, s44, -1
	s_add_co_i32 s42, s42, 8
	s_add_co_i32 s43, s43, 8
	s_cmp_eq_u32 s44, 0
	ds_load_b64 v[20:21], v20
	s_wait_loadcnt_dscnt 0x0
	v_fma_f64 v[7:8], -v[18:19], v[20:21], v[7:8]
	scratch_store_b64 off, v[7:8], s27
	s_cbranch_scc0 .LBB98_28
; %bb.29:                               ;   in Loop: Header=BB98_26 Depth=4
	s_branch .LBB98_25
.LBB98_30:                              ;   in Loop: Header=BB98_26 Depth=4
                                        ; implicit-def: $vgpr7_vgpr8
                                        ; implicit-def: $sgpr26
	s_cbranch_execz .LBB98_25
; %bb.31:                               ;   in Loop: Header=BB98_26 Depth=4
	scratch_load_b64 v[7:8], off, off
	s_mov_b32 s26, s18
	s_branch .LBB98_25
.LBB98_32:                              ;   in Loop: Header=BB98_4 Depth=1
	s_mov_b32 s14, 0
.LBB98_33:                              ;   in Loop: Header=BB98_4 Depth=1
	s_delay_alu instid0(SALU_CYCLE_1)
	s_and_b32 vcc_lo, exec_lo, s14
	s_wait_alu 0xfffe
	s_cbranch_vccz .LBB98_2
; %bb.34:                               ;   in Loop: Header=BB98_4 Depth=1
	v_add_co_u32 v5, vcc_lo, v3, v11
	s_wait_alu 0xfffd
	v_add_co_ci_u32_e64 v6, null, v4, v12, vcc_lo
	s_mov_b32 s14, 0
	s_mov_b32 s18, s30
	s_branch .LBB98_36
.LBB98_35:                              ;   in Loop: Header=BB98_36 Depth=2
	s_cmp_gt_i32 s18, -1
	s_cselect_b32 s19, -1, 0
	s_add_co_i32 s20, s14, 1
	s_cmp_lt_u32 s14, 2
	s_cselect_b32 s14, -1, 0
	s_delay_alu instid0(SALU_CYCLE_1) | instskip(NEXT) | instid1(SALU_CYCLE_1)
	s_and_b32 s14, s19, s14
	s_and_not1_b32 vcc_lo, exec_lo, s14
	s_wait_alu 0xfffe
	s_mov_b32 s14, s20
	s_cbranch_vccnz .LBB98_2
.LBB98_36:                              ;   Parent Loop BB98_4 Depth=1
                                        ; =>  This Loop Header: Depth=2
                                        ;       Child Loop BB98_39 Depth 3
                                        ;         Child Loop BB98_40 Depth 4
                                        ;         Child Loop BB98_42 Depth 4
                                        ;           Child Loop BB98_43 Depth 5
                                        ;         Child Loop BB98_47 Depth 4
                                        ;           Child Loop BB98_49 Depth 5
	s_getpc_b64 s[20:21]
	s_wait_alu 0xfffe
	s_sext_i32_i16 s21, s21
	s_add_co_u32 s20, s20, __const._ZL30rocblas_trsm_small_left_deviceILi28ELi28ELb0EddPKPKdPKPdEv13rocblas_fill_18rocblas_operation_17rocblas_diagonal_iiT3_T4_lilT5_lili.step_sizes@rel32@lo+12
	s_wait_alu 0xfffe
	s_add_co_ci_u32 s21, s21, __const._ZL30rocblas_trsm_small_left_deviceILi28ELi28ELb0EddPKPKdPKPdEv13rocblas_fill_18rocblas_operation_17rocblas_diagonal_iiT3_T4_lilT5_lili.step_sizes@rel32@hi+24
	s_lshl_b64 s[22:23], s[14:15], 2
	s_wait_alu 0xfffe
	s_add_nc_u64 s[20:21], s[20:21], s[22:23]
	s_load_b32 s24, s[20:21], 0x0
	s_wait_kmcnt 0x0
	s_add_co_i32 s25, s24, -1
	s_wait_alu 0xfffe
	s_cmp_lt_i32 s18, s25
	s_cbranch_scc1 .LBB98_35
; %bb.37:                               ;   in Loop: Header=BB98_36 Depth=2
	s_lshl_b32 s19, s18, 3
	s_lshl_b32 s20, s24, 3
	s_max_i32 s26, s24, 1
	s_add_co_i32 s27, s34, s19
	s_wait_alu 0xfffe
	s_sub_co_i32 s38, 0, s20
	s_mul_i32 s39, s18, 0xe8
	s_mul_i32 s40, s24, 0xffffff18
	s_branch .LBB98_39
.LBB98_38:                              ;   in Loop: Header=BB98_39 Depth=3
	s_sub_co_i32 s18, s18, s24
	s_add_co_i32 s27, s27, s38
	s_add_co_i32 s39, s39, s40
	s_cmp_lt_i32 s18, s25
	s_cbranch_scc1 .LBB98_35
.LBB98_39:                              ;   Parent Loop BB98_4 Depth=1
                                        ;     Parent Loop BB98_36 Depth=2
                                        ; =>    This Loop Header: Depth=3
                                        ;         Child Loop BB98_40 Depth 4
                                        ;         Child Loop BB98_42 Depth 4
                                        ;           Child Loop BB98_43 Depth 5
                                        ;         Child Loop BB98_47 Depth 4
                                        ;           Child Loop BB98_49 Depth 5
	s_ashr_i32 s19, s18, 31
	s_delay_alu instid0(SALU_CYCLE_1)
	s_lshl_b64 s[20:21], s[18:19], 3
	s_wait_alu 0xfffe
	v_add_co_u32 v3, vcc_lo, v5, s20
	s_wait_alu 0xfffd
	v_add_co_ci_u32_e64 v4, null, s21, v6, vcc_lo
	s_mov_b32 s20, 0
	s_mov_b32 s21, s26
.LBB98_40:                              ;   Parent Loop BB98_4 Depth=1
                                        ;     Parent Loop BB98_36 Depth=2
                                        ;       Parent Loop BB98_39 Depth=3
                                        ; =>      This Inner Loop Header: Depth=4
	flat_load_b64 v[7:8], v[3:4]
	v_add_co_u32 v3, vcc_lo, v3, -8
	s_wait_alu 0xfffd
	v_add_co_ci_u32_e64 v4, null, -1, v4, vcc_lo
	s_wait_alu 0xfffe
	s_add_co_i32 s21, s21, -1
	s_wait_loadcnt_dscnt 0x0
	v_mul_f64_e32 v[7:8], s[4:5], v[7:8]
	scratch_store_b64 off, v[7:8], s20
	s_add_co_i32 s20, s20, 8
	s_wait_alu 0xfffe
	s_cmp_eq_u32 s21, 0
	s_cbranch_scc0 .LBB98_40
; %bb.41:                               ;   in Loop: Header=BB98_39 Depth=3
	s_cmp_le_i32 s30, s18
	s_mov_b32 s22, s27
	s_mov_b32 s20, s30
	s_cbranch_scc1 .LBB98_45
.LBB98_42:                              ;   Parent Loop BB98_4 Depth=1
                                        ;     Parent Loop BB98_36 Depth=2
                                        ;       Parent Loop BB98_39 Depth=3
                                        ; =>      This Loop Header: Depth=4
                                        ;           Child Loop BB98_43 Depth 5
	s_wait_alu 0xfffe
	s_ashr_i32 s21, s20, 31
	s_mov_b32 s23, s22
	s_wait_alu 0xfffe
	s_lshl_b64 s[42:43], s[20:21], 3
	s_mov_b32 s21, 0
	s_wait_alu 0xfffe
	v_add_co_u32 v3, vcc_lo, v14, s42
	s_wait_alu 0xfffd
	v_add_co_ci_u32_e64 v4, null, s43, v15, vcc_lo
	s_mov_b32 s41, s26
	flat_load_b64 v[3:4], v[3:4]
.LBB98_43:                              ;   Parent Loop BB98_4 Depth=1
                                        ;     Parent Loop BB98_36 Depth=2
                                        ;       Parent Loop BB98_39 Depth=3
                                        ;         Parent Loop BB98_42 Depth=4
                                        ; =>        This Inner Loop Header: Depth=5
	scratch_load_b64 v[7:8], off, s21
	v_mov_b32_e32 v16, s23
	s_wait_alu 0xfffe
	s_add_co_i32 s41, s41, -1
	s_add_co_i32 s23, s23, -8
	ds_load_b64 v[16:17], v16
	s_wait_loadcnt_dscnt 0x0
	v_fma_f64 v[7:8], -v[3:4], v[16:17], v[7:8]
	scratch_store_b64 off, v[7:8], s21
	s_add_co_i32 s21, s21, 8
	s_wait_alu 0xfffe
	s_cmp_eq_u32 s41, 0
	s_cbranch_scc0 .LBB98_43
; %bb.44:                               ;   in Loop: Header=BB98_42 Depth=4
	s_add_co_i32 s20, s20, -1
	s_addk_co_i32 s22, 0xff20
	s_wait_alu 0xfffe
	s_cmp_le_i32 s20, s18
	s_cbranch_scc0 .LBB98_42
.LBB98_45:                              ;   in Loop: Header=BB98_39 Depth=3
	s_mov_b32 s41, 0
	s_mov_b32 s42, s39
	s_branch .LBB98_47
.LBB98_46:                              ;   in Loop: Header=BB98_47 Depth=4
	s_wait_alu 0xfffe
	s_mulk_i32 s22, 0xe8
	s_lshl_b64 s[20:21], s[20:21], 3
	s_wait_alu 0xfffe
	v_mov_b32_e32 v7, s22
	s_lshl_b32 s22, s41, 3
	s_add_co_i32 s41, s41, 1
	s_add_co_i32 s42, s42, -8
	s_wait_alu 0xfffe
	s_cmp_eq_u32 s41, s26
	ds_load_b64 v[7:8], v7
	s_wait_loadcnt_dscnt 0x0
	v_mul_f64_e32 v[3:4], v[7:8], v[3:4]
	v_add_co_u32 v7, vcc_lo, v14, s20
	s_wait_alu 0xfffd
	v_add_co_ci_u32_e64 v8, null, s21, v15, vcc_lo
	scratch_store_b64 off, v[3:4], s22
	flat_store_b64 v[7:8], v[3:4]
	s_cbranch_scc1 .LBB98_38
.LBB98_47:                              ;   Parent Loop BB98_4 Depth=1
                                        ;     Parent Loop BB98_36 Depth=2
                                        ;       Parent Loop BB98_39 Depth=3
                                        ; =>      This Loop Header: Depth=4
                                        ;           Child Loop BB98_49 Depth 5
	s_wait_alu 0xfffe
	s_cmp_lg_u32 s41, 0
	s_cbranch_scc0 .LBB98_51
; %bb.48:                               ;   in Loop: Header=BB98_47 Depth=4
	s_lshl_b32 s20, s41, 3
	s_mov_b32 s21, 0
	scratch_load_b64 v[3:4], off, s20
	s_mov_b32 s22, s42
	s_mov_b32 s23, s41
.LBB98_49:                              ;   Parent Loop BB98_4 Depth=1
                                        ;     Parent Loop BB98_36 Depth=2
                                        ;       Parent Loop BB98_39 Depth=3
                                        ;         Parent Loop BB98_47 Depth=4
                                        ; =>        This Inner Loop Header: Depth=5
	scratch_load_b64 v[7:8], off, s21
	s_wait_alu 0xfffe
	v_mov_b32_e32 v16, s22
	s_add_co_i32 s23, s23, -1
	s_addk_co_i32 s22, 0xff20
	s_add_co_i32 s21, s21, 8
	s_wait_alu 0xfffe
	s_cmp_eq_u32 s23, 0
	ds_load_b64 v[16:17], v16
	s_wait_loadcnt_dscnt 0x0
	v_fma_f64 v[3:4], -v[7:8], v[16:17], v[3:4]
	scratch_store_b64 off, v[3:4], s20
	s_cbranch_scc0 .LBB98_49
; %bb.50:                               ;   in Loop: Header=BB98_47 Depth=4
	s_sub_co_i32 s22, s18, s41
	s_wait_alu 0xfffe
	s_ashr_i32 s23, s22, 31
	s_wait_alu 0xfffe
	s_mov_b64 s[20:21], s[22:23]
	s_branch .LBB98_46
.LBB98_51:                              ;   in Loop: Header=BB98_47 Depth=4
                                        ; implicit-def: $vgpr3_vgpr4
                                        ; implicit-def: $sgpr22
                                        ; implicit-def: $sgpr20_sgpr21
	s_cbranch_execz .LBB98_46
; %bb.52:                               ;   in Loop: Header=BB98_47 Depth=4
	scratch_load_b64 v[3:4], off, off
	s_mov_b64 s[20:21], s[18:19]
	s_mov_b32 s22, s18
	s_branch .LBB98_46
.LBB98_53:
	s_or_b32 exec_lo, exec_lo, s35
	s_and_saveexec_b32 s0, s36
	s_wait_alu 0xfffe
	s_xor_b32 s0, exec_lo, s0
.LBB98_54:
	s_endpgm
	.section	.rodata,"a",@progbits
	.p2align	6, 0x0
	.amdhsa_kernel _ZL30rocblas_trsm_small_left_deviceILi28ELi28ELb0EddPKPKdPKPdEv13rocblas_fill_18rocblas_operation_17rocblas_diagonal_iiT3_T4_lilT5_lili
		.amdhsa_group_segment_fixed_size 6272
		.amdhsa_private_segment_fixed_size 240
		.amdhsa_kernarg_size 360
		.amdhsa_user_sgpr_count 2
		.amdhsa_user_sgpr_dispatch_ptr 0
		.amdhsa_user_sgpr_queue_ptr 0
		.amdhsa_user_sgpr_kernarg_segment_ptr 1
		.amdhsa_user_sgpr_dispatch_id 0
		.amdhsa_user_sgpr_private_segment_size 0
		.amdhsa_wavefront_size32 1
		.amdhsa_uses_dynamic_stack 0
		.amdhsa_enable_private_segment 1
		.amdhsa_system_sgpr_workgroup_id_x 1
		.amdhsa_system_sgpr_workgroup_id_y 0
		.amdhsa_system_sgpr_workgroup_id_z 1
		.amdhsa_system_sgpr_workgroup_info 0
		.amdhsa_system_vgpr_workitem_id 0
		.amdhsa_next_free_vgpr 241
		.amdhsa_next_free_sgpr 45
		.amdhsa_reserve_vcc 1
		.amdhsa_float_round_mode_32 0
		.amdhsa_float_round_mode_16_64 0
		.amdhsa_float_denorm_mode_32 3
		.amdhsa_float_denorm_mode_16_64 3
		.amdhsa_fp16_overflow 0
		.amdhsa_workgroup_processor_mode 1
		.amdhsa_memory_ordered 1
		.amdhsa_forward_progress 1
		.amdhsa_inst_pref_size 19
		.amdhsa_round_robin_scheduling 0
		.amdhsa_exception_fp_ieee_invalid_op 0
		.amdhsa_exception_fp_denorm_src 0
		.amdhsa_exception_fp_ieee_div_zero 0
		.amdhsa_exception_fp_ieee_overflow 0
		.amdhsa_exception_fp_ieee_underflow 0
		.amdhsa_exception_fp_ieee_inexact 0
		.amdhsa_exception_int_div_zero 0
	.end_amdhsa_kernel
	.section	.text._ZL30rocblas_trsm_small_left_deviceILi28ELi28ELb0EddPKPKdPKPdEv13rocblas_fill_18rocblas_operation_17rocblas_diagonal_iiT3_T4_lilT5_lili,"axG",@progbits,_ZL30rocblas_trsm_small_left_deviceILi28ELi28ELb0EddPKPKdPKPdEv13rocblas_fill_18rocblas_operation_17rocblas_diagonal_iiT3_T4_lilT5_lili,comdat
.Lfunc_end98:
	.size	_ZL30rocblas_trsm_small_left_deviceILi28ELi28ELb0EddPKPKdPKPdEv13rocblas_fill_18rocblas_operation_17rocblas_diagonal_iiT3_T4_lilT5_lili, .Lfunc_end98-_ZL30rocblas_trsm_small_left_deviceILi28ELi28ELb0EddPKPKdPKPdEv13rocblas_fill_18rocblas_operation_17rocblas_diagonal_iiT3_T4_lilT5_lili
                                        ; -- End function
	.set _ZL30rocblas_trsm_small_left_deviceILi28ELi28ELb0EddPKPKdPKPdEv13rocblas_fill_18rocblas_operation_17rocblas_diagonal_iiT3_T4_lilT5_lili.num_vgpr, 22
	.set _ZL30rocblas_trsm_small_left_deviceILi28ELi28ELb0EddPKPKdPKPdEv13rocblas_fill_18rocblas_operation_17rocblas_diagonal_iiT3_T4_lilT5_lili.num_agpr, 0
	.set _ZL30rocblas_trsm_small_left_deviceILi28ELi28ELb0EddPKPKdPKPdEv13rocblas_fill_18rocblas_operation_17rocblas_diagonal_iiT3_T4_lilT5_lili.numbered_sgpr, 45
	.set _ZL30rocblas_trsm_small_left_deviceILi28ELi28ELb0EddPKPKdPKPdEv13rocblas_fill_18rocblas_operation_17rocblas_diagonal_iiT3_T4_lilT5_lili.num_named_barrier, 0
	.set _ZL30rocblas_trsm_small_left_deviceILi28ELi28ELb0EddPKPKdPKPdEv13rocblas_fill_18rocblas_operation_17rocblas_diagonal_iiT3_T4_lilT5_lili.private_seg_size, 240
	.set _ZL30rocblas_trsm_small_left_deviceILi28ELi28ELb0EddPKPKdPKPdEv13rocblas_fill_18rocblas_operation_17rocblas_diagonal_iiT3_T4_lilT5_lili.uses_vcc, 1
	.set _ZL30rocblas_trsm_small_left_deviceILi28ELi28ELb0EddPKPKdPKPdEv13rocblas_fill_18rocblas_operation_17rocblas_diagonal_iiT3_T4_lilT5_lili.uses_flat_scratch, 0
	.set _ZL30rocblas_trsm_small_left_deviceILi28ELi28ELb0EddPKPKdPKPdEv13rocblas_fill_18rocblas_operation_17rocblas_diagonal_iiT3_T4_lilT5_lili.has_dyn_sized_stack, 0
	.set _ZL30rocblas_trsm_small_left_deviceILi28ELi28ELb0EddPKPKdPKPdEv13rocblas_fill_18rocblas_operation_17rocblas_diagonal_iiT3_T4_lilT5_lili.has_recursion, 0
	.set _ZL30rocblas_trsm_small_left_deviceILi28ELi28ELb0EddPKPKdPKPdEv13rocblas_fill_18rocblas_operation_17rocblas_diagonal_iiT3_T4_lilT5_lili.has_indirect_call, 0
	.section	.AMDGPU.csdata,"",@progbits
; Kernel info:
; codeLenInByte = 2396
; TotalNumSgprs: 47
; NumVgprs: 22
; ScratchSize: 240
; MemoryBound: 0
; FloatMode: 240
; IeeeMode: 1
; LDSByteSize: 6272 bytes/workgroup (compile time only)
; SGPRBlocks: 0
; VGPRBlocks: 30
; NumSGPRsForWavesPerEU: 47
; NumVGPRsForWavesPerEU: 241
; Occupancy: 5
; WaveLimiterHint : 1
; COMPUTE_PGM_RSRC2:SCRATCH_EN: 1
; COMPUTE_PGM_RSRC2:USER_SGPR: 2
; COMPUTE_PGM_RSRC2:TRAP_HANDLER: 0
; COMPUTE_PGM_RSRC2:TGID_X_EN: 1
; COMPUTE_PGM_RSRC2:TGID_Y_EN: 0
; COMPUTE_PGM_RSRC2:TGID_Z_EN: 1
; COMPUTE_PGM_RSRC2:TIDIG_COMP_CNT: 0
	.section	.text._ZL38rocblas_trsm_small_left_device_sharedBILi28ELi28ELb1EddPKPKdPKPdEv13rocblas_fill_18rocblas_operation_17rocblas_diagonal_iiT3_T4_lilT5_lili,"axG",@progbits,_ZL38rocblas_trsm_small_left_device_sharedBILi28ELi28ELb1EddPKPKdPKPdEv13rocblas_fill_18rocblas_operation_17rocblas_diagonal_iiT3_T4_lilT5_lili,comdat
	.globl	_ZL38rocblas_trsm_small_left_device_sharedBILi28ELi28ELb1EddPKPKdPKPdEv13rocblas_fill_18rocblas_operation_17rocblas_diagonal_iiT3_T4_lilT5_lili ; -- Begin function _ZL38rocblas_trsm_small_left_device_sharedBILi28ELi28ELb1EddPKPKdPKPdEv13rocblas_fill_18rocblas_operation_17rocblas_diagonal_iiT3_T4_lilT5_lili
	.p2align	8
	.type	_ZL38rocblas_trsm_small_left_device_sharedBILi28ELi28ELb1EddPKPKdPKPdEv13rocblas_fill_18rocblas_operation_17rocblas_diagonal_iiT3_T4_lilT5_lili,@function
_ZL38rocblas_trsm_small_left_device_sharedBILi28ELi28ELb1EddPKPKdPKPdEv13rocblas_fill_18rocblas_operation_17rocblas_diagonal_iiT3_T4_lilT5_lili: ; @_ZL38rocblas_trsm_small_left_device_sharedBILi28ELi28ELb1EddPKPKdPKPdEv13rocblas_fill_18rocblas_operation_17rocblas_diagonal_iiT3_T4_lilT5_lili
; %bb.0:
	s_load_b32 s22, s[0:1], 0x60
	s_lshr_b32 s2, ttmp7, 16
	s_wait_kmcnt 0x0
	s_cmp_ge_u32 s2, s22
	s_cbranch_scc1 .LBB99_57
; %bb.1:
	s_clause 0x5
	s_load_b96 s[16:18], s[0:1], 0x28
	s_load_b32 s20, s[0:1], 0x50
	s_load_b128 s[12:15], s[0:1], 0x4
	s_load_b32 s3, s[0:1], 0x68
	s_load_b128 s[4:7], s[0:1], 0x18
	s_load_b128 s[8:11], s[0:1], 0x40
	s_mul_i32 s0, ttmp9, 0xffffffe4
	s_mul_i32 s24, ttmp9, 28
	v_dual_mov_b32 v9, 0 :: v_dual_lshlrev_b32 v8, 3, v0
	v_mul_u32_u24_e32 v4, 0xe0, v0
	s_mov_b32 s19, 0
	s_delay_alu instid0(VALU_DEP_2) | instskip(NEXT) | instid1(VALU_DEP_2)
	v_add_nc_u32_e32 v1, 0x1880, v8
	v_add_nc_u32_e32 v10, v8, v4
	s_wait_kmcnt 0x0
	s_ashr_i32 s29, s18, 31
	s_ashr_i32 s21, s20, 31
	s_min_i32 s1, s14, 28
	s_add_co_i32 s3, s3, -1
	s_add_co_i32 s15, s15, s0
	v_mad_co_i64_i32 v[2:3], null, s20, v0, 0
	s_add_co_i32 s23, s1, -1
	s_cmp_ge_u32 ttmp9, s3
	v_cmp_gt_i32_e64 s0, s1, v0
	s_cselect_b32 s3, s15, 28
	s_ashr_i32 s25, s24, 31
	s_cmp_lg_u32 s13, 0x84
	s_mul_u64 s[20:21], s[20:21], s[24:25]
	s_cselect_b32 s24, -1, 0
	s_cmp_gt_i32 s14, 0
	v_cmp_gt_i32_e32 vcc_lo, s3, v0
	s_cselect_b32 s3, -1, 0
	s_cmp_lg_u32 s12, 0x6f
	v_lshlrev_b64_e32 v[2:3], 3, v[2:3]
	v_lshlrev_b32_e32 v0, 3, v0
	s_mov_b32 s28, s18
	s_cselect_b32 s25, -1, 0
	s_lshl_b32 s27, s1, 3
	s_wait_alu 0xfffe
	s_and_b32 s26, vcc_lo, s3
	s_lshl_b64 s[12:13], s[28:29], 3
	s_add_co_i32 s27, s27, -8
	s_lshl_b64 s[14:15], s[16:17], 3
	s_lshl_b64 s[10:11], s[10:11], 3
	;; [unrolled: 1-line block ×3, first 2 shown]
	s_branch .LBB99_3
.LBB99_2:                               ;   in Loop: Header=BB99_3 Depth=1
	s_wait_alu 0xfffe
	s_or_b32 exec_lo, exec_lo, s3
	s_add_co_i32 s2, s2, 0x10000
	s_wait_alu 0xfffe
	s_cmp_lt_u32 s2, s22
	s_cbranch_scc0 .LBB99_57
.LBB99_3:                               ; =>This Loop Header: Depth=1
                                        ;     Child Loop BB99_5 Depth 2
                                        ;     Child Loop BB99_11 Depth 2
	;; [unrolled: 1-line block ×3, first 2 shown]
                                        ;       Child Loop BB99_18 Depth 3
                                        ;         Child Loop BB99_19 Depth 4
                                        ;         Child Loop BB99_21 Depth 4
                                        ;           Child Loop BB99_22 Depth 5
                                        ;         Child Loop BB99_26 Depth 4
                                        ;           Child Loop BB99_28 Depth 5
                                        ;     Child Loop BB99_36 Depth 2
                                        ;       Child Loop BB99_39 Depth 3
                                        ;         Child Loop BB99_40 Depth 4
                                        ;         Child Loop BB99_43 Depth 4
                                        ;           Child Loop BB99_44 Depth 5
                                        ;         Child Loop BB99_48 Depth 4
                                        ;           Child Loop BB99_50 Depth 5
                                        ;     Child Loop BB99_56 Depth 2
	s_mov_b32 s3, s19
	s_wait_alu 0xfffe
	s_lshl_b64 s[20:21], s[2:3], 3
	s_wait_alu 0xfffe
	s_add_nc_u64 s[28:29], s[8:9], s[20:21]
	global_load_b64 v[4:5], v9, s[28:29]
	s_and_saveexec_b32 s3, s0
	s_cbranch_execz .LBB99_9
; %bb.4:                                ;   in Loop: Header=BB99_3 Depth=1
	s_add_nc_u64 s[20:21], s[6:7], s[20:21]
	v_mov_b32_e32 v11, v8
	global_load_b64 v[6:7], v9, s[20:21]
	s_mov_b32 s18, s1
	s_wait_loadcnt 0x0
	v_add_co_u32 v6, vcc_lo, v6, s14
	s_wait_alu 0xfffd
	v_add_co_ci_u32_e64 v7, null, s15, v7, vcc_lo
	s_delay_alu instid0(VALU_DEP_2) | instskip(SKIP_1) | instid1(VALU_DEP_2)
	v_add_co_u32 v6, vcc_lo, v6, v0
	s_wait_alu 0xfffd
	v_add_co_ci_u32_e64 v7, null, 0, v7, vcc_lo
.LBB99_5:                               ;   Parent Loop BB99_3 Depth=1
                                        ; =>  This Inner Loop Header: Depth=2
	flat_load_b64 v[12:13], v[6:7]
	v_add_co_u32 v6, vcc_lo, v6, s12
	s_wait_alu 0xfffd
	v_add_co_ci_u32_e64 v7, null, s13, v7, vcc_lo
	s_add_co_i32 s18, s18, -1
	s_delay_alu instid0(SALU_CYCLE_1)
	s_cmp_eq_u32 s18, 0
	s_wait_loadcnt_dscnt 0x0
	ds_store_b64 v11, v[12:13]
	v_add_nc_u32_e32 v11, 0xe0, v11
	s_cbranch_scc0 .LBB99_5
; %bb.6:                                ;   in Loop: Header=BB99_3 Depth=1
	v_mov_b32_e32 v6, 0
	v_mov_b32_e32 v7, 0x3ff00000
	s_and_b32 vcc_lo, exec_lo, s24
	s_wait_alu 0xfffe
	s_cbranch_vccz .LBB99_8
; %bb.7:                                ;   in Loop: Header=BB99_3 Depth=1
	ds_load_b64 v[6:7], v10
	s_wait_dscnt 0x0
	v_div_scale_f64 v[11:12], null, v[6:7], v[6:7], 1.0
	s_delay_alu instid0(VALU_DEP_1) | instskip(NEXT) | instid1(TRANS32_DEP_1)
	v_rcp_f64_e32 v[13:14], v[11:12]
	v_fma_f64 v[15:16], -v[11:12], v[13:14], 1.0
	s_delay_alu instid0(VALU_DEP_1) | instskip(NEXT) | instid1(VALU_DEP_1)
	v_fma_f64 v[13:14], v[13:14], v[15:16], v[13:14]
	v_fma_f64 v[15:16], -v[11:12], v[13:14], 1.0
	s_delay_alu instid0(VALU_DEP_1) | instskip(SKIP_1) | instid1(VALU_DEP_1)
	v_fma_f64 v[13:14], v[13:14], v[15:16], v[13:14]
	v_div_scale_f64 v[15:16], vcc_lo, 1.0, v[6:7], 1.0
	v_mul_f64_e32 v[17:18], v[15:16], v[13:14]
	s_delay_alu instid0(VALU_DEP_1) | instskip(SKIP_1) | instid1(VALU_DEP_1)
	v_fma_f64 v[11:12], -v[11:12], v[17:18], v[15:16]
	s_wait_alu 0xfffd
	v_div_fmas_f64 v[11:12], v[11:12], v[13:14], v[17:18]
	s_delay_alu instid0(VALU_DEP_1)
	v_div_fixup_f64 v[6:7], v[11:12], v[6:7], 1.0
.LBB99_8:                               ;   in Loop: Header=BB99_3 Depth=1
	ds_store_b64 v10, v[6:7]
.LBB99_9:                               ;   in Loop: Header=BB99_3 Depth=1
	s_wait_alu 0xfffe
	s_or_b32 exec_lo, exec_lo, s3
	s_wait_loadcnt 0x0
	v_add_co_u32 v4, vcc_lo, v4, s10
	s_wait_alu 0xfffd
	v_add_co_ci_u32_e64 v5, null, s11, v5, vcc_lo
	s_delay_alu instid0(VALU_DEP_2) | instskip(SKIP_1) | instid1(VALU_DEP_2)
	v_add_co_u32 v7, vcc_lo, v4, s16
	s_wait_alu 0xfffd
	v_add_co_ci_u32_e64 v11, null, s17, v5, vcc_lo
	s_and_saveexec_b32 s3, s26
	s_cbranch_execz .LBB99_12
; %bb.10:                               ;   in Loop: Header=BB99_3 Depth=1
	v_add_co_u32 v4, vcc_lo, v7, v2
	s_wait_alu 0xfffd
	v_add_co_ci_u32_e64 v5, null, v11, v3, vcc_lo
	v_mov_b32_e32 v6, v1
	s_mov_b32 s18, s1
.LBB99_11:                              ;   Parent Loop BB99_3 Depth=1
                                        ; =>  This Inner Loop Header: Depth=2
	flat_load_b64 v[12:13], v[4:5]
	v_add_co_u32 v4, vcc_lo, v4, 8
	s_wait_alu 0xfffd
	v_add_co_ci_u32_e64 v5, null, 0, v5, vcc_lo
	s_add_co_i32 s18, s18, -1
	s_delay_alu instid0(SALU_CYCLE_1)
	s_cmp_lg_u32 s18, 0
	s_wait_loadcnt_dscnt 0x0
	v_mul_f64_e32 v[12:13], s[4:5], v[12:13]
	ds_store_b64 v6, v[12:13]
	v_add_nc_u32_e32 v6, 0xe0, v6
	s_cbranch_scc1 .LBB99_11
.LBB99_12:                              ;   in Loop: Header=BB99_3 Depth=1
	s_wait_alu 0xfffe
	s_or_b32 exec_lo, exec_lo, s3
	s_delay_alu instid0(SALU_CYCLE_1)
	s_and_not1_b32 vcc_lo, exec_lo, s25
	s_mov_b32 s3, -1
	s_wait_dscnt 0x0
	; wave barrier
	global_inv scope:SCOPE_SE
	s_wait_alu 0xfffe
	s_cbranch_vccnz .LBB99_33
; %bb.13:                               ;   in Loop: Header=BB99_3 Depth=1
	s_mov_b32 s18, 0
	s_mov_b32 s3, s23
	s_branch .LBB99_15
.LBB99_14:                              ;   in Loop: Header=BB99_15 Depth=2
	s_cmp_gt_i32 s3, -1
	s_cselect_b32 s20, -1, 0
	s_add_co_i32 s21, s18, 1
	s_cmp_lt_u32 s18, 2
	s_cselect_b32 s18, -1, 0
	s_wait_alu 0xfffe
	s_and_b32 s18, s20, s18
	s_delay_alu instid0(SALU_CYCLE_1)
	s_and_b32 vcc_lo, exec_lo, s18
	s_mov_b32 s18, s21
	s_wait_alu 0xfffe
	s_cbranch_vccz .LBB99_32
.LBB99_15:                              ;   Parent Loop BB99_3 Depth=1
                                        ; =>  This Loop Header: Depth=2
                                        ;       Child Loop BB99_18 Depth 3
                                        ;         Child Loop BB99_19 Depth 4
                                        ;         Child Loop BB99_21 Depth 4
                                        ;           Child Loop BB99_22 Depth 5
                                        ;         Child Loop BB99_26 Depth 4
                                        ;           Child Loop BB99_28 Depth 5
	s_getpc_b64 s[20:21]
	s_wait_alu 0xfffe
	s_sext_i32_i16 s21, s21
	s_add_co_u32 s20, s20, __const._ZL38rocblas_trsm_small_left_device_sharedBILi28ELi28ELb1EddPKPKdPKPdEv13rocblas_fill_18rocblas_operation_17rocblas_diagonal_iiT3_T4_lilT5_lili.step_sizes@rel32@lo+12
	s_wait_alu 0xfffe
	s_add_co_ci_u32 s21, s21, __const._ZL38rocblas_trsm_small_left_device_sharedBILi28ELi28ELb1EddPKPKdPKPdEv13rocblas_fill_18rocblas_operation_17rocblas_diagonal_iiT3_T4_lilT5_lili.step_sizes@rel32@hi+24
	s_lshl_b64 s[28:29], s[18:19], 2
	s_wait_alu 0xfffe
	s_add_nc_u64 s[20:21], s[20:21], s[28:29]
	s_load_b32 s20, s[20:21], 0x0
	s_wait_kmcnt 0x0
	s_add_co_i32 s21, s20, -1
	s_wait_alu 0xfffe
	s_cmp_lt_i32 s3, s21
	s_cbranch_scc1 .LBB99_14
; %bb.16:                               ;   in Loop: Header=BB99_15 Depth=2
	s_mul_i32 s30, s3, 0xe0
	s_max_i32 s28, s20, 1
	s_wait_alu 0xfffe
	v_add_nc_u32_e32 v6, s30, v1
	s_mul_i32 s29, s20, 0xffffff20
	s_add_co_i32 s30, s27, s30
	s_mul_i32 s31, s3, 0xe8
	s_mul_i32 s33, s20, 0xffffff18
	s_branch .LBB99_18
.LBB99_17:                              ;   in Loop: Header=BB99_18 Depth=3
	v_add_nc_u32_e32 v6, s29, v6
	s_sub_co_i32 s3, s3, s20
	s_add_co_i32 s30, s30, s29
	s_add_co_i32 s31, s31, s33
	s_wait_alu 0xfffe
	s_cmp_lt_i32 s3, s21
	s_cbranch_scc1 .LBB99_14
.LBB99_18:                              ;   Parent Loop BB99_3 Depth=1
                                        ;     Parent Loop BB99_15 Depth=2
                                        ; =>    This Loop Header: Depth=3
                                        ;         Child Loop BB99_19 Depth 4
                                        ;         Child Loop BB99_21 Depth 4
                                        ;           Child Loop BB99_22 Depth 5
                                        ;         Child Loop BB99_26 Depth 4
                                        ;           Child Loop BB99_28 Depth 5
	v_mov_b32_e32 v4, v6
	s_mov_b32 s34, 0
	s_wait_alu 0xfffe
	s_mov_b32 s35, s28
.LBB99_19:                              ;   Parent Loop BB99_3 Depth=1
                                        ;     Parent Loop BB99_15 Depth=2
                                        ;       Parent Loop BB99_18 Depth=3
                                        ; =>      This Inner Loop Header: Depth=4
	ds_load_b64 v[12:13], v4
	v_add_nc_u32_e32 v4, 0xffffff20, v4
	s_wait_alu 0xfffe
	s_add_co_i32 s35, s35, -1
	s_wait_dscnt 0x0
	scratch_store_b64 off, v[12:13], s34
	s_add_co_i32 s34, s34, 8
	s_wait_alu 0xfffe
	s_cmp_eq_u32 s35, 0
	s_cbranch_scc0 .LBB99_19
; %bb.20:                               ;   in Loop: Header=BB99_18 Depth=3
	s_cmp_le_i32 s23, s3
	s_mov_b32 s34, s30
	s_mov_b32 s35, s23
	s_cbranch_scc1 .LBB99_24
.LBB99_21:                              ;   Parent Loop BB99_3 Depth=1
                                        ;     Parent Loop BB99_15 Depth=2
                                        ;       Parent Loop BB99_18 Depth=3
                                        ; =>      This Loop Header: Depth=4
                                        ;           Child Loop BB99_22 Depth 5
	s_wait_alu 0xfffe
	v_mad_co_u64_u32 v[4:5], null, 0xe0, s35, v[1:2]
	s_mov_b32 s36, 0
	s_mov_b32 s37, s34
	;; [unrolled: 1-line block ×3, first 2 shown]
	ds_load_b64 v[4:5], v4
.LBB99_22:                              ;   Parent Loop BB99_3 Depth=1
                                        ;     Parent Loop BB99_15 Depth=2
                                        ;       Parent Loop BB99_18 Depth=3
                                        ;         Parent Loop BB99_21 Depth=4
                                        ; =>        This Inner Loop Header: Depth=5
	scratch_load_b64 v[12:13], off, s36
	s_wait_alu 0xfffe
	v_mov_b32_e32 v14, s37
	s_add_co_i32 s38, s38, -1
	s_addk_co_i32 s37, 0xff20
	ds_load_b64 v[14:15], v14
	s_wait_loadcnt_dscnt 0x0
	v_fma_f64 v[12:13], -v[4:5], v[14:15], v[12:13]
	scratch_store_b64 off, v[12:13], s36
	s_add_co_i32 s36, s36, 8
	s_wait_alu 0xfffe
	s_cmp_eq_u32 s38, 0
	s_cbranch_scc0 .LBB99_22
; %bb.23:                               ;   in Loop: Header=BB99_21 Depth=4
	s_add_co_i32 s35, s35, -1
	s_add_co_i32 s34, s34, -8
	s_wait_alu 0xfffe
	s_cmp_le_i32 s35, s3
	s_cbranch_scc0 .LBB99_21
.LBB99_24:                              ;   in Loop: Header=BB99_18 Depth=3
	s_mul_i32 s34, s3, 0xe0
	s_mov_b32 s35, 0
	s_mov_b32 s36, s31
	s_branch .LBB99_26
.LBB99_25:                              ;   in Loop: Header=BB99_26 Depth=4
	s_wait_alu 0xfffe
	s_mulk_i32 s38, 0xe8
	s_addk_co_i32 s36, 0xff20
	s_wait_alu 0xfffe
	v_mov_b32_e32 v12, s38
	s_lshl_b32 s38, s35, 3
	s_add_co_i32 s35, s35, 1
	s_wait_alu 0xfffe
	s_cmp_eq_u32 s35, s28
	ds_load_b64 v[12:13], v12
	s_wait_loadcnt_dscnt 0x0
	v_mul_f64_e32 v[4:5], v[12:13], v[4:5]
	v_add_nc_u32_e32 v12, s37, v1
	scratch_store_b64 off, v[4:5], s38
	ds_store_b64 v12, v[4:5]
	s_cbranch_scc1 .LBB99_17
.LBB99_26:                              ;   Parent Loop BB99_3 Depth=1
                                        ;     Parent Loop BB99_15 Depth=2
                                        ;       Parent Loop BB99_18 Depth=3
                                        ; =>      This Loop Header: Depth=4
                                        ;           Child Loop BB99_28 Depth 5
	s_wait_alu 0xfffe
	s_cmp_lg_u32 s35, 0
	s_cbranch_scc0 .LBB99_30
; %bb.27:                               ;   in Loop: Header=BB99_26 Depth=4
	s_lshl_b32 s39, s35, 3
	s_sub_co_i32 s38, s3, s35
	scratch_load_b64 v[4:5], off, s39
	s_wait_alu 0xfffe
	s_mul_i32 s37, s38, 0xe0
	s_mov_b32 s40, 0
	s_mov_b32 s41, s36
	;; [unrolled: 1-line block ×3, first 2 shown]
.LBB99_28:                              ;   Parent Loop BB99_3 Depth=1
                                        ;     Parent Loop BB99_15 Depth=2
                                        ;       Parent Loop BB99_18 Depth=3
                                        ;         Parent Loop BB99_26 Depth=4
                                        ; =>        This Inner Loop Header: Depth=5
	scratch_load_b64 v[12:13], off, s40
	s_wait_alu 0xfffe
	v_mov_b32_e32 v14, s41
	s_add_co_i32 s42, s42, -1
	s_add_co_i32 s41, s41, -8
	s_add_co_i32 s40, s40, 8
	s_cmp_eq_u32 s42, 0
	ds_load_b64 v[14:15], v14
	s_wait_loadcnt_dscnt 0x0
	v_fma_f64 v[4:5], -v[12:13], v[14:15], v[4:5]
	scratch_store_b64 off, v[4:5], s39
	s_cbranch_scc0 .LBB99_28
; %bb.29:                               ;   in Loop: Header=BB99_26 Depth=4
	s_branch .LBB99_25
.LBB99_30:                              ;   in Loop: Header=BB99_26 Depth=4
                                        ; implicit-def: $vgpr4_vgpr5
                                        ; implicit-def: $sgpr38
                                        ; implicit-def: $sgpr37
	s_cbranch_execz .LBB99_25
; %bb.31:                               ;   in Loop: Header=BB99_26 Depth=4
	scratch_load_b64 v[4:5], off, off
	s_mov_b32 s37, s34
	s_mov_b32 s38, s3
	s_branch .LBB99_25
.LBB99_32:                              ;   in Loop: Header=BB99_3 Depth=1
	s_mov_b32 s3, 0
.LBB99_33:                              ;   in Loop: Header=BB99_3 Depth=1
	s_wait_alu 0xfffe
	s_and_b32 vcc_lo, exec_lo, s3
	s_wait_alu 0xfffe
	s_cbranch_vccz .LBB99_54
; %bb.34:                               ;   in Loop: Header=BB99_3 Depth=1
	s_mov_b32 s3, 0
	s_wait_alu 0xfffe
	s_mov_b32 s18, s3
	s_branch .LBB99_36
.LBB99_35:                              ;   in Loop: Header=BB99_36 Depth=2
	s_cmp_lt_i32 s3, s1
	s_cselect_b32 s20, -1, 0
	s_add_co_i32 s21, s18, 1
	s_cmp_lt_u32 s18, 2
	s_cselect_b32 s18, -1, 0
	s_wait_alu 0xfffe
	s_and_b32 s18, s20, s18
	s_delay_alu instid0(SALU_CYCLE_1)
	s_and_not1_b32 vcc_lo, exec_lo, s18
	s_mov_b32 s18, s21
	s_wait_alu 0xfffe
	s_cbranch_vccnz .LBB99_54
.LBB99_36:                              ;   Parent Loop BB99_3 Depth=1
                                        ; =>  This Loop Header: Depth=2
                                        ;       Child Loop BB99_39 Depth 3
                                        ;         Child Loop BB99_40 Depth 4
                                        ;         Child Loop BB99_43 Depth 4
                                        ;           Child Loop BB99_44 Depth 5
                                        ;         Child Loop BB99_48 Depth 4
                                        ;           Child Loop BB99_50 Depth 5
	s_getpc_b64 s[20:21]
	s_wait_alu 0xfffe
	s_sext_i32_i16 s21, s21
	s_add_co_u32 s20, s20, __const._ZL38rocblas_trsm_small_left_device_sharedBILi28ELi28ELb1EddPKPKdPKPdEv13rocblas_fill_18rocblas_operation_17rocblas_diagonal_iiT3_T4_lilT5_lili.step_sizes@rel32@lo+12
	s_wait_alu 0xfffe
	s_add_co_ci_u32 s21, s21, __const._ZL38rocblas_trsm_small_left_device_sharedBILi28ELi28ELb1EddPKPKdPKPdEv13rocblas_fill_18rocblas_operation_17rocblas_diagonal_iiT3_T4_lilT5_lili.step_sizes@rel32@hi+24
	s_lshl_b64 s[28:29], s[18:19], 2
	s_wait_alu 0xfffe
	s_add_nc_u64 s[20:21], s[20:21], s[28:29]
	s_load_b32 s20, s[20:21], 0x0
	s_wait_kmcnt 0x0
	s_add_co_i32 s21, s20, -1
	s_wait_alu 0xfffe
	s_add_co_i32 s28, s21, s3
	s_wait_alu 0xfffe
	s_cmp_ge_i32 s28, s1
	s_cbranch_scc1 .LBB99_35
; %bb.37:                               ;   in Loop: Header=BB99_36 Depth=2
	v_mad_co_u64_u32 v[4:5], null, 0xe0, s3, v[1:2]
	s_max_i32 s28, s20, 1
	s_mul_i32 s29, s20, 0xe0
	s_lshl_b32 s30, s3, 3
	s_lshl_b32 s31, s20, 3
	s_mul_i32 s33, s3, 0xe8
	s_mul_i32 s34, s20, 0xe8
	s_branch .LBB99_39
.LBB99_38:                              ;   in Loop: Header=BB99_39 Depth=3
	s_add_co_i32 s3, s3, s20
	v_add_nc_u32_e32 v4, s29, v4
	s_wait_alu 0xfffe
	s_add_co_i32 s35, s21, s3
	s_add_co_i32 s30, s30, s31
	;; [unrolled: 1-line block ×3, first 2 shown]
	s_wait_alu 0xfffe
	s_cmp_ge_i32 s35, s1
	s_cbranch_scc1 .LBB99_35
.LBB99_39:                              ;   Parent Loop BB99_3 Depth=1
                                        ;     Parent Loop BB99_36 Depth=2
                                        ; =>    This Loop Header: Depth=3
                                        ;         Child Loop BB99_40 Depth 4
                                        ;         Child Loop BB99_43 Depth 4
                                        ;           Child Loop BB99_44 Depth 5
                                        ;         Child Loop BB99_48 Depth 4
                                        ;           Child Loop BB99_50 Depth 5
	v_mov_b32_e32 v5, v4
	s_mov_b32 s35, 0
	s_wait_alu 0xfffe
	s_mov_b32 s36, s28
.LBB99_40:                              ;   Parent Loop BB99_3 Depth=1
                                        ;     Parent Loop BB99_36 Depth=2
                                        ;       Parent Loop BB99_39 Depth=3
                                        ; =>      This Inner Loop Header: Depth=4
	ds_load_b64 v[12:13], v5
	v_add_nc_u32_e32 v5, 0xe0, v5
	s_wait_alu 0xfffe
	s_add_co_i32 s36, s36, -1
	s_wait_dscnt 0x0
	scratch_store_b64 off, v[12:13], s35
	s_add_co_i32 s35, s35, 8
	s_wait_alu 0xfffe
	s_cmp_eq_u32 s36, 0
	s_cbranch_scc0 .LBB99_40
; %bb.41:                               ;   in Loop: Header=BB99_39 Depth=3
	s_cmp_lt_i32 s3, 1
	s_cbranch_scc1 .LBB99_46
; %bb.42:                               ;   in Loop: Header=BB99_39 Depth=3
	s_mov_b32 s35, 0
	s_mov_b32 s36, s30
.LBB99_43:                              ;   Parent Loop BB99_3 Depth=1
                                        ;     Parent Loop BB99_36 Depth=2
                                        ;       Parent Loop BB99_39 Depth=3
                                        ; =>      This Loop Header: Depth=4
                                        ;           Child Loop BB99_44 Depth 5
	s_wait_alu 0xfffe
	v_mad_co_u64_u32 v[5:6], null, 0xe0, s35, v[1:2]
	s_mov_b32 s37, 0
	s_mov_b32 s38, s36
	;; [unrolled: 1-line block ×3, first 2 shown]
	ds_load_b64 v[5:6], v5
.LBB99_44:                              ;   Parent Loop BB99_3 Depth=1
                                        ;     Parent Loop BB99_36 Depth=2
                                        ;       Parent Loop BB99_39 Depth=3
                                        ;         Parent Loop BB99_43 Depth=4
                                        ; =>        This Inner Loop Header: Depth=5
	scratch_load_b64 v[12:13], off, s37
	s_wait_alu 0xfffe
	v_mov_b32_e32 v14, s38
	s_add_co_i32 s39, s39, -1
	s_add_co_i32 s38, s38, 8
	ds_load_b64 v[14:15], v14
	s_wait_loadcnt_dscnt 0x0
	v_fma_f64 v[12:13], -v[5:6], v[14:15], v[12:13]
	scratch_store_b64 off, v[12:13], s37
	s_add_co_i32 s37, s37, 8
	s_wait_alu 0xfffe
	s_cmp_eq_u32 s39, 0
	s_cbranch_scc0 .LBB99_44
; %bb.45:                               ;   in Loop: Header=BB99_43 Depth=4
	s_add_co_i32 s35, s35, 1
	s_addk_co_i32 s36, 0xe0
	s_wait_alu 0xfffe
	s_cmp_eq_u32 s35, s3
	s_cbranch_scc0 .LBB99_43
.LBB99_46:                              ;   in Loop: Header=BB99_39 Depth=3
	s_mov_b32 s35, 0
	s_mov_b32 s36, s33
	s_branch .LBB99_48
.LBB99_47:                              ;   in Loop: Header=BB99_48 Depth=4
	s_add_co_i32 s37, s35, s3
	s_add_co_i32 s36, s36, 8
	s_wait_alu 0xfffe
	s_mul_i32 s38, s37, 0xe8
	s_wait_alu 0xfffe
	v_mov_b32_e32 v12, s38
	ds_load_b64 v[12:13], v12
	s_wait_loadcnt_dscnt 0x0
	v_mul_f64_e32 v[5:6], v[12:13], v[5:6]
	v_mad_co_u64_u32 v[12:13], null, 0xe0, s37, v[1:2]
	s_lshl_b32 s37, s35, 3
	s_add_co_i32 s35, s35, 1
	s_wait_alu 0xfffe
	s_cmp_eq_u32 s35, s28
	scratch_store_b64 off, v[5:6], s37
	ds_store_b64 v12, v[5:6]
	s_cbranch_scc1 .LBB99_38
.LBB99_48:                              ;   Parent Loop BB99_3 Depth=1
                                        ;     Parent Loop BB99_36 Depth=2
                                        ;       Parent Loop BB99_39 Depth=3
                                        ; =>      This Loop Header: Depth=4
                                        ;           Child Loop BB99_50 Depth 5
	s_wait_alu 0xfffe
	s_cmp_lg_u32 s35, 0
	s_cbranch_scc0 .LBB99_52
; %bb.49:                               ;   in Loop: Header=BB99_48 Depth=4
	s_lshl_b32 s37, s35, 3
	s_mov_b32 s38, 0
	scratch_load_b64 v[5:6], off, s37
	s_mov_b32 s39, s36
	s_mov_b32 s40, s35
.LBB99_50:                              ;   Parent Loop BB99_3 Depth=1
                                        ;     Parent Loop BB99_36 Depth=2
                                        ;       Parent Loop BB99_39 Depth=3
                                        ;         Parent Loop BB99_48 Depth=4
                                        ; =>        This Inner Loop Header: Depth=5
	scratch_load_b64 v[12:13], off, s38
	s_wait_alu 0xfffe
	v_mov_b32_e32 v14, s39
	s_add_co_i32 s40, s40, -1
	s_addk_co_i32 s39, 0xe0
	s_add_co_i32 s38, s38, 8
	s_wait_alu 0xfffe
	s_cmp_eq_u32 s40, 0
	ds_load_b64 v[14:15], v14
	s_wait_loadcnt_dscnt 0x0
	v_fma_f64 v[5:6], -v[12:13], v[14:15], v[5:6]
	scratch_store_b64 off, v[5:6], s37
	s_cbranch_scc0 .LBB99_50
; %bb.51:                               ;   in Loop: Header=BB99_48 Depth=4
	s_branch .LBB99_47
.LBB99_52:                              ;   in Loop: Header=BB99_48 Depth=4
                                        ; implicit-def: $vgpr5_vgpr6
	s_cbranch_execz .LBB99_47
; %bb.53:                               ;   in Loop: Header=BB99_48 Depth=4
	scratch_load_b64 v[5:6], off, off
	s_branch .LBB99_47
.LBB99_54:                              ;   in Loop: Header=BB99_3 Depth=1
	s_wait_storecnt 0x0
	; wave barrier
	s_wait_loadcnt_dscnt 0x0
	global_inv scope:SCOPE_SE
	s_and_saveexec_b32 s3, s26
	s_cbranch_execz .LBB99_2
; %bb.55:                               ;   in Loop: Header=BB99_3 Depth=1
	v_add_co_u32 v4, vcc_lo, v7, v2
	s_wait_alu 0xfffd
	v_add_co_ci_u32_e64 v5, null, v11, v3, vcc_lo
	v_mov_b32_e32 v6, v1
	s_mov_b32 s18, s1
.LBB99_56:                              ;   Parent Loop BB99_3 Depth=1
                                        ; =>  This Inner Loop Header: Depth=2
	ds_load_b64 v[11:12], v6
	v_add_nc_u32_e32 v6, 0xe0, v6
	s_add_co_i32 s18, s18, -1
	s_delay_alu instid0(SALU_CYCLE_1)
	s_cmp_lg_u32 s18, 0
	s_wait_dscnt 0x0
	flat_store_b64 v[4:5], v[11:12]
	v_add_co_u32 v4, vcc_lo, v4, 8
	s_wait_alu 0xfffd
	v_add_co_ci_u32_e64 v5, null, 0, v5, vcc_lo
	s_cbranch_scc1 .LBB99_56
	s_branch .LBB99_2
.LBB99_57:
	s_endpgm
	.section	.rodata,"a",@progbits
	.p2align	6, 0x0
	.amdhsa_kernel _ZL38rocblas_trsm_small_left_device_sharedBILi28ELi28ELb1EddPKPKdPKPdEv13rocblas_fill_18rocblas_operation_17rocblas_diagonal_iiT3_T4_lilT5_lili
		.amdhsa_group_segment_fixed_size 12544
		.amdhsa_private_segment_fixed_size 240
		.amdhsa_kernarg_size 360
		.amdhsa_user_sgpr_count 2
		.amdhsa_user_sgpr_dispatch_ptr 0
		.amdhsa_user_sgpr_queue_ptr 0
		.amdhsa_user_sgpr_kernarg_segment_ptr 1
		.amdhsa_user_sgpr_dispatch_id 0
		.amdhsa_user_sgpr_private_segment_size 0
		.amdhsa_wavefront_size32 1
		.amdhsa_uses_dynamic_stack 0
		.amdhsa_enable_private_segment 1
		.amdhsa_system_sgpr_workgroup_id_x 1
		.amdhsa_system_sgpr_workgroup_id_y 0
		.amdhsa_system_sgpr_workgroup_id_z 1
		.amdhsa_system_sgpr_workgroup_info 0
		.amdhsa_system_vgpr_workitem_id 0
		.amdhsa_next_free_vgpr 241
		.amdhsa_next_free_sgpr 43
		.amdhsa_reserve_vcc 1
		.amdhsa_float_round_mode_32 0
		.amdhsa_float_round_mode_16_64 0
		.amdhsa_float_denorm_mode_32 3
		.amdhsa_float_denorm_mode_16_64 3
		.amdhsa_fp16_overflow 0
		.amdhsa_workgroup_processor_mode 1
		.amdhsa_memory_ordered 1
		.amdhsa_forward_progress 1
		.amdhsa_inst_pref_size 19
		.amdhsa_round_robin_scheduling 0
		.amdhsa_exception_fp_ieee_invalid_op 0
		.amdhsa_exception_fp_denorm_src 0
		.amdhsa_exception_fp_ieee_div_zero 0
		.amdhsa_exception_fp_ieee_overflow 0
		.amdhsa_exception_fp_ieee_underflow 0
		.amdhsa_exception_fp_ieee_inexact 0
		.amdhsa_exception_int_div_zero 0
	.end_amdhsa_kernel
	.section	.text._ZL38rocblas_trsm_small_left_device_sharedBILi28ELi28ELb1EddPKPKdPKPdEv13rocblas_fill_18rocblas_operation_17rocblas_diagonal_iiT3_T4_lilT5_lili,"axG",@progbits,_ZL38rocblas_trsm_small_left_device_sharedBILi28ELi28ELb1EddPKPKdPKPdEv13rocblas_fill_18rocblas_operation_17rocblas_diagonal_iiT3_T4_lilT5_lili,comdat
.Lfunc_end99:
	.size	_ZL38rocblas_trsm_small_left_device_sharedBILi28ELi28ELb1EddPKPKdPKPdEv13rocblas_fill_18rocblas_operation_17rocblas_diagonal_iiT3_T4_lilT5_lili, .Lfunc_end99-_ZL38rocblas_trsm_small_left_device_sharedBILi28ELi28ELb1EddPKPKdPKPdEv13rocblas_fill_18rocblas_operation_17rocblas_diagonal_iiT3_T4_lilT5_lili
                                        ; -- End function
	.set _ZL38rocblas_trsm_small_left_device_sharedBILi28ELi28ELb1EddPKPKdPKPdEv13rocblas_fill_18rocblas_operation_17rocblas_diagonal_iiT3_T4_lilT5_lili.num_vgpr, 19
	.set _ZL38rocblas_trsm_small_left_device_sharedBILi28ELi28ELb1EddPKPKdPKPdEv13rocblas_fill_18rocblas_operation_17rocblas_diagonal_iiT3_T4_lilT5_lili.num_agpr, 0
	.set _ZL38rocblas_trsm_small_left_device_sharedBILi28ELi28ELb1EddPKPKdPKPdEv13rocblas_fill_18rocblas_operation_17rocblas_diagonal_iiT3_T4_lilT5_lili.numbered_sgpr, 43
	.set _ZL38rocblas_trsm_small_left_device_sharedBILi28ELi28ELb1EddPKPKdPKPdEv13rocblas_fill_18rocblas_operation_17rocblas_diagonal_iiT3_T4_lilT5_lili.num_named_barrier, 0
	.set _ZL38rocblas_trsm_small_left_device_sharedBILi28ELi28ELb1EddPKPKdPKPdEv13rocblas_fill_18rocblas_operation_17rocblas_diagonal_iiT3_T4_lilT5_lili.private_seg_size, 240
	.set _ZL38rocblas_trsm_small_left_device_sharedBILi28ELi28ELb1EddPKPKdPKPdEv13rocblas_fill_18rocblas_operation_17rocblas_diagonal_iiT3_T4_lilT5_lili.uses_vcc, 1
	.set _ZL38rocblas_trsm_small_left_device_sharedBILi28ELi28ELb1EddPKPKdPKPdEv13rocblas_fill_18rocblas_operation_17rocblas_diagonal_iiT3_T4_lilT5_lili.uses_flat_scratch, 0
	.set _ZL38rocblas_trsm_small_left_device_sharedBILi28ELi28ELb1EddPKPKdPKPdEv13rocblas_fill_18rocblas_operation_17rocblas_diagonal_iiT3_T4_lilT5_lili.has_dyn_sized_stack, 0
	.set _ZL38rocblas_trsm_small_left_device_sharedBILi28ELi28ELb1EddPKPKdPKPdEv13rocblas_fill_18rocblas_operation_17rocblas_diagonal_iiT3_T4_lilT5_lili.has_recursion, 0
	.set _ZL38rocblas_trsm_small_left_device_sharedBILi28ELi28ELb1EddPKPKdPKPdEv13rocblas_fill_18rocblas_operation_17rocblas_diagonal_iiT3_T4_lilT5_lili.has_indirect_call, 0
	.section	.AMDGPU.csdata,"",@progbits
; Kernel info:
; codeLenInByte = 2376
; TotalNumSgprs: 45
; NumVgprs: 19
; ScratchSize: 240
; MemoryBound: 0
; FloatMode: 240
; IeeeMode: 1
; LDSByteSize: 12544 bytes/workgroup (compile time only)
; SGPRBlocks: 0
; VGPRBlocks: 30
; NumSGPRsForWavesPerEU: 45
; NumVGPRsForWavesPerEU: 241
; Occupancy: 3
; WaveLimiterHint : 0
; COMPUTE_PGM_RSRC2:SCRATCH_EN: 1
; COMPUTE_PGM_RSRC2:USER_SGPR: 2
; COMPUTE_PGM_RSRC2:TRAP_HANDLER: 0
; COMPUTE_PGM_RSRC2:TGID_X_EN: 1
; COMPUTE_PGM_RSRC2:TGID_Y_EN: 0
; COMPUTE_PGM_RSRC2:TGID_Z_EN: 1
; COMPUTE_PGM_RSRC2:TIDIG_COMP_CNT: 0
	.section	.text._ZL30rocblas_trsm_small_left_deviceILi28ELi28ELb1EddPKPKdPKPdEv13rocblas_fill_18rocblas_operation_17rocblas_diagonal_iiT3_T4_lilT5_lili,"axG",@progbits,_ZL30rocblas_trsm_small_left_deviceILi28ELi28ELb1EddPKPKdPKPdEv13rocblas_fill_18rocblas_operation_17rocblas_diagonal_iiT3_T4_lilT5_lili,comdat
	.globl	_ZL30rocblas_trsm_small_left_deviceILi28ELi28ELb1EddPKPKdPKPdEv13rocblas_fill_18rocblas_operation_17rocblas_diagonal_iiT3_T4_lilT5_lili ; -- Begin function _ZL30rocblas_trsm_small_left_deviceILi28ELi28ELb1EddPKPKdPKPdEv13rocblas_fill_18rocblas_operation_17rocblas_diagonal_iiT3_T4_lilT5_lili
	.p2align	8
	.type	_ZL30rocblas_trsm_small_left_deviceILi28ELi28ELb1EddPKPKdPKPdEv13rocblas_fill_18rocblas_operation_17rocblas_diagonal_iiT3_T4_lilT5_lili,@function
_ZL30rocblas_trsm_small_left_deviceILi28ELi28ELb1EddPKPKdPKPdEv13rocblas_fill_18rocblas_operation_17rocblas_diagonal_iiT3_T4_lilT5_lili: ; @_ZL30rocblas_trsm_small_left_deviceILi28ELi28ELb1EddPKPKdPKPdEv13rocblas_fill_18rocblas_operation_17rocblas_diagonal_iiT3_T4_lilT5_lili
; %bb.0:
	s_load_b32 s26, s[0:1], 0x60
	s_lshr_b32 s2, ttmp7, 16
	s_wait_kmcnt 0x0
	s_cmp_ge_u32 s2, s26
	s_cbranch_scc1 .LBB100_54
; %bb.1:
	s_clause 0x5
	s_load_b96 s[16:18], s[0:1], 0x28
	s_load_b128 s[12:15], s[0:1], 0x4
	s_load_b32 s3, s[0:1], 0x68
	s_load_b32 s20, s[0:1], 0x50
	s_load_b128 s[4:7], s[0:1], 0x18
	s_load_b128 s[8:11], s[0:1], 0x40
	v_mad_co_u64_u32 v[1:2], null, ttmp9, 28, v[0:1]
	s_mul_i32 s0, ttmp9, 0xffffffe4
	v_dual_mov_b32 v8, 0 :: v_dual_lshlrev_b32 v7, 3, v0
	v_mul_u32_u24_e32 v3, 0xe0, v0
	s_mov_b32 s33, 0
                                        ; implicit-def: $sgpr34
                                        ; implicit-def: $sgpr35
	s_delay_alu instid0(VALU_DEP_1)
	v_add_nc_u32_e32 v11, v7, v3
	s_wait_kmcnt 0x0
	s_ashr_i32 s19, s18, 31
	s_min_i32 s27, s14, 28
	s_add_co_i32 s3, s3, -1
	v_mad_co_i64_i32 v[1:2], null, s20, v1, 0
	s_wait_alu 0xfffe
	s_add_co_i32 s0, s15, s0
	s_add_co_i32 s28, s27, -1
	s_wait_alu 0xfffe
	s_cmp_ge_u32 ttmp9, s3
	s_mov_b32 s15, 0
	s_cselect_b32 s1, s0, 28
	s_cmp_lg_u32 s13, 0x84
	v_lshlrev_b64_e32 v[1:2], 3, v[1:2]
	s_cselect_b32 s29, -1, 0
	s_cmp_lg_u32 s12, 0x6f
	v_cmp_gt_i32_e64 s0, s27, v0
	s_cselect_b32 s30, -1, 0
	s_lshl_b64 s[10:11], s[10:11], 3
	s_wait_alu 0xfffe
	v_cmp_gt_i32_e64 s1, s1, v0
	v_add_co_u32 v9, vcc_lo, v1, s10
	s_delay_alu instid0(VALU_DEP_1)
	v_add_co_ci_u32_e64 v10, null, s11, v2, vcc_lo
	v_lshlrev_b32_e32 v0, 3, v0
	s_lshl_b32 s31, s27, 3
	s_lshl_b64 s[12:13], s[18:19], 3
	s_add_co_i32 s31, s31, -8
	s_lshl_b64 s[16:17], s[16:17], 3
	s_branch .LBB100_4
.LBB100_2:                              ;   in Loop: Header=BB100_4 Depth=1
	s_add_co_i32 s2, s2, 0x10000
	s_delay_alu instid0(SALU_CYCLE_1)
	s_cmp_ge_u32 s2, s26
	s_cselect_b32 s14, -1, 0
	s_and_not1_b32 s35, s35, exec_lo
	s_or_not1_b32 s14, s14, exec_lo
.LBB100_3:                              ;   in Loop: Header=BB100_4 Depth=1
	s_or_b32 exec_lo, exec_lo, s3
	s_delay_alu instid0(SALU_CYCLE_1) | instskip(NEXT) | instid1(SALU_CYCLE_1)
	s_and_b32 s3, exec_lo, s14
	s_or_b32 s33, s3, s33
	s_and_not1_b32 s3, s34, exec_lo
	s_and_b32 s14, s35, exec_lo
	s_delay_alu instid0(SALU_CYCLE_1)
	s_or_b32 s34, s3, s14
	s_and_not1_b32 exec_lo, exec_lo, s33
	s_cbranch_execz .LBB100_53
.LBB100_4:                              ; =>This Loop Header: Depth=1
                                        ;     Child Loop BB100_6 Depth 2
                                        ;     Child Loop BB100_14 Depth 2
                                        ;       Child Loop BB100_17 Depth 3
                                        ;         Child Loop BB100_18 Depth 4
                                        ;         Child Loop BB100_20 Depth 4
                                        ;           Child Loop BB100_21 Depth 5
                                        ;         Child Loop BB100_25 Depth 4
                                        ;           Child Loop BB100_27 Depth 5
                                        ;     Child Loop BB100_35 Depth 2
                                        ;       Child Loop BB100_38 Depth 3
                                        ;         Child Loop BB100_39 Depth 4
                                        ;         Child Loop BB100_42 Depth 4
                                        ;           Child Loop BB100_43 Depth 5
                                        ;         Child Loop BB100_47 Depth 4
                                        ;           Child Loop BB100_49 Depth 5
	s_mov_b32 s3, s15
	s_delay_alu instid0(SALU_CYCLE_1) | instskip(NEXT) | instid1(SALU_CYCLE_1)
	s_lshl_b64 s[18:19], s[2:3], 3
	s_add_nc_u64 s[20:21], s[8:9], s[18:19]
	global_load_b64 v[3:4], v8, s[20:21]
	s_and_saveexec_b32 s3, s0
	s_cbranch_execz .LBB100_10
; %bb.5:                                ;   in Loop: Header=BB100_4 Depth=1
	s_add_nc_u64 s[18:19], s[6:7], s[18:19]
	v_mov_b32_e32 v12, v7
	global_load_b64 v[5:6], v8, s[18:19]
	s_mov_b32 s14, s27
	s_wait_loadcnt 0x0
	v_add_co_u32 v5, vcc_lo, v5, s16
	s_wait_alu 0xfffd
	v_add_co_ci_u32_e64 v6, null, s17, v6, vcc_lo
	s_delay_alu instid0(VALU_DEP_2) | instskip(SKIP_1) | instid1(VALU_DEP_2)
	v_add_co_u32 v5, vcc_lo, v5, v0
	s_wait_alu 0xfffd
	v_add_co_ci_u32_e64 v6, null, 0, v6, vcc_lo
.LBB100_6:                              ;   Parent Loop BB100_4 Depth=1
                                        ; =>  This Inner Loop Header: Depth=2
	flat_load_b64 v[13:14], v[5:6]
	v_add_co_u32 v5, vcc_lo, v5, s12
	s_wait_alu 0xfffd
	v_add_co_ci_u32_e64 v6, null, s13, v6, vcc_lo
	s_add_co_i32 s14, s14, -1
	s_delay_alu instid0(SALU_CYCLE_1)
	s_cmp_eq_u32 s14, 0
	s_wait_loadcnt_dscnt 0x0
	ds_store_b64 v12, v[13:14]
	v_add_nc_u32_e32 v12, 0xe0, v12
	s_cbranch_scc0 .LBB100_6
; %bb.7:                                ;   in Loop: Header=BB100_4 Depth=1
	v_mov_b32_e32 v5, 0
	v_mov_b32_e32 v6, 0x3ff00000
	s_and_b32 vcc_lo, exec_lo, s29
	s_wait_alu 0xfffe
	s_cbranch_vccz .LBB100_9
; %bb.8:                                ;   in Loop: Header=BB100_4 Depth=1
	ds_load_b64 v[5:6], v11
	s_wait_dscnt 0x0
	v_div_scale_f64 v[12:13], null, v[5:6], v[5:6], 1.0
	s_delay_alu instid0(VALU_DEP_1) | instskip(NEXT) | instid1(TRANS32_DEP_1)
	v_rcp_f64_e32 v[14:15], v[12:13]
	v_fma_f64 v[16:17], -v[12:13], v[14:15], 1.0
	s_delay_alu instid0(VALU_DEP_1) | instskip(NEXT) | instid1(VALU_DEP_1)
	v_fma_f64 v[14:15], v[14:15], v[16:17], v[14:15]
	v_fma_f64 v[16:17], -v[12:13], v[14:15], 1.0
	s_delay_alu instid0(VALU_DEP_1) | instskip(SKIP_1) | instid1(VALU_DEP_1)
	v_fma_f64 v[14:15], v[14:15], v[16:17], v[14:15]
	v_div_scale_f64 v[16:17], vcc_lo, 1.0, v[5:6], 1.0
	v_mul_f64_e32 v[18:19], v[16:17], v[14:15]
	s_delay_alu instid0(VALU_DEP_1) | instskip(SKIP_1) | instid1(VALU_DEP_1)
	v_fma_f64 v[12:13], -v[12:13], v[18:19], v[16:17]
	s_wait_alu 0xfffd
	v_div_fmas_f64 v[12:13], v[12:13], v[14:15], v[18:19]
	s_delay_alu instid0(VALU_DEP_1)
	v_div_fixup_f64 v[5:6], v[12:13], v[5:6], 1.0
.LBB100_9:                              ;   in Loop: Header=BB100_4 Depth=1
	ds_store_b64 v11, v[5:6]
.LBB100_10:                             ;   in Loop: Header=BB100_4 Depth=1
	s_or_b32 exec_lo, exec_lo, s3
	s_mov_b32 s14, -1
	s_or_b32 s35, s35, exec_lo
	; wave barrier
	s_wait_loadcnt_dscnt 0x0
	global_inv scope:SCOPE_SE
	s_and_saveexec_b32 s3, s1
	s_cbranch_execz .LBB100_3
; %bb.11:                               ;   in Loop: Header=BB100_4 Depth=1
	v_add_co_u32 v5, vcc_lo, v3, s10
	s_wait_alu 0xfffd
	v_add_co_ci_u32_e64 v6, null, s11, v4, vcc_lo
	s_delay_alu instid0(VALU_DEP_2) | instskip(SKIP_1) | instid1(VALU_DEP_2)
	v_add_co_u32 v12, vcc_lo, v5, v1
	s_wait_alu 0xfffd
	v_add_co_ci_u32_e64 v13, null, v6, v2, vcc_lo
	s_and_not1_b32 vcc_lo, exec_lo, s30
	s_wait_alu 0xfffe
	s_cbranch_vccnz .LBB100_32
; %bb.12:                               ;   in Loop: Header=BB100_4 Depth=1
	v_add_co_u32 v14, vcc_lo, v3, v9
	s_wait_alu 0xfffd
	v_add_co_ci_u32_e64 v15, null, v4, v10, vcc_lo
	s_mov_b32 s14, 0
	s_mov_b32 s18, s28
	s_branch .LBB100_14
.LBB100_13:                             ;   in Loop: Header=BB100_14 Depth=2
	s_cmp_gt_i32 s18, -1
	s_cselect_b32 s19, -1, 0
	s_add_co_i32 s20, s14, 1
	s_cmp_lt_u32 s14, 2
	s_cselect_b32 s14, -1, 0
	s_delay_alu instid0(SALU_CYCLE_1) | instskip(NEXT) | instid1(SALU_CYCLE_1)
	s_and_b32 s14, s19, s14
	s_and_b32 vcc_lo, exec_lo, s14
	s_wait_alu 0xfffe
	s_mov_b32 s14, s20
	s_cbranch_vccz .LBB100_31
.LBB100_14:                             ;   Parent Loop BB100_4 Depth=1
                                        ; =>  This Loop Header: Depth=2
                                        ;       Child Loop BB100_17 Depth 3
                                        ;         Child Loop BB100_18 Depth 4
                                        ;         Child Loop BB100_20 Depth 4
                                        ;           Child Loop BB100_21 Depth 5
                                        ;         Child Loop BB100_25 Depth 4
                                        ;           Child Loop BB100_27 Depth 5
	s_getpc_b64 s[20:21]
	s_wait_alu 0xfffe
	s_sext_i32_i16 s21, s21
	s_add_co_u32 s20, s20, __const._ZL30rocblas_trsm_small_left_deviceILi28ELi28ELb1EddPKPKdPKPdEv13rocblas_fill_18rocblas_operation_17rocblas_diagonal_iiT3_T4_lilT5_lili.step_sizes@rel32@lo+12
	s_wait_alu 0xfffe
	s_add_co_ci_u32 s21, s21, __const._ZL30rocblas_trsm_small_left_deviceILi28ELi28ELb1EddPKPKdPKPdEv13rocblas_fill_18rocblas_operation_17rocblas_diagonal_iiT3_T4_lilT5_lili.step_sizes@rel32@hi+24
	s_lshl_b64 s[22:23], s[14:15], 2
	s_wait_alu 0xfffe
	s_add_nc_u64 s[20:21], s[20:21], s[22:23]
	s_load_b32 s24, s[20:21], 0x0
	s_wait_kmcnt 0x0
	s_add_co_i32 s25, s24, -1
	s_wait_alu 0xfffe
	s_cmp_lt_i32 s18, s25
	s_cbranch_scc1 .LBB100_13
; %bb.15:                               ;   in Loop: Header=BB100_14 Depth=2
	s_mul_i32 s19, s18, 0xe0
	s_max_i32 s36, s24, 1
	s_add_co_i32 s37, s31, s19
	s_mul_i32 s38, s24, 0xffffff20
	s_mul_i32 s39, s18, 0xe8
	;; [unrolled: 1-line block ×3, first 2 shown]
	s_branch .LBB100_17
.LBB100_16:                             ;   in Loop: Header=BB100_17 Depth=3
	s_sub_co_i32 s18, s18, s24
	s_add_co_i32 s37, s37, s38
	s_add_co_i32 s39, s39, s40
	s_cmp_lt_i32 s18, s25
	s_cbranch_scc1 .LBB100_13
.LBB100_17:                             ;   Parent Loop BB100_4 Depth=1
                                        ;     Parent Loop BB100_14 Depth=2
                                        ; =>    This Loop Header: Depth=3
                                        ;         Child Loop BB100_18 Depth 4
                                        ;         Child Loop BB100_20 Depth 4
                                        ;           Child Loop BB100_21 Depth 5
                                        ;         Child Loop BB100_25 Depth 4
                                        ;           Child Loop BB100_27 Depth 5
	s_ashr_i32 s19, s18, 31
	s_delay_alu instid0(SALU_CYCLE_1)
	s_lshl_b64 s[20:21], s[18:19], 3
	s_wait_alu 0xfffe
	v_add_co_u32 v5, vcc_lo, v14, s20
	s_wait_alu 0xfffd
	v_add_co_ci_u32_e64 v6, null, s21, v15, vcc_lo
	s_mov_b32 s20, 0
	s_mov_b32 s21, s36
.LBB100_18:                             ;   Parent Loop BB100_4 Depth=1
                                        ;     Parent Loop BB100_14 Depth=2
                                        ;       Parent Loop BB100_17 Depth=3
                                        ; =>      This Inner Loop Header: Depth=4
	flat_load_b64 v[16:17], v[5:6]
	v_add_co_u32 v5, vcc_lo, v5, -8
	s_wait_alu 0xfffd
	v_add_co_ci_u32_e64 v6, null, -1, v6, vcc_lo
	s_wait_alu 0xfffe
	s_add_co_i32 s21, s21, -1
	s_wait_loadcnt_dscnt 0x0
	v_mul_f64_e32 v[16:17], s[4:5], v[16:17]
	scratch_store_b64 off, v[16:17], s20
	s_add_co_i32 s20, s20, 8
	s_wait_alu 0xfffe
	s_cmp_eq_u32 s21, 0
	s_cbranch_scc0 .LBB100_18
; %bb.19:                               ;   in Loop: Header=BB100_17 Depth=3
	s_cmp_le_i32 s28, s18
	s_mov_b32 s22, s37
	s_mov_b32 s20, s28
	s_cbranch_scc1 .LBB100_23
.LBB100_20:                             ;   Parent Loop BB100_4 Depth=1
                                        ;     Parent Loop BB100_14 Depth=2
                                        ;       Parent Loop BB100_17 Depth=3
                                        ; =>      This Loop Header: Depth=4
                                        ;           Child Loop BB100_21 Depth 5
	s_wait_alu 0xfffe
	s_ashr_i32 s21, s20, 31
	s_mov_b32 s23, s22
	s_wait_alu 0xfffe
	s_lshl_b64 s[42:43], s[20:21], 3
	s_mov_b32 s21, 0
	s_wait_alu 0xfffe
	v_add_co_u32 v5, vcc_lo, v12, s42
	s_wait_alu 0xfffd
	v_add_co_ci_u32_e64 v6, null, s43, v13, vcc_lo
	s_mov_b32 s41, s36
	flat_load_b64 v[5:6], v[5:6]
.LBB100_21:                             ;   Parent Loop BB100_4 Depth=1
                                        ;     Parent Loop BB100_14 Depth=2
                                        ;       Parent Loop BB100_17 Depth=3
                                        ;         Parent Loop BB100_20 Depth=4
                                        ; =>        This Inner Loop Header: Depth=5
	scratch_load_b64 v[16:17], off, s21
	v_mov_b32_e32 v18, s23
	s_wait_alu 0xfffe
	s_add_co_i32 s41, s41, -1
	s_addk_co_i32 s23, 0xff20
	ds_load_b64 v[18:19], v18
	s_wait_loadcnt_dscnt 0x0
	v_fma_f64 v[16:17], -v[5:6], v[18:19], v[16:17]
	scratch_store_b64 off, v[16:17], s21
	s_add_co_i32 s21, s21, 8
	s_wait_alu 0xfffe
	s_cmp_eq_u32 s41, 0
	s_cbranch_scc0 .LBB100_21
; %bb.22:                               ;   in Loop: Header=BB100_20 Depth=4
	s_add_co_i32 s20, s20, -1
	s_add_co_i32 s22, s22, -8
	s_wait_alu 0xfffe
	s_cmp_le_i32 s20, s18
	s_cbranch_scc0 .LBB100_20
.LBB100_23:                             ;   in Loop: Header=BB100_17 Depth=3
	s_mov_b32 s41, 0
	s_mov_b32 s42, s39
	s_branch .LBB100_25
.LBB100_24:                             ;   in Loop: Header=BB100_25 Depth=4
	s_wait_alu 0xfffe
	s_mulk_i32 s22, 0xe8
	s_lshl_b64 s[20:21], s[20:21], 3
	s_wait_alu 0xfffe
	v_mov_b32_e32 v16, s22
	s_lshl_b32 s22, s41, 3
	s_add_co_i32 s41, s41, 1
	s_addk_co_i32 s42, 0xff20
	s_wait_alu 0xfffe
	s_cmp_eq_u32 s41, s36
	ds_load_b64 v[16:17], v16
	s_wait_loadcnt_dscnt 0x0
	v_mul_f64_e32 v[5:6], v[16:17], v[5:6]
	v_add_co_u32 v16, vcc_lo, v12, s20
	s_wait_alu 0xfffd
	v_add_co_ci_u32_e64 v17, null, s21, v13, vcc_lo
	scratch_store_b64 off, v[5:6], s22
	flat_store_b64 v[16:17], v[5:6]
	s_cbranch_scc1 .LBB100_16
.LBB100_25:                             ;   Parent Loop BB100_4 Depth=1
                                        ;     Parent Loop BB100_14 Depth=2
                                        ;       Parent Loop BB100_17 Depth=3
                                        ; =>      This Loop Header: Depth=4
                                        ;           Child Loop BB100_27 Depth 5
	s_wait_alu 0xfffe
	s_cmp_lg_u32 s41, 0
	s_cbranch_scc0 .LBB100_29
; %bb.26:                               ;   in Loop: Header=BB100_25 Depth=4
	s_lshl_b32 s20, s41, 3
	s_mov_b32 s21, 0
	scratch_load_b64 v[5:6], off, s20
	s_mov_b32 s22, s42
	s_mov_b32 s23, s41
.LBB100_27:                             ;   Parent Loop BB100_4 Depth=1
                                        ;     Parent Loop BB100_14 Depth=2
                                        ;       Parent Loop BB100_17 Depth=3
                                        ;         Parent Loop BB100_25 Depth=4
                                        ; =>        This Inner Loop Header: Depth=5
	scratch_load_b64 v[16:17], off, s21
	s_wait_alu 0xfffe
	v_mov_b32_e32 v18, s22
	s_add_co_i32 s23, s23, -1
	s_add_co_i32 s22, s22, -8
	s_add_co_i32 s21, s21, 8
	s_wait_alu 0xfffe
	s_cmp_eq_u32 s23, 0
	ds_load_b64 v[18:19], v18
	s_wait_loadcnt_dscnt 0x0
	v_fma_f64 v[5:6], -v[16:17], v[18:19], v[5:6]
	scratch_store_b64 off, v[5:6], s20
	s_cbranch_scc0 .LBB100_27
; %bb.28:                               ;   in Loop: Header=BB100_25 Depth=4
	s_sub_co_i32 s22, s18, s41
	s_wait_alu 0xfffe
	s_ashr_i32 s23, s22, 31
	s_wait_alu 0xfffe
	s_mov_b64 s[20:21], s[22:23]
	s_branch .LBB100_24
.LBB100_29:                             ;   in Loop: Header=BB100_25 Depth=4
                                        ; implicit-def: $vgpr5_vgpr6
                                        ; implicit-def: $sgpr22
                                        ; implicit-def: $sgpr20_sgpr21
	s_cbranch_execz .LBB100_24
; %bb.30:                               ;   in Loop: Header=BB100_25 Depth=4
	scratch_load_b64 v[5:6], off, off
	s_mov_b64 s[20:21], s[18:19]
	s_mov_b32 s22, s18
	s_branch .LBB100_24
.LBB100_31:                             ;   in Loop: Header=BB100_4 Depth=1
	s_mov_b32 s14, 0
.LBB100_32:                             ;   in Loop: Header=BB100_4 Depth=1
	s_delay_alu instid0(SALU_CYCLE_1)
	s_and_b32 vcc_lo, exec_lo, s14
	s_wait_alu 0xfffe
	s_cbranch_vccz .LBB100_2
; %bb.33:                               ;   in Loop: Header=BB100_4 Depth=1
	v_add_co_u32 v14, vcc_lo, v3, v9
	s_wait_alu 0xfffd
	v_add_co_ci_u32_e64 v15, null, v4, v10, vcc_lo
	s_mov_b32 s18, 0
	s_mov_b32 s20, 0
	s_branch .LBB100_35
.LBB100_34:                             ;   in Loop: Header=BB100_35 Depth=2
	s_cmp_lt_i32 s18, s27
	s_cselect_b32 s14, -1, 0
	s_add_co_i32 s19, s20, 1
	s_cmp_lt_u32 s20, 2
	s_cselect_b32 s20, -1, 0
	s_wait_alu 0xfffe
	s_and_b32 s14, s14, s20
	s_mov_b32 s20, s19
	s_and_not1_b32 vcc_lo, exec_lo, s14
	s_wait_alu 0xfffe
	s_cbranch_vccnz .LBB100_2
.LBB100_35:                             ;   Parent Loop BB100_4 Depth=1
                                        ; =>  This Loop Header: Depth=2
                                        ;       Child Loop BB100_38 Depth 3
                                        ;         Child Loop BB100_39 Depth 4
                                        ;         Child Loop BB100_42 Depth 4
                                        ;           Child Loop BB100_43 Depth 5
                                        ;         Child Loop BB100_47 Depth 4
                                        ;           Child Loop BB100_49 Depth 5
	s_mov_b32 s21, s15
	s_getpc_b64 s[22:23]
	s_wait_alu 0xfffe
	s_sext_i32_i16 s23, s23
	s_add_co_u32 s22, s22, __const._ZL30rocblas_trsm_small_left_deviceILi28ELi28ELb1EddPKPKdPKPdEv13rocblas_fill_18rocblas_operation_17rocblas_diagonal_iiT3_T4_lilT5_lili.step_sizes@rel32@lo+12
	s_wait_alu 0xfffe
	s_add_co_ci_u32 s23, s23, __const._ZL30rocblas_trsm_small_left_deviceILi28ELi28ELb1EddPKPKdPKPdEv13rocblas_fill_18rocblas_operation_17rocblas_diagonal_iiT3_T4_lilT5_lili.step_sizes@rel32@hi+24
	s_lshl_b64 s[24:25], s[20:21], 2
	s_wait_alu 0xfffe
	s_add_nc_u64 s[22:23], s[22:23], s[24:25]
	s_load_b32 s22, s[22:23], 0x0
	s_wait_kmcnt 0x0
	s_add_co_i32 s21, s22, -1
	s_wait_alu 0xfffe
	s_add_co_i32 s14, s21, s18
	s_delay_alu instid0(SALU_CYCLE_1)
	s_cmp_ge_i32 s14, s27
	s_cbranch_scc1 .LBB100_34
; %bb.36:                               ;   in Loop: Header=BB100_35 Depth=2
	s_ashr_i32 s19, s18, 31
	s_ashr_i32 s23, s22, 31
	s_lshl_b64 s[24:25], s[18:19], 3
	s_max_i32 s36, s22, 1
	s_wait_alu 0xfffe
	v_add_co_u32 v3, vcc_lo, v14, s24
	s_wait_alu 0xfffd
	v_add_co_ci_u32_e64 v4, null, s25, v15, vcc_lo
	s_lshl_b64 s[24:25], s[22:23], 3
	s_lshl_b32 s19, s18, 3
	s_lshl_b32 s23, s22, 3
	s_mul_i32 s37, s18, 0xe8
	s_mul_i32 s38, s22, 0xe8
	s_branch .LBB100_38
.LBB100_37:                             ;   in Loop: Header=BB100_38 Depth=3
	v_add_co_u32 v3, vcc_lo, v3, s24
	s_add_co_i32 s18, s18, s22
	s_wait_alu 0xfffd
	v_add_co_ci_u32_e64 v4, null, s25, v4, vcc_lo
	s_add_co_i32 s14, s21, s18
	s_add_co_i32 s19, s19, s23
	;; [unrolled: 1-line block ×3, first 2 shown]
	s_cmp_ge_i32 s14, s27
	s_cbranch_scc1 .LBB100_34
.LBB100_38:                             ;   Parent Loop BB100_4 Depth=1
                                        ;     Parent Loop BB100_35 Depth=2
                                        ; =>    This Loop Header: Depth=3
                                        ;         Child Loop BB100_39 Depth 4
                                        ;         Child Loop BB100_42 Depth 4
                                        ;           Child Loop BB100_43 Depth 5
                                        ;         Child Loop BB100_47 Depth 4
                                        ;           Child Loop BB100_49 Depth 5
	v_dual_mov_b32 v6, v4 :: v_dual_mov_b32 v5, v3
	s_mov_b32 s14, 0
	s_mov_b32 s39, s36
.LBB100_39:                             ;   Parent Loop BB100_4 Depth=1
                                        ;     Parent Loop BB100_35 Depth=2
                                        ;       Parent Loop BB100_38 Depth=3
                                        ; =>      This Inner Loop Header: Depth=4
	flat_load_b64 v[16:17], v[5:6]
	v_add_co_u32 v5, vcc_lo, v5, 8
	s_wait_alu 0xfffd
	v_add_co_ci_u32_e64 v6, null, 0, v6, vcc_lo
	s_add_co_i32 s39, s39, -1
	s_wait_loadcnt_dscnt 0x0
	v_mul_f64_e32 v[16:17], s[4:5], v[16:17]
	scratch_store_b64 off, v[16:17], s14
	s_add_co_i32 s14, s14, 8
	s_cmp_eq_u32 s39, 0
	s_cbranch_scc0 .LBB100_39
; %bb.40:                               ;   in Loop: Header=BB100_38 Depth=3
	s_cmp_lt_i32 s18, 1
	s_cbranch_scc1 .LBB100_45
; %bb.41:                               ;   in Loop: Header=BB100_38 Depth=3
	s_mov_b32 s14, 0
	s_mov_b32 s39, s19
.LBB100_42:                             ;   Parent Loop BB100_4 Depth=1
                                        ;     Parent Loop BB100_35 Depth=2
                                        ;       Parent Loop BB100_38 Depth=3
                                        ; =>      This Loop Header: Depth=4
                                        ;           Child Loop BB100_43 Depth 5
	s_lshl_b64 s[40:41], s[14:15], 3
	s_mov_b32 s42, s36
	s_wait_alu 0xfffe
	v_add_co_u32 v5, vcc_lo, v12, s40
	s_wait_alu 0xfffd
	v_add_co_ci_u32_e64 v6, null, s41, v13, vcc_lo
	s_mov_b32 s40, 0
	s_mov_b32 s41, s39
	flat_load_b64 v[5:6], v[5:6]
.LBB100_43:                             ;   Parent Loop BB100_4 Depth=1
                                        ;     Parent Loop BB100_35 Depth=2
                                        ;       Parent Loop BB100_38 Depth=3
                                        ;         Parent Loop BB100_42 Depth=4
                                        ; =>        This Inner Loop Header: Depth=5
	scratch_load_b64 v[16:17], off, s40
	s_wait_alu 0xfffe
	v_mov_b32_e32 v18, s41
	s_add_co_i32 s42, s42, -1
	s_add_co_i32 s41, s41, 8
	ds_load_b64 v[18:19], v18
	s_wait_loadcnt_dscnt 0x0
	v_fma_f64 v[16:17], -v[5:6], v[18:19], v[16:17]
	scratch_store_b64 off, v[16:17], s40
	s_add_co_i32 s40, s40, 8
	s_wait_alu 0xfffe
	s_cmp_eq_u32 s42, 0
	s_cbranch_scc0 .LBB100_43
; %bb.44:                               ;   in Loop: Header=BB100_42 Depth=4
	s_add_co_i32 s14, s14, 1
	s_addk_co_i32 s39, 0xe0
	s_cmp_eq_u32 s14, s18
	s_cbranch_scc0 .LBB100_42
.LBB100_45:                             ;   in Loop: Header=BB100_38 Depth=3
	s_mov_b32 s14, 0
	s_mov_b32 s39, s37
	s_branch .LBB100_47
.LBB100_46:                             ;   in Loop: Header=BB100_47 Depth=4
	s_add_co_i32 s40, s14, s18
	s_lshl_b32 s42, s14, 3
	s_wait_alu 0xfffe
	s_mul_i32 s41, s40, 0xe8
	s_add_co_i32 s14, s14, 1
	s_wait_alu 0xfffe
	v_mov_b32_e32 v16, s41
	s_ashr_i32 s41, s40, 31
	s_add_co_i32 s39, s39, 8
	s_wait_alu 0xfffe
	s_lshl_b64 s[40:41], s[40:41], 3
	s_cmp_eq_u32 s14, s36
	ds_load_b64 v[16:17], v16
	s_wait_loadcnt_dscnt 0x0
	v_mul_f64_e32 v[5:6], v[16:17], v[5:6]
	s_wait_alu 0xfffe
	v_add_co_u32 v16, vcc_lo, v12, s40
	s_wait_alu 0xfffd
	v_add_co_ci_u32_e64 v17, null, s41, v13, vcc_lo
	scratch_store_b64 off, v[5:6], s42
	flat_store_b64 v[16:17], v[5:6]
	s_cbranch_scc1 .LBB100_37
.LBB100_47:                             ;   Parent Loop BB100_4 Depth=1
                                        ;     Parent Loop BB100_35 Depth=2
                                        ;       Parent Loop BB100_38 Depth=3
                                        ; =>      This Loop Header: Depth=4
                                        ;           Child Loop BB100_49 Depth 5
	s_cmp_lg_u32 s14, 0
	s_cbranch_scc0 .LBB100_51
; %bb.48:                               ;   in Loop: Header=BB100_47 Depth=4
	s_lshl_b32 s40, s14, 3
	s_mov_b32 s41, 0
	scratch_load_b64 v[5:6], off, s40
	s_mov_b32 s42, s39
	s_mov_b32 s43, s14
.LBB100_49:                             ;   Parent Loop BB100_4 Depth=1
                                        ;     Parent Loop BB100_35 Depth=2
                                        ;       Parent Loop BB100_38 Depth=3
                                        ;         Parent Loop BB100_47 Depth=4
                                        ; =>        This Inner Loop Header: Depth=5
	scratch_load_b64 v[16:17], off, s41
	s_wait_alu 0xfffe
	v_mov_b32_e32 v18, s42
	s_add_co_i32 s43, s43, -1
	s_addk_co_i32 s42, 0xe0
	s_add_co_i32 s41, s41, 8
	s_wait_alu 0xfffe
	s_cmp_eq_u32 s43, 0
	ds_load_b64 v[18:19], v18
	s_wait_loadcnt_dscnt 0x0
	v_fma_f64 v[5:6], -v[16:17], v[18:19], v[5:6]
	scratch_store_b64 off, v[5:6], s40
	s_cbranch_scc0 .LBB100_49
; %bb.50:                               ;   in Loop: Header=BB100_47 Depth=4
	s_branch .LBB100_46
.LBB100_51:                             ;   in Loop: Header=BB100_47 Depth=4
                                        ; implicit-def: $vgpr5_vgpr6
	s_cbranch_execz .LBB100_46
; %bb.52:                               ;   in Loop: Header=BB100_47 Depth=4
	scratch_load_b64 v[5:6], off, off
	s_branch .LBB100_46
.LBB100_53:
	s_or_b32 exec_lo, exec_lo, s33
	s_and_saveexec_b32 s0, s34
	s_wait_alu 0xfffe
	s_xor_b32 s0, exec_lo, s0
.LBB100_54:
	s_endpgm
	.section	.rodata,"a",@progbits
	.p2align	6, 0x0
	.amdhsa_kernel _ZL30rocblas_trsm_small_left_deviceILi28ELi28ELb1EddPKPKdPKPdEv13rocblas_fill_18rocblas_operation_17rocblas_diagonal_iiT3_T4_lilT5_lili
		.amdhsa_group_segment_fixed_size 6272
		.amdhsa_private_segment_fixed_size 240
		.amdhsa_kernarg_size 360
		.amdhsa_user_sgpr_count 2
		.amdhsa_user_sgpr_dispatch_ptr 0
		.amdhsa_user_sgpr_queue_ptr 0
		.amdhsa_user_sgpr_kernarg_segment_ptr 1
		.amdhsa_user_sgpr_dispatch_id 0
		.amdhsa_user_sgpr_private_segment_size 0
		.amdhsa_wavefront_size32 1
		.amdhsa_uses_dynamic_stack 0
		.amdhsa_enable_private_segment 1
		.amdhsa_system_sgpr_workgroup_id_x 1
		.amdhsa_system_sgpr_workgroup_id_y 0
		.amdhsa_system_sgpr_workgroup_id_z 1
		.amdhsa_system_sgpr_workgroup_info 0
		.amdhsa_system_vgpr_workitem_id 0
		.amdhsa_next_free_vgpr 241
		.amdhsa_next_free_sgpr 44
		.amdhsa_reserve_vcc 1
		.amdhsa_float_round_mode_32 0
		.amdhsa_float_round_mode_16_64 0
		.amdhsa_float_denorm_mode_32 3
		.amdhsa_float_denorm_mode_16_64 3
		.amdhsa_fp16_overflow 0
		.amdhsa_workgroup_processor_mode 1
		.amdhsa_memory_ordered 1
		.amdhsa_forward_progress 1
		.amdhsa_inst_pref_size 19
		.amdhsa_round_robin_scheduling 0
		.amdhsa_exception_fp_ieee_invalid_op 0
		.amdhsa_exception_fp_denorm_src 0
		.amdhsa_exception_fp_ieee_div_zero 0
		.amdhsa_exception_fp_ieee_overflow 0
		.amdhsa_exception_fp_ieee_underflow 0
		.amdhsa_exception_fp_ieee_inexact 0
		.amdhsa_exception_int_div_zero 0
	.end_amdhsa_kernel
	.section	.text._ZL30rocblas_trsm_small_left_deviceILi28ELi28ELb1EddPKPKdPKPdEv13rocblas_fill_18rocblas_operation_17rocblas_diagonal_iiT3_T4_lilT5_lili,"axG",@progbits,_ZL30rocblas_trsm_small_left_deviceILi28ELi28ELb1EddPKPKdPKPdEv13rocblas_fill_18rocblas_operation_17rocblas_diagonal_iiT3_T4_lilT5_lili,comdat
.Lfunc_end100:
	.size	_ZL30rocblas_trsm_small_left_deviceILi28ELi28ELb1EddPKPKdPKPdEv13rocblas_fill_18rocblas_operation_17rocblas_diagonal_iiT3_T4_lilT5_lili, .Lfunc_end100-_ZL30rocblas_trsm_small_left_deviceILi28ELi28ELb1EddPKPKdPKPdEv13rocblas_fill_18rocblas_operation_17rocblas_diagonal_iiT3_T4_lilT5_lili
                                        ; -- End function
	.set _ZL30rocblas_trsm_small_left_deviceILi28ELi28ELb1EddPKPKdPKPdEv13rocblas_fill_18rocblas_operation_17rocblas_diagonal_iiT3_T4_lilT5_lili.num_vgpr, 20
	.set _ZL30rocblas_trsm_small_left_deviceILi28ELi28ELb1EddPKPKdPKPdEv13rocblas_fill_18rocblas_operation_17rocblas_diagonal_iiT3_T4_lilT5_lili.num_agpr, 0
	.set _ZL30rocblas_trsm_small_left_deviceILi28ELi28ELb1EddPKPKdPKPdEv13rocblas_fill_18rocblas_operation_17rocblas_diagonal_iiT3_T4_lilT5_lili.numbered_sgpr, 44
	.set _ZL30rocblas_trsm_small_left_deviceILi28ELi28ELb1EddPKPKdPKPdEv13rocblas_fill_18rocblas_operation_17rocblas_diagonal_iiT3_T4_lilT5_lili.num_named_barrier, 0
	.set _ZL30rocblas_trsm_small_left_deviceILi28ELi28ELb1EddPKPKdPKPdEv13rocblas_fill_18rocblas_operation_17rocblas_diagonal_iiT3_T4_lilT5_lili.private_seg_size, 240
	.set _ZL30rocblas_trsm_small_left_deviceILi28ELi28ELb1EddPKPKdPKPdEv13rocblas_fill_18rocblas_operation_17rocblas_diagonal_iiT3_T4_lilT5_lili.uses_vcc, 1
	.set _ZL30rocblas_trsm_small_left_deviceILi28ELi28ELb1EddPKPKdPKPdEv13rocblas_fill_18rocblas_operation_17rocblas_diagonal_iiT3_T4_lilT5_lili.uses_flat_scratch, 0
	.set _ZL30rocblas_trsm_small_left_deviceILi28ELi28ELb1EddPKPKdPKPdEv13rocblas_fill_18rocblas_operation_17rocblas_diagonal_iiT3_T4_lilT5_lili.has_dyn_sized_stack, 0
	.set _ZL30rocblas_trsm_small_left_deviceILi28ELi28ELb1EddPKPKdPKPdEv13rocblas_fill_18rocblas_operation_17rocblas_diagonal_iiT3_T4_lilT5_lili.has_recursion, 0
	.set _ZL30rocblas_trsm_small_left_deviceILi28ELi28ELb1EddPKPKdPKPdEv13rocblas_fill_18rocblas_operation_17rocblas_diagonal_iiT3_T4_lilT5_lili.has_indirect_call, 0
	.section	.AMDGPU.csdata,"",@progbits
; Kernel info:
; codeLenInByte = 2372
; TotalNumSgprs: 46
; NumVgprs: 20
; ScratchSize: 240
; MemoryBound: 0
; FloatMode: 240
; IeeeMode: 1
; LDSByteSize: 6272 bytes/workgroup (compile time only)
; SGPRBlocks: 0
; VGPRBlocks: 30
; NumSGPRsForWavesPerEU: 46
; NumVGPRsForWavesPerEU: 241
; Occupancy: 5
; WaveLimiterHint : 1
; COMPUTE_PGM_RSRC2:SCRATCH_EN: 1
; COMPUTE_PGM_RSRC2:USER_SGPR: 2
; COMPUTE_PGM_RSRC2:TRAP_HANDLER: 0
; COMPUTE_PGM_RSRC2:TGID_X_EN: 1
; COMPUTE_PGM_RSRC2:TGID_Y_EN: 0
; COMPUTE_PGM_RSRC2:TGID_Z_EN: 1
; COMPUTE_PGM_RSRC2:TIDIG_COMP_CNT: 0
	.section	.text._ZL31rocblas_trsm_small_right_deviceIddPKPKdPKPdLi28EEv13rocblas_fill_18rocblas_operation_17rocblas_diagonal_iiT0_T1_lilT2_lili,"axG",@progbits,_ZL31rocblas_trsm_small_right_deviceIddPKPKdPKPdLi28EEv13rocblas_fill_18rocblas_operation_17rocblas_diagonal_iiT0_T1_lilT2_lili,comdat
	.globl	_ZL31rocblas_trsm_small_right_deviceIddPKPKdPKPdLi28EEv13rocblas_fill_18rocblas_operation_17rocblas_diagonal_iiT0_T1_lilT2_lili ; -- Begin function _ZL31rocblas_trsm_small_right_deviceIddPKPKdPKPdLi28EEv13rocblas_fill_18rocblas_operation_17rocblas_diagonal_iiT0_T1_lilT2_lili
	.p2align	8
	.type	_ZL31rocblas_trsm_small_right_deviceIddPKPKdPKPdLi28EEv13rocblas_fill_18rocblas_operation_17rocblas_diagonal_iiT0_T1_lilT2_lili,@function
_ZL31rocblas_trsm_small_right_deviceIddPKPKdPKPdLi28EEv13rocblas_fill_18rocblas_operation_17rocblas_diagonal_iiT0_T1_lilT2_lili: ; @_ZL31rocblas_trsm_small_right_deviceIddPKPKdPKPdLi28EEv13rocblas_fill_18rocblas_operation_17rocblas_diagonal_iiT0_T1_lilT2_lili
; %bb.0:
	s_load_b32 s22, s[0:1], 0x60
	s_lshr_b32 s2, ttmp7, 16
	s_wait_kmcnt 0x0
	s_cmp_ge_u32 s2, s22
	s_cbranch_scc1 .LBB101_82
; %bb.1:
	s_clause 0x6
	s_load_b96 s[16:18], s[0:1], 0x28
	s_load_b32 s30, s[0:1], 0x50
	s_load_b128 s[12:15], s[0:1], 0x0
	s_load_b32 s23, s[0:1], 0x10
	s_load_b32 s3, s[0:1], 0x68
	s_load_b128 s[4:7], s[0:1], 0x18
	s_load_b128 s[8:11], s[0:1], 0x40
	s_mul_i32 s0, ttmp9, 0xffffffe4
	v_dual_mov_b32 v8, 0 :: v_dual_lshlrev_b32 v13, 3, v0
	v_mul_u32_u24_e32 v1, 0xe0, v0
	v_lshlrev_b32_e32 v17, 3, v0
	v_mov_b32_e32 v9, 0x3ff00000
	s_delay_alu instid0(VALU_DEP_4)
	v_add_nc_u32_e32 v10, 0x1880, v13
	s_mov_b32 s20, ttmp9
	v_add_nc_u32_e32 v16, v13, v1
	s_wait_kmcnt 0x0
	s_ashr_i32 s19, s18, 31
	s_ashr_i32 s31, s30, 31
	s_cmp_lg_u32 s12, 0x7a
	s_cselect_b32 s26, -1, 0
	s_min_i32 s1, s23, 28
	s_add_co_i32 s3, s3, -1
	s_add_co_i32 s0, s15, s0
	s_add_co_i32 s24, s1, -1
	s_cmp_ge_u32 ttmp9, s3
	s_mul_i32 s33, s1, 0xe0
	s_cselect_b32 s15, s0, 28
	s_ashr_i32 s21, ttmp9, 31
	s_cmp_eq_u32 s14, 0x84
	v_cmp_gt_i32_e32 vcc_lo, s15, v0
	s_cselect_b32 s25, -1, 0
	s_cmp_gt_i32 s23, 0
	v_cmp_gt_i32_e64 s0, s1, v0
	s_cselect_b32 s14, -1, 0
	s_cmp_lg_u32 s13, 0x6f
	v_add3_u32 v15, s33, v13, 0x17a0
	s_cselect_b32 s13, -1, 0
	s_cmp_lg_u32 s12, 0x79
	s_mul_i32 s34, s1, 0xe8
	s_cselect_b32 s12, -1, 0
	s_or_b32 s26, s26, s13
	s_or_b32 s27, s12, s13
	s_cmp_gt_i32 s23, 3
	v_cndmask_b32_e64 v14, 0, 1, s12
	s_cselect_b32 s28, -1, 0
	s_lshl_b32 s36, s1, 3
	s_mov_b32 s3, 0
	s_mul_u64 s[12:13], s[20:21], 0xe0
	s_wait_alu 0xfffe
	s_and_b32 s29, vcc_lo, s14
	s_lshl_b64 s[14:15], s[18:19], 3
	s_lshl_b64 s[18:19], s[30:31], 3
	s_add_co_i32 s30, s34, 0xffffff00
	s_add_co_i32 s31, s33, 0xffffff20
	s_addk_co_i32 s33, 0xff18
	s_addk_co_i32 s34, 0xfc78
	s_add_co_i32 s35, s36, -8
	s_addk_co_i32 s36, 0xff18
	s_lshl_b64 s[16:17], s[16:17], 3
	s_lshl_b64 s[10:11], s[10:11], 3
	s_branch .LBB101_3
.LBB101_2:                              ;   in Loop: Header=BB101_3 Depth=1
	s_wait_alu 0xfffe
	s_or_b32 exec_lo, exec_lo, s20
	s_add_co_i32 s2, s2, 0x10000
	s_delay_alu instid0(SALU_CYCLE_1)
	s_cmp_lt_u32 s2, s22
	s_cbranch_scc0 .LBB101_82
.LBB101_3:                              ; =>This Loop Header: Depth=1
                                        ;     Child Loop BB101_5 Depth 2
                                        ;     Child Loop BB101_10 Depth 2
	;; [unrolled: 1-line block ×3, first 2 shown]
                                        ;       Child Loop BB101_17 Depth 3
                                        ;     Child Loop BB101_23 Depth 2
                                        ;       Child Loop BB101_24 Depth 3
                                        ;     Child Loop BB101_28 Depth 2
	;; [unrolled: 2-line block ×3, first 2 shown]
                                        ;     Child Loop BB101_42 Depth 2
                                        ;       Child Loop BB101_43 Depth 3
                                        ;       Child Loop BB101_45 Depth 3
                                        ;     Child Loop BB101_49 Depth 2
                                        ;       Child Loop BB101_50 Depth 3
                                        ;     Child Loop BB101_57 Depth 2
                                        ;     Child Loop BB101_62 Depth 2
                                        ;       Child Loop BB101_63 Depth 3
                                        ;       Child Loop BB101_65 Depth 3
                                        ;     Child Loop BB101_70 Depth 2
                                        ;       Child Loop BB101_71 Depth 3
                                        ;     Child Loop BB101_77 Depth 2
	;; [unrolled: 2-line block ×3, first 2 shown]
	s_lshl_b64 s[20:21], s[2:3], 3
	s_wait_alu 0xfffe
	s_add_nc_u64 s[38:39], s[8:9], s[20:21]
	global_load_b64 v[0:1], v8, s[38:39]
	s_and_saveexec_b32 s37, s0
	s_cbranch_execz .LBB101_8
; %bb.4:                                ;   in Loop: Header=BB101_3 Depth=1
	s_add_nc_u64 s[20:21], s[6:7], s[20:21]
	v_mov_b32_e32 v4, v13
	global_load_b64 v[2:3], v8, s[20:21]
	s_mov_b32 s20, s1
	s_wait_loadcnt 0x0
	v_add_co_u32 v2, vcc_lo, v2, s16
	s_wait_alu 0xfffd
	v_add_co_ci_u32_e64 v3, null, s17, v3, vcc_lo
	s_delay_alu instid0(VALU_DEP_2) | instskip(SKIP_1) | instid1(VALU_DEP_2)
	v_add_co_u32 v2, vcc_lo, v2, v17
	s_wait_alu 0xfffd
	v_add_co_ci_u32_e64 v3, null, 0, v3, vcc_lo
.LBB101_5:                              ;   Parent Loop BB101_3 Depth=1
                                        ; =>  This Inner Loop Header: Depth=2
	flat_load_b64 v[5:6], v[2:3]
	s_wait_alu 0xfffe
	v_add_co_u32 v2, vcc_lo, v2, s14
	s_wait_alu 0xfffd
	v_add_co_ci_u32_e64 v3, null, s15, v3, vcc_lo
	s_add_co_i32 s20, s20, -1
	s_wait_alu 0xfffe
	s_cmp_eq_u32 s20, 0
	s_wait_loadcnt_dscnt 0x0
	ds_store_b64 v4, v[5:6]
	v_add_nc_u32_e32 v4, 0xe0, v4
	s_cbranch_scc0 .LBB101_5
; %bb.6:                                ;   in Loop: Header=BB101_3 Depth=1
	s_and_b32 vcc_lo, exec_lo, s25
	s_wait_alu 0xfffe
	s_cbranch_vccz .LBB101_8
; %bb.7:                                ;   in Loop: Header=BB101_3 Depth=1
	ds_store_b64 v16, v[8:9]
.LBB101_8:                              ;   in Loop: Header=BB101_3 Depth=1
	s_wait_alu 0xfffe
	s_or_b32 exec_lo, exec_lo, s37
	s_wait_loadcnt 0x0
	v_add_co_u32 v0, vcc_lo, v0, s10
	s_wait_alu 0xfffd
	v_add_co_ci_u32_e64 v1, null, s11, v1, vcc_lo
	s_delay_alu instid0(VALU_DEP_2) | instskip(SKIP_1) | instid1(VALU_DEP_2)
	v_add_co_u32 v18, vcc_lo, v0, s12
	s_wait_alu 0xfffd
	v_add_co_ci_u32_e64 v19, null, s13, v1, vcc_lo
	s_and_saveexec_b32 s20, s29
	s_cbranch_execz .LBB101_11
; %bb.9:                                ;   in Loop: Header=BB101_3 Depth=1
	v_add_co_u32 v0, vcc_lo, v18, v17
	s_wait_alu 0xfffd
	v_add_co_ci_u32_e64 v1, null, 0, v19, vcc_lo
	v_mov_b32_e32 v2, v10
	s_mov_b32 s21, s23
.LBB101_10:                             ;   Parent Loop BB101_3 Depth=1
                                        ; =>  This Inner Loop Header: Depth=2
	flat_load_b64 v[3:4], v[0:1]
	v_add_co_u32 v0, vcc_lo, v0, s18
	s_wait_alu 0xfffd
	v_add_co_ci_u32_e64 v1, null, s19, v1, vcc_lo
	s_wait_alu 0xfffe
	s_add_co_i32 s21, s21, -1
	s_wait_alu 0xfffe
	s_cmp_lg_u32 s21, 0
	s_wait_loadcnt_dscnt 0x0
	v_mul_f64_e32 v[3:4], s[4:5], v[3:4]
	ds_store_b64 v2, v[3:4]
	v_add_nc_u32_e32 v2, 0xe0, v2
	s_cbranch_scc1 .LBB101_10
.LBB101_11:                             ;   in Loop: Header=BB101_3 Depth=1
	s_wait_alu 0xfffe
	s_or_b32 exec_lo, exec_lo, s20
	s_delay_alu instid0(SALU_CYCLE_1)
	s_and_b32 vcc_lo, exec_lo, s27
	s_mov_b32 s20, -1
	s_wait_dscnt 0x0
	; wave barrier
	global_inv scope:SCOPE_SE
	s_wait_alu 0xfffe
	s_cbranch_vccz .LBB101_67
; %bb.12:                               ;   in Loop: Header=BB101_3 Depth=1
	s_and_b32 vcc_lo, exec_lo, s26
	s_wait_alu 0xfffe
	s_cbranch_vccz .LBB101_47
; %bb.13:                               ;   in Loop: Header=BB101_3 Depth=1
	v_cmp_ne_u32_e32 vcc_lo, 1, v14
	s_cbranch_vccnz .LBB101_26
; %bb.14:                               ;   in Loop: Header=BB101_3 Depth=1
	s_and_not1_b32 vcc_lo, exec_lo, s28
	s_mov_b32 s37, 0
	s_wait_alu 0xfffe
	s_cbranch_vccnz .LBB101_20
; %bb.15:                               ;   in Loop: Header=BB101_3 Depth=1
	s_mov_b32 s20, 0
	s_mov_b32 s21, 0
.LBB101_16:                             ;   Parent Loop BB101_3 Depth=1
                                        ; =>  This Loop Header: Depth=2
                                        ;       Child Loop BB101_17 Depth 3
	s_wait_alu 0xfffe
	v_mad_co_u64_u32 v[4:5], null, 0xe0, s21, v[10:11]
	s_or_b32 s37, s21, 3
	s_cmp_eq_u32 s21, 0
	s_wait_alu 0xfffe
	s_mulk_i32 s37, 0xe0
	s_wait_alu 0xfffe
	v_dual_mov_b32 v20, v10 :: v_dual_add_nc_u32 v7, s37, v10
	s_mov_b32 s37, s20
	ds_load_2addr_b64 v[0:3], v4 offset1:28
	ds_load_b64 v[11:12], v4 offset:448
	ds_load_b64 v[5:6], v7
	s_mov_b32 s38, s21
	s_cbranch_scc1 .LBB101_18
.LBB101_17:                             ;   Parent Loop BB101_3 Depth=1
                                        ;     Parent Loop BB101_16 Depth=2
                                        ; =>    This Inner Loop Header: Depth=3
	s_wait_alu 0xfffe
	v_mov_b32_e32 v25, s37
	s_add_co_i32 s38, s38, -1
	s_addk_co_i32 s37, 0xe0
	s_wait_alu 0xfffe
	s_cmp_eq_u32 s38, 0
	ds_load_b64 v[29:30], v20
	ds_load_b128 v[21:24], v25
	ds_load_b128 v[25:28], v25 offset:16
	v_add_nc_u32_e32 v20, 0xe0, v20
	s_wait_dscnt 0x1
	v_fma_f64 v[0:1], -v[29:30], v[21:22], v[0:1]
	v_fma_f64 v[2:3], -v[29:30], v[23:24], v[2:3]
	s_wait_dscnt 0x0
	v_fma_f64 v[11:12], -v[29:30], v[25:26], v[11:12]
	v_fma_f64 v[5:6], -v[29:30], v[27:28], v[5:6]
	s_cbranch_scc0 .LBB101_17
.LBB101_18:                             ;   in Loop: Header=BB101_16 Depth=2
	s_lshl_b32 s37, s21, 3
	s_mul_i32 s38, s21, 0xe0
	s_wait_alu 0xfffe
	s_or_b32 s39, s37, 8
	s_add_co_i32 s38, s37, s38
	s_add_co_i32 s20, s20, 32
	s_wait_alu 0xfffe
	v_mov_b32_e32 v40, s38
	s_addk_co_i32 s38, 0xe8
	ds_load_b128 v[20:23], v40
	ds_load_b128 v[24:27], v40 offset:16
	s_wait_alu 0xfffe
	s_sub_co_i32 s38, s38, s39
	s_wait_alu 0xfffe
	s_add_co_i32 s37, s38, s37
	s_wait_dscnt 0x1
	v_div_scale_f64 v[28:29], null, v[20:21], v[20:21], v[0:1]
	v_div_scale_f64 v[34:35], vcc_lo, v[0:1], v[20:21], v[0:1]
	s_delay_alu instid0(VALU_DEP_2) | instskip(NEXT) | instid1(TRANS32_DEP_1)
	v_rcp_f64_e32 v[30:31], v[28:29]
	v_fma_f64 v[32:33], -v[28:29], v[30:31], 1.0
	s_delay_alu instid0(VALU_DEP_1) | instskip(NEXT) | instid1(VALU_DEP_1)
	v_fma_f64 v[30:31], v[30:31], v[32:33], v[30:31]
	v_fma_f64 v[32:33], -v[28:29], v[30:31], 1.0
	s_delay_alu instid0(VALU_DEP_1) | instskip(NEXT) | instid1(VALU_DEP_1)
	v_fma_f64 v[30:31], v[30:31], v[32:33], v[30:31]
	v_mul_f64_e32 v[32:33], v[34:35], v[30:31]
	s_delay_alu instid0(VALU_DEP_1) | instskip(SKIP_1) | instid1(VALU_DEP_1)
	v_fma_f64 v[28:29], -v[28:29], v[32:33], v[34:35]
	s_wait_alu 0xfffd
	v_div_fmas_f64 v[28:29], v[28:29], v[30:31], v[32:33]
	s_delay_alu instid0(VALU_DEP_1) | instskip(NEXT) | instid1(VALU_DEP_1)
	v_div_fixup_f64 v[28:29], v[28:29], v[20:21], v[0:1]
	v_fma_f64 v[30:31], -v[28:29], v[22:23], v[2:3]
	ds_load_2addr_b64 v[0:3], v40 offset0:29 offset1:30
	ds_load_b128 v[20:23], v40 offset:464
	s_wait_dscnt 0x2
	v_fma_f64 v[11:12], -v[28:29], v[24:25], v[11:12]
	v_fma_f64 v[5:6], -v[28:29], v[26:27], v[5:6]
	s_wait_dscnt 0x1
	v_div_scale_f64 v[32:33], null, v[0:1], v[0:1], v[30:31]
	v_div_scale_f64 v[38:39], vcc_lo, v[30:31], v[0:1], v[30:31]
	s_delay_alu instid0(VALU_DEP_2) | instskip(NEXT) | instid1(TRANS32_DEP_1)
	v_rcp_f64_e32 v[34:35], v[32:33]
	v_fma_f64 v[36:37], -v[32:33], v[34:35], 1.0
	s_delay_alu instid0(VALU_DEP_1) | instskip(NEXT) | instid1(VALU_DEP_1)
	v_fma_f64 v[34:35], v[34:35], v[36:37], v[34:35]
	v_fma_f64 v[36:37], -v[32:33], v[34:35], 1.0
	s_delay_alu instid0(VALU_DEP_1) | instskip(NEXT) | instid1(VALU_DEP_1)
	v_fma_f64 v[34:35], v[34:35], v[36:37], v[34:35]
	v_mul_f64_e32 v[36:37], v[38:39], v[34:35]
	s_delay_alu instid0(VALU_DEP_1) | instskip(SKIP_1) | instid1(VALU_DEP_1)
	v_fma_f64 v[32:33], -v[32:33], v[36:37], v[38:39]
	s_wait_alu 0xfffd
	v_div_fmas_f64 v[32:33], v[32:33], v[34:35], v[36:37]
	s_delay_alu instid0(VALU_DEP_1) | instskip(NEXT) | instid1(VALU_DEP_1)
	v_div_fixup_f64 v[0:1], v[32:33], v[0:1], v[30:31]
	v_fma_f64 v[2:3], -v[0:1], v[2:3], v[11:12]
	s_wait_dscnt 0x0
	s_delay_alu instid0(VALU_DEP_1) | instskip(SKIP_1) | instid1(VALU_DEP_2)
	v_div_scale_f64 v[11:12], null, v[20:21], v[20:21], v[2:3]
	v_div_scale_f64 v[32:33], vcc_lo, v[2:3], v[20:21], v[2:3]
	v_rcp_f64_e32 v[24:25], v[11:12]
	s_delay_alu instid0(TRANS32_DEP_1) | instskip(NEXT) | instid1(VALU_DEP_1)
	v_fma_f64 v[30:31], -v[11:12], v[24:25], 1.0
	v_fma_f64 v[24:25], v[24:25], v[30:31], v[24:25]
	s_delay_alu instid0(VALU_DEP_1) | instskip(NEXT) | instid1(VALU_DEP_1)
	v_fma_f64 v[30:31], -v[11:12], v[24:25], 1.0
	v_fma_f64 v[24:25], v[24:25], v[30:31], v[24:25]
	s_delay_alu instid0(VALU_DEP_1) | instskip(NEXT) | instid1(VALU_DEP_1)
	v_mul_f64_e32 v[30:31], v[32:33], v[24:25]
	v_fma_f64 v[11:12], -v[11:12], v[30:31], v[32:33]
	s_wait_alu 0xfffd
	s_delay_alu instid0(VALU_DEP_1)
	v_div_fmas_f64 v[11:12], v[11:12], v[24:25], v[30:31]
	s_wait_alu 0xfffe
	v_mov_b32_e32 v24, s37
	s_add_co_i32 s37, s21, 4
	s_add_co_i32 s21, s21, 7
	ds_load_b64 v[24:25], v24 offset:24
	ds_load_b64 v[26:27], v40 offset:696
	s_wait_alu 0xfffe
	s_cmp_ge_i32 s21, s1
	ds_store_2addr_b64 v4, v[28:29], v[0:1] offset1:28
	s_wait_dscnt 0x2
	v_fma_f64 v[5:6], -v[0:1], v[24:25], v[5:6]
	v_div_fixup_f64 v[2:3], v[11:12], v[20:21], v[2:3]
	s_delay_alu instid0(VALU_DEP_1) | instskip(SKIP_1) | instid1(VALU_DEP_1)
	v_fma_f64 v[5:6], -v[2:3], v[22:23], v[5:6]
	s_wait_dscnt 0x1
	v_div_scale_f64 v[11:12], null, v[26:27], v[26:27], v[5:6]
	s_delay_alu instid0(VALU_DEP_1) | instskip(NEXT) | instid1(TRANS32_DEP_1)
	v_rcp_f64_e32 v[20:21], v[11:12]
	v_fma_f64 v[22:23], -v[11:12], v[20:21], 1.0
	s_delay_alu instid0(VALU_DEP_1) | instskip(NEXT) | instid1(VALU_DEP_1)
	v_fma_f64 v[20:21], v[20:21], v[22:23], v[20:21]
	v_fma_f64 v[22:23], -v[11:12], v[20:21], 1.0
	s_delay_alu instid0(VALU_DEP_1) | instskip(SKIP_1) | instid1(VALU_DEP_1)
	v_fma_f64 v[20:21], v[20:21], v[22:23], v[20:21]
	v_div_scale_f64 v[22:23], vcc_lo, v[5:6], v[26:27], v[5:6]
	v_mul_f64_e32 v[24:25], v[22:23], v[20:21]
	s_delay_alu instid0(VALU_DEP_1) | instskip(SKIP_1) | instid1(VALU_DEP_1)
	v_fma_f64 v[11:12], -v[11:12], v[24:25], v[22:23]
	s_wait_alu 0xfffd
	v_div_fmas_f64 v[11:12], v[11:12], v[20:21], v[24:25]
	s_delay_alu instid0(VALU_DEP_1)
	v_div_fixup_f64 v[5:6], v[11:12], v[26:27], v[5:6]
	ds_store_b64 v4, v[2:3] offset:448
	ds_store_b64 v7, v[5:6]
	s_cbranch_scc1 .LBB101_20
; %bb.19:                               ;   in Loop: Header=BB101_16 Depth=2
	s_mov_b32 s21, s37
	s_branch .LBB101_16
.LBB101_20:                             ;   in Loop: Header=BB101_3 Depth=1
	s_cmp_ge_i32 s37, s1
	s_cbranch_scc1 .LBB101_25
; %bb.21:                               ;   in Loop: Header=BB101_3 Depth=1
	s_lshl_b32 s20, s37, 3
	s_branch .LBB101_23
.LBB101_22:                             ;   in Loop: Header=BB101_23 Depth=2
	s_lshl_b32 s38, s37, 3
	s_add_co_i32 s37, s37, 1
	s_wait_alu 0xfffe
	s_add_co_i32 s21, s38, s21
	s_add_co_i32 s20, s20, 8
	s_wait_alu 0xfffe
	v_mov_b32_e32 v3, s21
	s_cmp_ge_i32 s37, s1
	ds_load_b64 v[3:4], v3
	s_wait_dscnt 0x0
	v_div_scale_f64 v[5:6], null, v[3:4], v[3:4], v[0:1]
	s_delay_alu instid0(VALU_DEP_1) | instskip(NEXT) | instid1(TRANS32_DEP_1)
	v_rcp_f64_e32 v[11:12], v[5:6]
	v_fma_f64 v[20:21], -v[5:6], v[11:12], 1.0
	s_delay_alu instid0(VALU_DEP_1) | instskip(NEXT) | instid1(VALU_DEP_1)
	v_fma_f64 v[11:12], v[11:12], v[20:21], v[11:12]
	v_fma_f64 v[20:21], -v[5:6], v[11:12], 1.0
	s_delay_alu instid0(VALU_DEP_1) | instskip(SKIP_1) | instid1(VALU_DEP_1)
	v_fma_f64 v[11:12], v[11:12], v[20:21], v[11:12]
	v_div_scale_f64 v[20:21], vcc_lo, v[0:1], v[3:4], v[0:1]
	v_mul_f64_e32 v[22:23], v[20:21], v[11:12]
	s_delay_alu instid0(VALU_DEP_1) | instskip(SKIP_1) | instid1(VALU_DEP_1)
	v_fma_f64 v[5:6], -v[5:6], v[22:23], v[20:21]
	s_wait_alu 0xfffd
	v_div_fmas_f64 v[5:6], v[5:6], v[11:12], v[22:23]
	s_delay_alu instid0(VALU_DEP_1)
	v_div_fixup_f64 v[0:1], v[5:6], v[3:4], v[0:1]
	ds_store_b64 v2, v[0:1]
	s_cbranch_scc1 .LBB101_25
.LBB101_23:                             ;   Parent Loop BB101_3 Depth=1
                                        ; =>  This Loop Header: Depth=2
                                        ;       Child Loop BB101_24 Depth 3
	s_mul_i32 s21, s37, 0xe0
	s_cmp_eq_u32 s37, 0
	s_wait_alu 0xfffe
	v_dual_mov_b32 v3, v10 :: v_dual_add_nc_u32 v2, s21, v10
	s_mov_b32 s38, s20
	s_mov_b32 s39, s37
	ds_load_b64 v[0:1], v2
	s_cbranch_scc1 .LBB101_22
.LBB101_24:                             ;   Parent Loop BB101_3 Depth=1
                                        ;     Parent Loop BB101_23 Depth=2
                                        ; =>    This Inner Loop Header: Depth=3
	s_wait_alu 0xfffe
	v_mov_b32_e32 v6, s38
	s_add_co_i32 s39, s39, -1
	s_addk_co_i32 s38, 0xe0
	s_wait_alu 0xfffe
	s_cmp_eq_u32 s39, 0
	ds_load_b64 v[4:5], v3
	ds_load_b64 v[6:7], v6
	v_add_nc_u32_e32 v3, 0xe0, v3
	s_wait_dscnt 0x0
	v_fma_f64 v[0:1], -v[4:5], v[6:7], v[0:1]
	s_cbranch_scc0 .LBB101_24
	s_branch .LBB101_22
.LBB101_25:                             ;   in Loop: Header=BB101_3 Depth=1
	s_mov_b32 s20, 0
.LBB101_26:                             ;   in Loop: Header=BB101_3 Depth=1
	s_wait_alu 0xfffe
	s_and_b32 vcc_lo, exec_lo, s20
	s_wait_alu 0xfffe
	s_cbranch_vccz .LBB101_46
; %bb.27:                               ;   in Loop: Header=BB101_3 Depth=1
	s_mov_b32 s37, s24
	s_and_not1_b32 vcc_lo, exec_lo, s28
	s_mov_b32 s20, s30
	s_mov_b32 s21, s24
	s_wait_alu 0xfffe
	s_cbranch_vccnz .LBB101_33
.LBB101_28:                             ;   Parent Loop BB101_3 Depth=1
                                        ; =>  This Loop Header: Depth=2
                                        ;       Child Loop BB101_29 Depth 3
	s_wait_alu 0xfffe
	s_mul_i32 s38, s21, 0xe0
	s_mov_b32 s39, s20
	s_wait_alu 0xfffe
	v_dual_mov_b32 v22, v15 :: v_dual_add_nc_u32 v11, s38, v10
	s_add_co_i32 s37, s38, 0xfffffd60
	s_cmp_le_i32 s24, s21
	s_wait_alu 0xfffe
	v_add_nc_u32_e32 v21, s37, v10
	v_add_nc_u32_e32 v12, 0xffffff20, v11
	;; [unrolled: 1-line block ×3, first 2 shown]
	s_mov_b32 s40, s24
	ds_load_b64 v[6:7], v11
	ds_load_b64 v[4:5], v12
	;; [unrolled: 1-line block ×4, first 2 shown]
	s_cbranch_scc1 .LBB101_30
.LBB101_29:                             ;   Parent Loop BB101_3 Depth=1
                                        ;     Parent Loop BB101_28 Depth=2
                                        ; =>    This Inner Loop Header: Depth=3
	s_wait_alu 0xfffe
	v_mov_b32_e32 v27, s39
	s_add_co_i32 s40, s40, -1
	s_addk_co_i32 s39, 0xff20
	s_wait_alu 0xfffe
	s_cmp_le_i32 s40, s21
	ds_load_b64 v[31:32], v22
	ds_load_2addr_b64 v[23:26], v27 offset0:2 offset1:3
	ds_load_2addr_b64 v[27:30], v27 offset1:1
	v_add_nc_u32_e32 v22, 0xffffff20, v22
	s_wait_dscnt 0x1
	v_fma_f64 v[6:7], -v[31:32], v[25:26], v[6:7]
	v_fma_f64 v[4:5], -v[31:32], v[23:24], v[4:5]
	s_wait_dscnt 0x0
	v_fma_f64 v[2:3], -v[31:32], v[29:30], v[2:3]
	v_fma_f64 v[0:1], -v[31:32], v[27:28], v[0:1]
	s_cbranch_scc0 .LBB101_29
.LBB101_30:                             ;   in Loop: Header=BB101_28 Depth=2
	s_add_co_i32 s39, s21, -3
; %bb.31:                               ;   in Loop: Header=BB101_28 Depth=2
	s_lshl_b32 s40, s21, 3
	s_wait_alu 0xfffe
	s_lshl_b32 s39, s39, 3
	s_add_co_i32 s41, s40, s38
	s_wait_alu 0xfffe
	s_add_co_i32 s38, s38, s39
	s_add_co_i32 s42, s41, -8
	s_wait_alu 0xfffe
	s_add_co_i32 s39, s38, 0xffffff20
	v_mov_b32_e32 v22, s42
	s_add_co_i32 s42, s41, 0xffffff18
	s_sub_co_i32 s41, s41, 24
	s_wait_alu 0xfffe
	v_mov_b32_e32 v26, s42
	s_addk_co_i32 s38, 0xfe40
	ds_load_2addr_b64 v[22:25], v22 offset1:1
	s_add_co_i32 s40, s40, s37
	s_sub_co_i32 s20, s20, 32
	ds_load_b64 v[26:27], v26
	s_wait_alu 0xfffe
	s_sub_co_i32 s37, s40, 24
	s_wait_dscnt 0x1
	v_div_scale_f64 v[28:29], null, v[24:25], v[24:25], v[6:7]
	v_div_scale_f64 v[34:35], vcc_lo, v[6:7], v[24:25], v[6:7]
	s_delay_alu instid0(VALU_DEP_2) | instskip(NEXT) | instid1(TRANS32_DEP_1)
	v_rcp_f64_e32 v[30:31], v[28:29]
	v_fma_f64 v[32:33], -v[28:29], v[30:31], 1.0
	s_delay_alu instid0(VALU_DEP_1) | instskip(NEXT) | instid1(VALU_DEP_1)
	v_fma_f64 v[30:31], v[30:31], v[32:33], v[30:31]
	v_fma_f64 v[32:33], -v[28:29], v[30:31], 1.0
	s_delay_alu instid0(VALU_DEP_1) | instskip(NEXT) | instid1(VALU_DEP_1)
	v_fma_f64 v[30:31], v[30:31], v[32:33], v[30:31]
	v_mul_f64_e32 v[32:33], v[34:35], v[30:31]
	s_delay_alu instid0(VALU_DEP_1) | instskip(SKIP_1) | instid1(VALU_DEP_1)
	v_fma_f64 v[28:29], -v[28:29], v[32:33], v[34:35]
	s_wait_alu 0xfffd
	v_div_fmas_f64 v[28:29], v[28:29], v[30:31], v[32:33]
	s_delay_alu instid0(VALU_DEP_1) | instskip(NEXT) | instid1(VALU_DEP_1)
	v_div_fixup_f64 v[28:29], v[28:29], v[24:25], v[6:7]
	v_fma_f64 v[30:31], -v[28:29], v[22:23], v[4:5]
	s_wait_dscnt 0x0
	s_delay_alu instid0(VALU_DEP_1) | instskip(SKIP_1) | instid1(VALU_DEP_2)
	v_div_scale_f64 v[4:5], null, v[26:27], v[26:27], v[30:31]
	v_div_scale_f64 v[24:25], vcc_lo, v[30:31], v[26:27], v[30:31]
	v_rcp_f64_e32 v[6:7], v[4:5]
	s_delay_alu instid0(TRANS32_DEP_1) | instskip(NEXT) | instid1(VALU_DEP_1)
	v_fma_f64 v[22:23], -v[4:5], v[6:7], 1.0
	v_fma_f64 v[6:7], v[6:7], v[22:23], v[6:7]
	s_delay_alu instid0(VALU_DEP_1) | instskip(NEXT) | instid1(VALU_DEP_1)
	v_fma_f64 v[22:23], -v[4:5], v[6:7], 1.0
	v_fma_f64 v[6:7], v[6:7], v[22:23], v[6:7]
	s_delay_alu instid0(VALU_DEP_1) | instskip(NEXT) | instid1(VALU_DEP_1)
	v_mul_f64_e32 v[22:23], v[24:25], v[6:7]
	v_fma_f64 v[4:5], -v[4:5], v[22:23], v[24:25]
	s_wait_alu 0xfffd
	s_delay_alu instid0(VALU_DEP_1)
	v_div_fmas_f64 v[32:33], v[4:5], v[6:7], v[22:23]
	v_mov_b32_e32 v4, s41
	v_mov_b32_e32 v22, s39
	ds_load_2addr_b64 v[4:7], v4 offset1:1
	ds_load_2addr_b64 v[22:25], v22 offset1:1
	s_wait_dscnt 0x1
	v_fma_f64 v[2:3], -v[28:29], v[6:7], v[2:3]
	v_fma_f64 v[0:1], -v[28:29], v[4:5], v[0:1]
	v_div_fixup_f64 v[6:7], v[32:33], v[26:27], v[30:31]
	s_wait_alu 0xfffe
	v_mov_b32_e32 v30, s37
	s_add_co_i32 s37, s21, -4
	s_cmp_lt_i32 s21, 7
	ds_load_b64 v[30:31], v30
	s_wait_dscnt 0x1
	v_fma_f64 v[2:3], -v[6:7], v[24:25], v[2:3]
	v_mov_b32_e32 v24, s38
	v_fma_f64 v[0:1], -v[6:7], v[22:23], v[0:1]
	ds_load_2addr_b64 v[24:27], v24 offset1:1
	s_wait_dscnt 0x0
	v_div_scale_f64 v[32:33], null, v[26:27], v[26:27], v[2:3]
	v_div_scale_f64 v[38:39], vcc_lo, v[2:3], v[26:27], v[2:3]
	s_delay_alu instid0(VALU_DEP_2) | instskip(NEXT) | instid1(TRANS32_DEP_1)
	v_rcp_f64_e32 v[34:35], v[32:33]
	v_fma_f64 v[36:37], -v[32:33], v[34:35], 1.0
	s_delay_alu instid0(VALU_DEP_1) | instskip(NEXT) | instid1(VALU_DEP_1)
	v_fma_f64 v[34:35], v[34:35], v[36:37], v[34:35]
	v_fma_f64 v[36:37], -v[32:33], v[34:35], 1.0
	s_delay_alu instid0(VALU_DEP_1) | instskip(NEXT) | instid1(VALU_DEP_1)
	v_fma_f64 v[34:35], v[34:35], v[36:37], v[34:35]
	v_mul_f64_e32 v[36:37], v[38:39], v[34:35]
	s_delay_alu instid0(VALU_DEP_1) | instskip(SKIP_1) | instid1(VALU_DEP_1)
	v_fma_f64 v[32:33], -v[32:33], v[36:37], v[38:39]
	s_wait_alu 0xfffd
	v_div_fmas_f64 v[4:5], v[32:33], v[34:35], v[36:37]
	s_delay_alu instid0(VALU_DEP_1) | instskip(NEXT) | instid1(VALU_DEP_1)
	v_div_fixup_f64 v[2:3], v[4:5], v[26:27], v[2:3]
	v_fma_f64 v[0:1], -v[2:3], v[24:25], v[0:1]
	s_delay_alu instid0(VALU_DEP_1) | instskip(NEXT) | instid1(VALU_DEP_1)
	v_div_scale_f64 v[4:5], null, v[30:31], v[30:31], v[0:1]
	v_rcp_f64_e32 v[22:23], v[4:5]
	s_delay_alu instid0(TRANS32_DEP_1) | instskip(NEXT) | instid1(VALU_DEP_1)
	v_fma_f64 v[24:25], -v[4:5], v[22:23], 1.0
	v_fma_f64 v[22:23], v[22:23], v[24:25], v[22:23]
	s_delay_alu instid0(VALU_DEP_1) | instskip(NEXT) | instid1(VALU_DEP_1)
	v_fma_f64 v[24:25], -v[4:5], v[22:23], 1.0
	v_fma_f64 v[22:23], v[22:23], v[24:25], v[22:23]
	v_div_scale_f64 v[24:25], vcc_lo, v[0:1], v[30:31], v[0:1]
	s_delay_alu instid0(VALU_DEP_1) | instskip(NEXT) | instid1(VALU_DEP_1)
	v_mul_f64_e32 v[26:27], v[24:25], v[22:23]
	v_fma_f64 v[4:5], -v[4:5], v[26:27], v[24:25]
	s_wait_alu 0xfffd
	s_delay_alu instid0(VALU_DEP_1) | instskip(NEXT) | instid1(VALU_DEP_1)
	v_div_fmas_f64 v[4:5], v[4:5], v[22:23], v[26:27]
	v_div_fixup_f64 v[0:1], v[4:5], v[30:31], v[0:1]
	ds_store_b64 v11, v[28:29]
	ds_store_b64 v12, v[6:7]
	;; [unrolled: 1-line block ×4, first 2 shown]
	s_cbranch_scc1 .LBB101_33
; %bb.32:                               ;   in Loop: Header=BB101_28 Depth=2
	s_wait_alu 0xfffe
	s_mov_b32 s21, s37
	s_branch .LBB101_28
.LBB101_33:                             ;   in Loop: Header=BB101_3 Depth=1
	s_wait_alu 0xfffe
	s_cmp_lt_i32 s37, 0
	s_cbranch_scc1 .LBB101_46
; %bb.34:                               ;   in Loop: Header=BB101_3 Depth=1
	s_bitcmp1_b32 s37, 0
	s_cselect_b32 s20, -1, 0
	s_wait_alu 0xfffe
	s_and_b32 vcc_lo, exec_lo, s20
	s_mov_b32 s20, s37
	s_wait_alu 0xfffe
	s_cbranch_vccnz .LBB101_39
; %bb.35:                               ;   in Loop: Header=BB101_3 Depth=1
	s_mul_i32 s20, s37, 0xe0
	s_cmp_le_i32 s24, s37
	s_wait_alu 0xfffe
	v_add_nc_u32_e32 v2, s20, v10
	ds_load_b64 v[0:1], v2
	s_cbranch_scc1 .LBB101_38
; %bb.36:                               ;   in Loop: Header=BB101_3 Depth=1
	v_mov_b32_e32 v3, v15
	s_lshl_b32 s21, s37, 3
	s_mov_b32 s38, s24
	s_wait_alu 0xfffe
	s_add_co_i32 s21, s31, s21
.LBB101_37:                             ;   Parent Loop BB101_3 Depth=1
                                        ; =>  This Inner Loop Header: Depth=2
	s_wait_alu 0xfffe
	v_mov_b32_e32 v6, s21
	s_add_co_i32 s38, s38, -1
	s_addk_co_i32 s21, 0xff20
	s_wait_alu 0xfffe
	s_cmp_gt_i32 s38, s37
	ds_load_b64 v[4:5], v3
	ds_load_b64 v[6:7], v6
	v_add_nc_u32_e32 v3, 0xffffff20, v3
	s_wait_dscnt 0x0
	v_fma_f64 v[0:1], -v[4:5], v[6:7], v[0:1]
	s_cbranch_scc1 .LBB101_37
.LBB101_38:                             ;   in Loop: Header=BB101_3 Depth=1
	s_lshl_b32 s21, s37, 3
	s_wait_alu 0xfffe
	s_add_co_i32 s20, s21, s20
	s_wait_alu 0xfffe
	v_mov_b32_e32 v3, s20
	s_add_co_i32 s20, s37, -1
	ds_load_b64 v[3:4], v3
	s_wait_dscnt 0x0
	v_div_scale_f64 v[5:6], null, v[3:4], v[3:4], v[0:1]
	s_delay_alu instid0(VALU_DEP_1) | instskip(NEXT) | instid1(TRANS32_DEP_1)
	v_rcp_f64_e32 v[11:12], v[5:6]
	v_fma_f64 v[20:21], -v[5:6], v[11:12], 1.0
	s_delay_alu instid0(VALU_DEP_1) | instskip(NEXT) | instid1(VALU_DEP_1)
	v_fma_f64 v[11:12], v[11:12], v[20:21], v[11:12]
	v_fma_f64 v[20:21], -v[5:6], v[11:12], 1.0
	s_delay_alu instid0(VALU_DEP_1) | instskip(SKIP_1) | instid1(VALU_DEP_1)
	v_fma_f64 v[11:12], v[11:12], v[20:21], v[11:12]
	v_div_scale_f64 v[20:21], vcc_lo, v[0:1], v[3:4], v[0:1]
	v_mul_f64_e32 v[22:23], v[20:21], v[11:12]
	s_delay_alu instid0(VALU_DEP_1) | instskip(SKIP_1) | instid1(VALU_DEP_1)
	v_fma_f64 v[5:6], -v[5:6], v[22:23], v[20:21]
	s_wait_alu 0xfffd
	v_div_fmas_f64 v[5:6], v[5:6], v[11:12], v[22:23]
	s_delay_alu instid0(VALU_DEP_1)
	v_div_fixup_f64 v[0:1], v[5:6], v[3:4], v[0:1]
	ds_store_b64 v2, v[0:1]
.LBB101_39:                             ;   in Loop: Header=BB101_3 Depth=1
	s_cmp_eq_u32 s37, 0
	s_cbranch_scc1 .LBB101_46
; %bb.40:                               ;   in Loop: Header=BB101_3 Depth=1
	s_wait_alu 0xfffe
	s_lshl_b32 s37, s20, 3
	s_wait_alu 0xfffe
	s_add_co_i32 s21, s31, s37
	s_add_co_i32 s37, s33, s37
	s_branch .LBB101_42
.LBB101_41:                             ;   in Loop: Header=BB101_42 Depth=2
	s_addk_co_i32 s38, 0xff18
	s_add_co_i32 s21, s21, -16
	s_wait_alu 0xfffe
	v_mov_b32_e32 v0, s38
	s_add_co_i32 s38, s20, -2
	s_add_co_i32 s37, s37, -16
	s_cmp_lt_i32 s20, 2
	s_wait_alu 0xfffe
	s_mov_b32 s20, s38
	ds_load_b64 v[0:1], v0
	s_wait_dscnt 0x0
	v_div_scale_f64 v[6:7], null, v[0:1], v[0:1], v[2:3]
	s_delay_alu instid0(VALU_DEP_1) | instskip(NEXT) | instid1(TRANS32_DEP_1)
	v_rcp_f64_e32 v[11:12], v[6:7]
	v_fma_f64 v[20:21], -v[6:7], v[11:12], 1.0
	s_delay_alu instid0(VALU_DEP_1) | instskip(NEXT) | instid1(VALU_DEP_1)
	v_fma_f64 v[11:12], v[11:12], v[20:21], v[11:12]
	v_fma_f64 v[20:21], -v[6:7], v[11:12], 1.0
	s_delay_alu instid0(VALU_DEP_1) | instskip(SKIP_1) | instid1(VALU_DEP_1)
	v_fma_f64 v[11:12], v[11:12], v[20:21], v[11:12]
	v_div_scale_f64 v[20:21], vcc_lo, v[2:3], v[0:1], v[2:3]
	v_mul_f64_e32 v[22:23], v[20:21], v[11:12]
	s_delay_alu instid0(VALU_DEP_1) | instskip(SKIP_1) | instid1(VALU_DEP_1)
	v_fma_f64 v[6:7], -v[6:7], v[22:23], v[20:21]
	s_wait_alu 0xfffd
	v_div_fmas_f64 v[6:7], v[6:7], v[11:12], v[22:23]
	s_delay_alu instid0(VALU_DEP_1)
	v_div_fixup_f64 v[0:1], v[6:7], v[0:1], v[2:3]
	ds_store_b64 v5, v[0:1]
	s_cbranch_scc1 .LBB101_46
.LBB101_42:                             ;   Parent Loop BB101_3 Depth=1
                                        ; =>  This Loop Header: Depth=2
                                        ;       Child Loop BB101_43 Depth 3
                                        ;       Child Loop BB101_45 Depth 3
	s_wait_alu 0xfffe
	s_mul_i32 s39, s20, 0xe0
	v_mov_b32_e32 v2, v15
	s_wait_alu 0xfffe
	v_add_nc_u32_e32 v4, s39, v10
	s_cmp_le_i32 s24, s20
	s_mov_b32 s38, s21
	s_mov_b32 s40, s24
	ds_load_b64 v[0:1], v4
	s_cbranch_scc1 .LBB101_44
.LBB101_43:                             ;   Parent Loop BB101_3 Depth=1
                                        ;     Parent Loop BB101_42 Depth=2
                                        ; =>    This Inner Loop Header: Depth=3
	s_wait_alu 0xfffe
	v_mov_b32_e32 v3, s38
	s_add_co_i32 s40, s40, -1
	s_addk_co_i32 s38, 0xff20
	s_wait_alu 0xfffe
	s_cmp_le_i32 s40, s20
	ds_load_b64 v[5:6], v2
	ds_load_b64 v[11:12], v3
	v_add_nc_u32_e32 v2, 0xffffff20, v2
	s_wait_dscnt 0x0
	v_fma_f64 v[0:1], -v[5:6], v[11:12], v[0:1]
	s_cbranch_scc0 .LBB101_43
.LBB101_44:                             ;   in Loop: Header=BB101_42 Depth=2
	s_lshl_b32 s38, s20, 3
	s_mov_b32 s40, s1
	s_wait_alu 0xfffe
	s_add_co_i32 s38, s38, s39
	s_addk_co_i32 s39, 0xff20
	s_wait_alu 0xfffe
	v_dual_mov_b32 v2, s38 :: v_dual_add_nc_u32 v5, s39, v10
	s_cmp_le_i32 s1, s20
	s_mov_b32 s39, s37
	ds_load_b64 v[6:7], v2
	ds_load_b64 v[2:3], v5
	s_wait_dscnt 0x1
	v_div_scale_f64 v[11:12], null, v[6:7], v[6:7], v[0:1]
	s_delay_alu instid0(VALU_DEP_1) | instskip(NEXT) | instid1(TRANS32_DEP_1)
	v_rcp_f64_e32 v[20:21], v[11:12]
	v_fma_f64 v[22:23], -v[11:12], v[20:21], 1.0
	s_delay_alu instid0(VALU_DEP_1) | instskip(NEXT) | instid1(VALU_DEP_1)
	v_fma_f64 v[20:21], v[20:21], v[22:23], v[20:21]
	v_fma_f64 v[22:23], -v[11:12], v[20:21], 1.0
	s_delay_alu instid0(VALU_DEP_1) | instskip(SKIP_1) | instid1(VALU_DEP_1)
	v_fma_f64 v[20:21], v[20:21], v[22:23], v[20:21]
	v_div_scale_f64 v[22:23], vcc_lo, v[0:1], v[6:7], v[0:1]
	v_mul_f64_e32 v[24:25], v[22:23], v[20:21]
	s_delay_alu instid0(VALU_DEP_1) | instskip(SKIP_1) | instid1(VALU_DEP_1)
	v_fma_f64 v[11:12], -v[11:12], v[24:25], v[22:23]
	s_wait_alu 0xfffd
	v_div_fmas_f64 v[11:12], v[11:12], v[20:21], v[24:25]
	s_delay_alu instid0(VALU_DEP_1)
	v_div_fixup_f64 v[6:7], v[11:12], v[6:7], v[0:1]
	v_mov_b32_e32 v0, v15
	ds_store_b64 v4, v[6:7]
	s_cbranch_scc1 .LBB101_41
.LBB101_45:                             ;   Parent Loop BB101_3 Depth=1
                                        ;     Parent Loop BB101_42 Depth=2
                                        ; =>    This Inner Loop Header: Depth=3
	s_wait_alu 0xfffe
	v_mov_b32_e32 v1, s39
	s_add_co_i32 s40, s40, -1
	s_addk_co_i32 s39, 0xff20
	s_wait_alu 0xfffe
	s_cmp_gt_i32 s40, s20
	ds_load_b64 v[6:7], v0
	ds_load_b64 v[11:12], v1
	v_add_nc_u32_e32 v0, 0xffffff20, v0
	s_wait_dscnt 0x0
	v_fma_f64 v[2:3], -v[6:7], v[11:12], v[2:3]
	s_cbranch_scc1 .LBB101_45
	s_branch .LBB101_41
.LBB101_46:                             ;   in Loop: Header=BB101_3 Depth=1
	s_mov_b32 s20, 0
.LBB101_47:                             ;   in Loop: Header=BB101_3 Depth=1
	s_wait_alu 0xfffe
	s_and_not1_b32 vcc_lo, exec_lo, s20
	s_wait_alu 0xfffe
	s_cbranch_vccnz .LBB101_66
; %bb.48:                               ;   in Loop: Header=BB101_3 Depth=1
	s_mov_b32 s37, s24
	s_and_not1_b32 vcc_lo, exec_lo, s28
	s_mov_b32 s20, s34
	s_mov_b32 s21, s24
	s_wait_alu 0xfffe
	s_cbranch_vccnz .LBB101_53
.LBB101_49:                             ;   Parent Loop BB101_3 Depth=1
                                        ; =>  This Loop Header: Depth=2
                                        ;       Child Loop BB101_50 Depth 3
	s_wait_alu 0xfffe
	s_mul_i32 s37, s21, 28
	s_cmp_le_i32 s24, s21
	s_wait_alu 0xfffe
	v_lshl_add_u32 v11, s37, 3, v10
	s_mov_b32 s38, s20
	s_mov_b32 s39, s24
	s_delay_alu instid0(VALU_DEP_1)
	v_dual_mov_b32 v22, v15 :: v_dual_add_nc_u32 v21, 0xfffffd60, v11
	v_add_nc_u32_e32 v12, 0xffffff20, v11
	v_add_nc_u32_e32 v20, 0xfffffe40, v11
	ds_load_b64 v[6:7], v11
	ds_load_b64 v[4:5], v12
	;; [unrolled: 1-line block ×4, first 2 shown]
	s_cbranch_scc1 .LBB101_51
.LBB101_50:                             ;   Parent Loop BB101_3 Depth=1
                                        ;     Parent Loop BB101_49 Depth=2
                                        ; =>    This Inner Loop Header: Depth=3
	s_wait_alu 0xfffe
	v_mov_b32_e32 v27, s38
	s_add_co_i32 s39, s39, -1
	s_add_co_i32 s38, s38, -8
	s_wait_alu 0xfffe
	s_cmp_le_i32 s39, s21
	ds_load_b64 v[31:32], v22
	ds_load_2addr_b64 v[23:26], v27 offset0:56 offset1:84
	ds_load_2addr_b64 v[27:30], v27 offset1:28
	v_add_nc_u32_e32 v22, 0xffffff20, v22
	s_wait_dscnt 0x1
	v_fma_f64 v[6:7], -v[31:32], v[25:26], v[6:7]
	v_fma_f64 v[4:5], -v[31:32], v[23:24], v[4:5]
	s_wait_dscnt 0x0
	v_fma_f64 v[2:3], -v[31:32], v[29:30], v[2:3]
	v_fma_f64 v[0:1], -v[31:32], v[27:28], v[0:1]
	s_cbranch_scc0 .LBB101_50
.LBB101_51:                             ;   in Loop: Header=BB101_49 Depth=2
	s_mul_i32 s38, s21, 0xe8
	s_lshl_b32 s37, s37, 3
	s_wait_alu 0xfffe
	v_mov_b32_e32 v22, s38
	s_lshl_b32 s38, s21, 3
	s_addk_co_i32 s20, 0xfc80
	s_wait_alu 0xfffe
	s_add_co_i32 s37, s37, s38
	s_wait_alu 0xfffe
	s_add_co_i32 s38, s37, 0xffffff18
	ds_load_b64 v[26:27], v22
	s_wait_alu 0xfffe
	v_mov_b32_e32 v22, s38
	s_add_co_i32 s38, s37, 0xfffffe40
	ds_load_2addr_b64 v[22:25], v22 offset1:1
	s_wait_dscnt 0x1
	v_div_scale_f64 v[28:29], null, v[26:27], v[26:27], v[6:7]
	v_div_scale_f64 v[34:35], vcc_lo, v[6:7], v[26:27], v[6:7]
	s_delay_alu instid0(VALU_DEP_2) | instskip(NEXT) | instid1(TRANS32_DEP_1)
	v_rcp_f64_e32 v[30:31], v[28:29]
	v_fma_f64 v[32:33], -v[28:29], v[30:31], 1.0
	s_delay_alu instid0(VALU_DEP_1) | instskip(NEXT) | instid1(VALU_DEP_1)
	v_fma_f64 v[30:31], v[30:31], v[32:33], v[30:31]
	v_fma_f64 v[32:33], -v[28:29], v[30:31], 1.0
	s_delay_alu instid0(VALU_DEP_1) | instskip(NEXT) | instid1(VALU_DEP_1)
	v_fma_f64 v[30:31], v[30:31], v[32:33], v[30:31]
	v_mul_f64_e32 v[32:33], v[34:35], v[30:31]
	s_delay_alu instid0(VALU_DEP_1) | instskip(SKIP_1) | instid1(VALU_DEP_1)
	v_fma_f64 v[28:29], -v[28:29], v[32:33], v[34:35]
	s_wait_alu 0xfffd
	v_div_fmas_f64 v[28:29], v[28:29], v[30:31], v[32:33]
	s_delay_alu instid0(VALU_DEP_1) | instskip(SKIP_1) | instid1(VALU_DEP_1)
	v_div_fixup_f64 v[30:31], v[28:29], v[26:27], v[6:7]
	s_wait_dscnt 0x0
	v_fma_f64 v[24:25], -v[30:31], v[24:25], v[4:5]
	s_delay_alu instid0(VALU_DEP_1) | instskip(SKIP_1) | instid1(VALU_DEP_2)
	v_div_scale_f64 v[4:5], null, v[22:23], v[22:23], v[24:25]
	v_div_scale_f64 v[28:29], vcc_lo, v[24:25], v[22:23], v[24:25]
	v_rcp_f64_e32 v[6:7], v[4:5]
	s_delay_alu instid0(TRANS32_DEP_1) | instskip(NEXT) | instid1(VALU_DEP_1)
	v_fma_f64 v[26:27], -v[4:5], v[6:7], 1.0
	v_fma_f64 v[6:7], v[6:7], v[26:27], v[6:7]
	s_delay_alu instid0(VALU_DEP_1) | instskip(NEXT) | instid1(VALU_DEP_1)
	v_fma_f64 v[26:27], -v[4:5], v[6:7], 1.0
	v_fma_f64 v[6:7], v[6:7], v[26:27], v[6:7]
	s_delay_alu instid0(VALU_DEP_1) | instskip(NEXT) | instid1(VALU_DEP_1)
	v_mul_f64_e32 v[26:27], v[28:29], v[6:7]
	v_fma_f64 v[4:5], -v[4:5], v[26:27], v[28:29]
	s_wait_alu 0xfffd
	s_delay_alu instid0(VALU_DEP_1)
	v_div_fmas_f64 v[26:27], v[4:5], v[6:7], v[26:27]
	s_wait_alu 0xfffe
	v_mov_b32_e32 v4, s38
	s_add_co_i32 s38, s37, 0xfffffe30
	ds_load_b64 v[28:29], v4
	s_wait_alu 0xfffe
	v_mov_b32_e32 v4, s38
	s_add_co_i32 s38, s37, 0xfffffd58
	s_addk_co_i32 s37, 0xfd48
	ds_load_2addr_b64 v[4:7], v4 offset1:1
	s_wait_dscnt 0x1
	v_fma_f64 v[2:3], -v[30:31], v[28:29], v[2:3]
	v_div_fixup_f64 v[32:33], v[26:27], v[22:23], v[24:25]
	s_wait_dscnt 0x0
	s_delay_alu instid0(VALU_DEP_1) | instskip(NEXT) | instid1(VALU_DEP_1)
	v_fma_f64 v[2:3], -v[32:33], v[6:7], v[2:3]
	v_div_scale_f64 v[6:7], null, v[4:5], v[4:5], v[2:3]
	v_div_scale_f64 v[26:27], vcc_lo, v[2:3], v[4:5], v[2:3]
	s_delay_alu instid0(VALU_DEP_2) | instskip(NEXT) | instid1(TRANS32_DEP_1)
	v_rcp_f64_e32 v[22:23], v[6:7]
	v_fma_f64 v[24:25], -v[6:7], v[22:23], 1.0
	s_delay_alu instid0(VALU_DEP_1) | instskip(NEXT) | instid1(VALU_DEP_1)
	v_fma_f64 v[22:23], v[22:23], v[24:25], v[22:23]
	v_fma_f64 v[24:25], -v[6:7], v[22:23], 1.0
	s_delay_alu instid0(VALU_DEP_1) | instskip(SKIP_4) | instid1(VALU_DEP_1)
	v_fma_f64 v[34:35], v[22:23], v[24:25], v[22:23]
	s_wait_alu 0xfffe
	v_mov_b32_e32 v22, s38
	ds_load_2addr_b64 v[22:25], v22 offset1:1
	v_mul_f64_e32 v[36:37], v[26:27], v[34:35]
	v_fma_f64 v[6:7], -v[6:7], v[36:37], v[26:27]
	v_mov_b32_e32 v26, s37
	s_add_co_i32 s37, s21, -4
	s_cmp_lt_i32 s21, 7
	ds_load_2addr_b64 v[26:29], v26 offset1:1
	s_wait_dscnt 0x1
	v_fma_f64 v[0:1], -v[30:31], v[24:25], v[0:1]
	s_wait_alu 0xfffd
	v_div_fmas_f64 v[6:7], v[6:7], v[34:35], v[36:37]
	s_delay_alu instid0(VALU_DEP_2) | instskip(NEXT) | instid1(VALU_DEP_2)
	v_fma_f64 v[0:1], -v[32:33], v[22:23], v[0:1]
	v_div_fixup_f64 v[2:3], v[6:7], v[4:5], v[2:3]
	s_wait_dscnt 0x0
	s_delay_alu instid0(VALU_DEP_1) | instskip(NEXT) | instid1(VALU_DEP_1)
	v_fma_f64 v[0:1], -v[2:3], v[28:29], v[0:1]
	v_div_scale_f64 v[4:5], null, v[26:27], v[26:27], v[0:1]
	s_delay_alu instid0(VALU_DEP_1) | instskip(NEXT) | instid1(TRANS32_DEP_1)
	v_rcp_f64_e32 v[6:7], v[4:5]
	v_fma_f64 v[22:23], -v[4:5], v[6:7], 1.0
	s_delay_alu instid0(VALU_DEP_1) | instskip(NEXT) | instid1(VALU_DEP_1)
	v_fma_f64 v[6:7], v[6:7], v[22:23], v[6:7]
	v_fma_f64 v[22:23], -v[4:5], v[6:7], 1.0
	s_delay_alu instid0(VALU_DEP_1) | instskip(SKIP_1) | instid1(VALU_DEP_1)
	v_fma_f64 v[6:7], v[6:7], v[22:23], v[6:7]
	v_div_scale_f64 v[22:23], vcc_lo, v[0:1], v[26:27], v[0:1]
	v_mul_f64_e32 v[24:25], v[22:23], v[6:7]
	s_delay_alu instid0(VALU_DEP_1) | instskip(SKIP_1) | instid1(VALU_DEP_1)
	v_fma_f64 v[4:5], -v[4:5], v[24:25], v[22:23]
	s_wait_alu 0xfffd
	v_div_fmas_f64 v[4:5], v[4:5], v[6:7], v[24:25]
	s_delay_alu instid0(VALU_DEP_1)
	v_div_fixup_f64 v[0:1], v[4:5], v[26:27], v[0:1]
	ds_store_b64 v11, v[30:31]
	ds_store_b64 v12, v[32:33]
	;; [unrolled: 1-line block ×4, first 2 shown]
	s_cbranch_scc1 .LBB101_53
; %bb.52:                               ;   in Loop: Header=BB101_49 Depth=2
	s_wait_alu 0xfffe
	s_mov_b32 s21, s37
	s_branch .LBB101_49
.LBB101_53:                             ;   in Loop: Header=BB101_3 Depth=1
	s_wait_alu 0xfffe
	s_cmp_lt_i32 s37, 0
	s_cbranch_scc1 .LBB101_66
; %bb.54:                               ;   in Loop: Header=BB101_3 Depth=1
	s_bitcmp1_b32 s37, 0
	s_cselect_b32 s20, -1, 0
	s_wait_alu 0xfffe
	s_and_b32 vcc_lo, exec_lo, s20
	s_mov_b32 s20, s37
	s_wait_alu 0xfffe
	s_cbranch_vccnz .LBB101_59
; %bb.55:                               ;   in Loop: Header=BB101_3 Depth=1
	v_mad_co_u64_u32 v[0:1], null, 0xe0, s37, v[10:11]
	s_cmp_le_i32 s24, s37
	ds_load_b64 v[1:2], v0
	s_cbranch_scc1 .LBB101_58
; %bb.56:                               ;   in Loop: Header=BB101_3 Depth=1
	v_mov_b32_e32 v3, v15
	s_mul_i32 s20, s37, 0xe0
	s_mov_b32 s21, s24
	s_wait_alu 0xfffe
	s_add_co_i32 s20, s35, s20
.LBB101_57:                             ;   Parent Loop BB101_3 Depth=1
                                        ; =>  This Inner Loop Header: Depth=2
	s_wait_alu 0xfffe
	v_mov_b32_e32 v6, s20
	s_add_co_i32 s21, s21, -1
	s_add_co_i32 s20, s20, -8
	s_wait_alu 0xfffe
	s_cmp_gt_u32 s21, s37
	ds_load_b64 v[4:5], v3
	ds_load_b64 v[6:7], v6
	v_add_nc_u32_e32 v3, 0xffffff20, v3
	s_wait_dscnt 0x0
	v_fma_f64 v[1:2], -v[4:5], v[6:7], v[1:2]
	s_cbranch_scc1 .LBB101_57
.LBB101_58:                             ;   in Loop: Header=BB101_3 Depth=1
	s_mul_i32 s20, s37, 0xe8
	s_wait_alu 0xfffe
	v_mov_b32_e32 v3, s20
	s_add_co_i32 s20, s37, -1
	ds_load_b64 v[3:4], v3
	s_wait_dscnt 0x0
	v_div_scale_f64 v[5:6], null, v[3:4], v[3:4], v[1:2]
	s_delay_alu instid0(VALU_DEP_1) | instskip(NEXT) | instid1(TRANS32_DEP_1)
	v_rcp_f64_e32 v[11:12], v[5:6]
	v_fma_f64 v[20:21], -v[5:6], v[11:12], 1.0
	s_delay_alu instid0(VALU_DEP_1) | instskip(NEXT) | instid1(VALU_DEP_1)
	v_fma_f64 v[11:12], v[11:12], v[20:21], v[11:12]
	v_fma_f64 v[20:21], -v[5:6], v[11:12], 1.0
	s_delay_alu instid0(VALU_DEP_1) | instskip(SKIP_1) | instid1(VALU_DEP_1)
	v_fma_f64 v[11:12], v[11:12], v[20:21], v[11:12]
	v_div_scale_f64 v[20:21], vcc_lo, v[1:2], v[3:4], v[1:2]
	v_mul_f64_e32 v[22:23], v[20:21], v[11:12]
	s_delay_alu instid0(VALU_DEP_1) | instskip(SKIP_1) | instid1(VALU_DEP_1)
	v_fma_f64 v[5:6], -v[5:6], v[22:23], v[20:21]
	s_wait_alu 0xfffd
	v_div_fmas_f64 v[5:6], v[5:6], v[11:12], v[22:23]
	s_delay_alu instid0(VALU_DEP_1)
	v_div_fixup_f64 v[1:2], v[5:6], v[3:4], v[1:2]
	ds_store_b64 v0, v[1:2]
.LBB101_59:                             ;   in Loop: Header=BB101_3 Depth=1
	s_cmp_eq_u32 s37, 0
	s_cbranch_scc1 .LBB101_66
; %bb.60:                               ;   in Loop: Header=BB101_3 Depth=1
	s_wait_alu 0xfffe
	s_mul_i32 s37, s20, 0xe0
	s_wait_alu 0xfffe
	s_add_co_i32 s21, s35, s37
	s_add_co_i32 s37, s36, s37
	s_branch .LBB101_62
.LBB101_61:                             ;   in Loop: Header=BB101_62 Depth=2
	s_addk_co_i32 s38, 0xff18
	s_add_co_i32 s20, s20, -2
	s_wait_alu 0xfffe
	v_mov_b32_e32 v0, s38
	s_addk_co_i32 s21, 0xfe40
	s_addk_co_i32 s37, 0xfe40
	s_cmp_eq_u32 s39, 0
	ds_load_b64 v[0:1], v0
	s_wait_dscnt 0x0
	v_div_scale_f64 v[6:7], null, v[0:1], v[0:1], v[3:4]
	s_delay_alu instid0(VALU_DEP_1) | instskip(NEXT) | instid1(TRANS32_DEP_1)
	v_rcp_f64_e32 v[11:12], v[6:7]
	v_fma_f64 v[20:21], -v[6:7], v[11:12], 1.0
	s_delay_alu instid0(VALU_DEP_1) | instskip(NEXT) | instid1(VALU_DEP_1)
	v_fma_f64 v[11:12], v[11:12], v[20:21], v[11:12]
	v_fma_f64 v[20:21], -v[6:7], v[11:12], 1.0
	s_delay_alu instid0(VALU_DEP_1) | instskip(SKIP_1) | instid1(VALU_DEP_1)
	v_fma_f64 v[11:12], v[11:12], v[20:21], v[11:12]
	v_div_scale_f64 v[20:21], vcc_lo, v[3:4], v[0:1], v[3:4]
	v_mul_f64_e32 v[22:23], v[20:21], v[11:12]
	s_delay_alu instid0(VALU_DEP_1) | instskip(SKIP_1) | instid1(VALU_DEP_1)
	v_fma_f64 v[6:7], -v[6:7], v[22:23], v[20:21]
	s_wait_alu 0xfffd
	v_div_fmas_f64 v[6:7], v[6:7], v[11:12], v[22:23]
	s_delay_alu instid0(VALU_DEP_1)
	v_div_fixup_f64 v[0:1], v[6:7], v[0:1], v[3:4]
	ds_store_b64 v5, v[0:1]
	s_cbranch_scc1 .LBB101_66
.LBB101_62:                             ;   Parent Loop BB101_3 Depth=1
                                        ; =>  This Loop Header: Depth=2
                                        ;       Child Loop BB101_63 Depth 3
                                        ;       Child Loop BB101_65 Depth 3
	v_mad_co_u64_u32 v[0:1], null, 0xe0, s20, v[10:11]
	v_mov_b32_e32 v3, v15
	s_cmp_le_i32 s24, s20
	s_wait_alu 0xfffe
	s_mov_b32 s38, s21
	s_mov_b32 s39, s24
	ds_load_b64 v[1:2], v0
	s_cbranch_scc1 .LBB101_64
.LBB101_63:                             ;   Parent Loop BB101_3 Depth=1
                                        ;     Parent Loop BB101_62 Depth=2
                                        ; =>    This Inner Loop Header: Depth=3
	s_wait_alu 0xfffe
	v_mov_b32_e32 v6, s38
	s_add_co_i32 s39, s39, -1
	s_add_co_i32 s38, s38, -8
	s_wait_alu 0xfffe
	s_cmp_le_u32 s39, s20
	ds_load_b64 v[4:5], v3
	ds_load_b64 v[6:7], v6
	v_add_nc_u32_e32 v3, 0xffffff20, v3
	s_wait_dscnt 0x0
	v_fma_f64 v[1:2], -v[4:5], v[6:7], v[1:2]
	s_cbranch_scc0 .LBB101_63
.LBB101_64:                             ;   in Loop: Header=BB101_62 Depth=2
	s_mul_i32 s38, s20, 0xe8
	v_add_nc_u32_e32 v5, 0xffffff20, v0
	s_wait_alu 0xfffe
	v_mov_b32_e32 v3, s38
	s_add_co_i32 s39, s20, -1
	s_cmp_le_i32 s1, s20
	s_mov_b32 s40, s37
	s_mov_b32 s41, s24
	ds_load_b64 v[6:7], v3
	ds_load_b64 v[3:4], v5
	s_wait_dscnt 0x1
	v_div_scale_f64 v[11:12], null, v[6:7], v[6:7], v[1:2]
	s_delay_alu instid0(VALU_DEP_1) | instskip(NEXT) | instid1(TRANS32_DEP_1)
	v_rcp_f64_e32 v[20:21], v[11:12]
	v_fma_f64 v[22:23], -v[11:12], v[20:21], 1.0
	s_delay_alu instid0(VALU_DEP_1) | instskip(NEXT) | instid1(VALU_DEP_1)
	v_fma_f64 v[20:21], v[20:21], v[22:23], v[20:21]
	v_fma_f64 v[22:23], -v[11:12], v[20:21], 1.0
	s_delay_alu instid0(VALU_DEP_1) | instskip(SKIP_1) | instid1(VALU_DEP_1)
	v_fma_f64 v[20:21], v[20:21], v[22:23], v[20:21]
	v_div_scale_f64 v[22:23], vcc_lo, v[1:2], v[6:7], v[1:2]
	v_mul_f64_e32 v[24:25], v[22:23], v[20:21]
	s_delay_alu instid0(VALU_DEP_1) | instskip(SKIP_1) | instid1(VALU_DEP_1)
	v_fma_f64 v[11:12], -v[11:12], v[24:25], v[22:23]
	s_wait_alu 0xfffd
	v_div_fmas_f64 v[11:12], v[11:12], v[20:21], v[24:25]
	s_delay_alu instid0(VALU_DEP_1)
	v_div_fixup_f64 v[6:7], v[11:12], v[6:7], v[1:2]
	v_mov_b32_e32 v1, v15
	ds_store_b64 v0, v[6:7]
	s_cbranch_scc1 .LBB101_61
.LBB101_65:                             ;   Parent Loop BB101_3 Depth=1
                                        ;     Parent Loop BB101_62 Depth=2
                                        ; =>    This Inner Loop Header: Depth=3
	s_wait_alu 0xfffe
	v_mov_b32_e32 v0, s40
	s_add_co_i32 s41, s41, -1
	s_add_co_i32 s40, s40, -8
	s_wait_alu 0xfffe
	s_cmp_gt_u32 s41, s39
	ds_load_b64 v[6:7], v1
	ds_load_b64 v[11:12], v0
	v_add_nc_u32_e32 v1, 0xffffff20, v1
	s_wait_dscnt 0x0
	v_fma_f64 v[3:4], -v[6:7], v[11:12], v[3:4]
	s_cbranch_scc1 .LBB101_65
	s_branch .LBB101_61
.LBB101_66:                             ;   in Loop: Header=BB101_3 Depth=1
	s_mov_b32 s20, 0
.LBB101_67:                             ;   in Loop: Header=BB101_3 Depth=1
	s_wait_alu 0xfffe
	s_and_not1_b32 vcc_lo, exec_lo, s20
	s_wait_alu 0xfffe
	s_cbranch_vccnz .LBB101_79
; %bb.68:                               ;   in Loop: Header=BB101_3 Depth=1
	s_and_not1_b32 vcc_lo, exec_lo, s28
	s_mov_b32 s37, 0
	s_wait_alu 0xfffe
	s_cbranch_vccnz .LBB101_74
; %bb.69:                               ;   in Loop: Header=BB101_3 Depth=1
	s_mov_b32 s20, 0
	s_mov_b32 s21, 0
.LBB101_70:                             ;   Parent Loop BB101_3 Depth=1
                                        ; =>  This Loop Header: Depth=2
                                        ;       Child Loop BB101_71 Depth 3
	s_wait_alu 0xfffe
	s_mul_i32 s37, s21, 28
	v_mov_b32_e32 v12, v10
	s_wait_alu 0xfffe
	v_lshl_add_u32 v11, s37, 3, v10
	s_cmp_eq_u32 s21, 0
	s_mov_b32 s38, s20
	s_mov_b32 s39, s21
	ds_load_2addr_b64 v[4:7], v11 offset1:28
	ds_load_2addr_b64 v[0:3], v11 offset0:56 offset1:84
	s_cbranch_scc1 .LBB101_72
.LBB101_71:                             ;   Parent Loop BB101_3 Depth=1
                                        ;     Parent Loop BB101_70 Depth=2
                                        ; =>    This Inner Loop Header: Depth=3
	s_wait_alu 0xfffe
	v_mov_b32_e32 v24, s38
	s_add_co_i32 s39, s39, -1
	s_add_co_i32 s38, s38, 8
	s_wait_alu 0xfffe
	s_cmp_eq_u32 s39, 0
	ds_load_b64 v[28:29], v12
	ds_load_2addr_b64 v[20:23], v24 offset1:28
	ds_load_2addr_b64 v[24:27], v24 offset0:56 offset1:84
	v_add_nc_u32_e32 v12, 0xe0, v12
	s_wait_dscnt 0x1
	v_fma_f64 v[4:5], -v[28:29], v[20:21], v[4:5]
	v_fma_f64 v[6:7], -v[28:29], v[22:23], v[6:7]
	s_wait_dscnt 0x0
	v_fma_f64 v[0:1], -v[28:29], v[24:25], v[0:1]
	v_fma_f64 v[2:3], -v[28:29], v[26:27], v[2:3]
	s_cbranch_scc0 .LBB101_71
.LBB101_72:                             ;   in Loop: Header=BB101_70 Depth=2
	s_mul_i32 s38, s21, 0xe8
	s_lshl_b32 s37, s37, 3
	s_wait_alu 0xfffe
	v_mov_b32_e32 v12, s38
	s_lshl_b32 s38, s21, 3
	s_addk_co_i32 s20, 0x380
	s_wait_alu 0xfffe
	s_add_co_i32 s37, s37, s38
	ds_load_b64 v[24:25], v12
	s_wait_alu 0xfffe
	v_mov_b32_e32 v12, s37
	s_add_co_i32 s37, s21, 4
	s_add_co_i32 s21, s21, 7
	s_wait_alu 0xfffe
	s_cmp_ge_i32 s21, s1
	ds_load_b128 v[20:23], v12 offset:224
	s_wait_dscnt 0x1
	v_div_scale_f64 v[26:27], null, v[24:25], v[24:25], v[4:5]
	v_div_scale_f64 v[32:33], vcc_lo, v[4:5], v[24:25], v[4:5]
	s_delay_alu instid0(VALU_DEP_2) | instskip(NEXT) | instid1(TRANS32_DEP_1)
	v_rcp_f64_e32 v[28:29], v[26:27]
	v_fma_f64 v[30:31], -v[26:27], v[28:29], 1.0
	s_delay_alu instid0(VALU_DEP_1) | instskip(NEXT) | instid1(VALU_DEP_1)
	v_fma_f64 v[28:29], v[28:29], v[30:31], v[28:29]
	v_fma_f64 v[30:31], -v[26:27], v[28:29], 1.0
	s_delay_alu instid0(VALU_DEP_1) | instskip(NEXT) | instid1(VALU_DEP_1)
	v_fma_f64 v[28:29], v[28:29], v[30:31], v[28:29]
	v_mul_f64_e32 v[30:31], v[32:33], v[28:29]
	s_delay_alu instid0(VALU_DEP_1) | instskip(SKIP_1) | instid1(VALU_DEP_1)
	v_fma_f64 v[26:27], -v[26:27], v[30:31], v[32:33]
	s_wait_alu 0xfffd
	v_div_fmas_f64 v[26:27], v[26:27], v[28:29], v[30:31]
	s_delay_alu instid0(VALU_DEP_1) | instskip(SKIP_1) | instid1(VALU_DEP_1)
	v_div_fixup_f64 v[24:25], v[26:27], v[24:25], v[4:5]
	s_wait_dscnt 0x0
	v_fma_f64 v[20:21], -v[24:25], v[20:21], v[6:7]
	s_delay_alu instid0(VALU_DEP_1) | instskip(SKIP_1) | instid1(VALU_DEP_2)
	v_div_scale_f64 v[4:5], null, v[22:23], v[22:23], v[20:21]
	v_div_scale_f64 v[28:29], vcc_lo, v[20:21], v[22:23], v[20:21]
	v_rcp_f64_e32 v[6:7], v[4:5]
	s_delay_alu instid0(TRANS32_DEP_1) | instskip(NEXT) | instid1(VALU_DEP_1)
	v_fma_f64 v[26:27], -v[4:5], v[6:7], 1.0
	v_fma_f64 v[6:7], v[6:7], v[26:27], v[6:7]
	s_delay_alu instid0(VALU_DEP_1) | instskip(NEXT) | instid1(VALU_DEP_1)
	v_fma_f64 v[26:27], -v[4:5], v[6:7], 1.0
	v_fma_f64 v[6:7], v[6:7], v[26:27], v[6:7]
	s_delay_alu instid0(VALU_DEP_1) | instskip(NEXT) | instid1(VALU_DEP_1)
	v_mul_f64_e32 v[26:27], v[28:29], v[6:7]
	v_fma_f64 v[4:5], -v[4:5], v[26:27], v[28:29]
	s_wait_alu 0xfffd
	s_delay_alu instid0(VALU_DEP_1)
	v_div_fmas_f64 v[26:27], v[4:5], v[6:7], v[26:27]
	ds_load_b128 v[4:7], v12 offset:448
	ds_load_b64 v[28:29], v12 offset:464
	s_wait_dscnt 0x1
	v_fma_f64 v[0:1], -v[24:25], v[4:5], v[0:1]
	v_div_fixup_f64 v[26:27], v[26:27], v[22:23], v[20:21]
	s_delay_alu instid0(VALU_DEP_1) | instskip(SKIP_1) | instid1(VALU_DEP_1)
	v_fma_f64 v[0:1], -v[26:27], v[6:7], v[0:1]
	s_wait_dscnt 0x0
	v_div_scale_f64 v[4:5], null, v[28:29], v[28:29], v[0:1]
	v_div_scale_f64 v[22:23], vcc_lo, v[0:1], v[28:29], v[0:1]
	s_delay_alu instid0(VALU_DEP_2) | instskip(NEXT) | instid1(TRANS32_DEP_1)
	v_rcp_f64_e32 v[6:7], v[4:5]
	v_fma_f64 v[20:21], -v[4:5], v[6:7], 1.0
	s_delay_alu instid0(VALU_DEP_1) | instskip(NEXT) | instid1(VALU_DEP_1)
	v_fma_f64 v[6:7], v[6:7], v[20:21], v[6:7]
	v_fma_f64 v[20:21], -v[4:5], v[6:7], 1.0
	s_delay_alu instid0(VALU_DEP_1) | instskip(NEXT) | instid1(VALU_DEP_1)
	v_fma_f64 v[30:31], v[6:7], v[20:21], v[6:7]
	v_mul_f64_e32 v[32:33], v[22:23], v[30:31]
	s_delay_alu instid0(VALU_DEP_1)
	v_fma_f64 v[34:35], -v[4:5], v[32:33], v[22:23]
	ds_load_b128 v[4:7], v12 offset:672
	ds_load_b128 v[20:23], v12 offset:688
	s_wait_dscnt 0x1
	v_fma_f64 v[2:3], -v[24:25], v[4:5], v[2:3]
	s_wait_alu 0xfffd
	v_div_fmas_f64 v[4:5], v[34:35], v[30:31], v[32:33]
	s_delay_alu instid0(VALU_DEP_2) | instskip(NEXT) | instid1(VALU_DEP_2)
	v_fma_f64 v[2:3], -v[26:27], v[6:7], v[2:3]
	v_div_fixup_f64 v[0:1], v[4:5], v[28:29], v[0:1]
	s_wait_dscnt 0x0
	s_delay_alu instid0(VALU_DEP_1) | instskip(NEXT) | instid1(VALU_DEP_1)
	v_fma_f64 v[2:3], -v[0:1], v[20:21], v[2:3]
	v_div_scale_f64 v[4:5], null, v[22:23], v[22:23], v[2:3]
	s_delay_alu instid0(VALU_DEP_1) | instskip(NEXT) | instid1(TRANS32_DEP_1)
	v_rcp_f64_e32 v[6:7], v[4:5]
	v_fma_f64 v[20:21], -v[4:5], v[6:7], 1.0
	s_delay_alu instid0(VALU_DEP_1) | instskip(NEXT) | instid1(VALU_DEP_1)
	v_fma_f64 v[6:7], v[6:7], v[20:21], v[6:7]
	v_fma_f64 v[20:21], -v[4:5], v[6:7], 1.0
	s_delay_alu instid0(VALU_DEP_1) | instskip(SKIP_1) | instid1(VALU_DEP_1)
	v_fma_f64 v[6:7], v[6:7], v[20:21], v[6:7]
	v_div_scale_f64 v[20:21], vcc_lo, v[2:3], v[22:23], v[2:3]
	v_mul_f64_e32 v[28:29], v[20:21], v[6:7]
	s_delay_alu instid0(VALU_DEP_1) | instskip(SKIP_1) | instid1(VALU_DEP_1)
	v_fma_f64 v[4:5], -v[4:5], v[28:29], v[20:21]
	s_wait_alu 0xfffd
	v_div_fmas_f64 v[4:5], v[4:5], v[6:7], v[28:29]
	s_delay_alu instid0(VALU_DEP_1)
	v_div_fixup_f64 v[2:3], v[4:5], v[22:23], v[2:3]
	ds_store_2addr_b64 v11, v[24:25], v[26:27] offset1:28
	ds_store_2addr_b64 v11, v[0:1], v[2:3] offset0:56 offset1:84
	s_cbranch_scc1 .LBB101_74
; %bb.73:                               ;   in Loop: Header=BB101_70 Depth=2
	s_mov_b32 s21, s37
	s_branch .LBB101_70
.LBB101_74:                             ;   in Loop: Header=BB101_3 Depth=1
	s_cmp_ge_i32 s37, s1
	s_cbranch_scc1 .LBB101_79
; %bb.75:                               ;   in Loop: Header=BB101_3 Depth=1
	s_mul_i32 s20, s37, 0xe0
	s_branch .LBB101_77
.LBB101_76:                             ;   in Loop: Header=BB101_77 Depth=2
	s_mul_i32 s21, s37, 0xe8
	s_add_co_i32 s37, s37, 1
	s_wait_alu 0xfffe
	v_mov_b32_e32 v3, s21
	s_addk_co_i32 s20, 0xe0
	s_cmp_ge_i32 s37, s1
	ds_load_b64 v[3:4], v3
	s_wait_dscnt 0x0
	v_div_scale_f64 v[5:6], null, v[3:4], v[3:4], v[1:2]
	s_delay_alu instid0(VALU_DEP_1) | instskip(NEXT) | instid1(TRANS32_DEP_1)
	v_rcp_f64_e32 v[11:12], v[5:6]
	v_fma_f64 v[20:21], -v[5:6], v[11:12], 1.0
	s_delay_alu instid0(VALU_DEP_1) | instskip(NEXT) | instid1(VALU_DEP_1)
	v_fma_f64 v[11:12], v[11:12], v[20:21], v[11:12]
	v_fma_f64 v[20:21], -v[5:6], v[11:12], 1.0
	s_delay_alu instid0(VALU_DEP_1) | instskip(SKIP_1) | instid1(VALU_DEP_1)
	v_fma_f64 v[11:12], v[11:12], v[20:21], v[11:12]
	v_div_scale_f64 v[20:21], vcc_lo, v[1:2], v[3:4], v[1:2]
	v_mul_f64_e32 v[22:23], v[20:21], v[11:12]
	s_delay_alu instid0(VALU_DEP_1) | instskip(SKIP_1) | instid1(VALU_DEP_1)
	v_fma_f64 v[5:6], -v[5:6], v[22:23], v[20:21]
	s_wait_alu 0xfffd
	v_div_fmas_f64 v[5:6], v[5:6], v[11:12], v[22:23]
	s_delay_alu instid0(VALU_DEP_1)
	v_div_fixup_f64 v[1:2], v[5:6], v[3:4], v[1:2]
	ds_store_b64 v0, v[1:2]
	s_cbranch_scc1 .LBB101_79
.LBB101_77:                             ;   Parent Loop BB101_3 Depth=1
                                        ; =>  This Loop Header: Depth=2
                                        ;       Child Loop BB101_78 Depth 3
	v_mad_co_u64_u32 v[0:1], null, 0xe0, s37, v[10:11]
	v_mov_b32_e32 v3, v10
	s_cmp_eq_u32 s37, 0
	s_wait_alu 0xfffe
	s_mov_b32 s21, s20
	s_mov_b32 s38, s37
	ds_load_b64 v[1:2], v0
	s_cbranch_scc1 .LBB101_76
.LBB101_78:                             ;   Parent Loop BB101_3 Depth=1
                                        ;     Parent Loop BB101_77 Depth=2
                                        ; =>    This Inner Loop Header: Depth=3
	s_wait_alu 0xfffe
	v_mov_b32_e32 v6, s21
	s_add_co_i32 s38, s38, -1
	s_add_co_i32 s21, s21, 8
	s_wait_alu 0xfffe
	s_cmp_eq_u32 s38, 0
	ds_load_b64 v[4:5], v3
	ds_load_b64 v[6:7], v6
	v_add_nc_u32_e32 v3, 0xe0, v3
	s_wait_dscnt 0x0
	v_fma_f64 v[1:2], -v[4:5], v[6:7], v[1:2]
	s_cbranch_scc0 .LBB101_78
	s_branch .LBB101_76
.LBB101_79:                             ;   in Loop: Header=BB101_3 Depth=1
	s_and_saveexec_b32 s20, s29
	s_cbranch_execz .LBB101_2
; %bb.80:                               ;   in Loop: Header=BB101_3 Depth=1
	v_add_co_u32 v0, vcc_lo, v18, v17
	s_wait_alu 0xfffd
	v_add_co_ci_u32_e64 v1, null, 0, v19, vcc_lo
	v_mov_b32_e32 v2, v10
	s_mov_b32 s21, s23
.LBB101_81:                             ;   Parent Loop BB101_3 Depth=1
                                        ; =>  This Inner Loop Header: Depth=2
	ds_load_b64 v[3:4], v2
	v_add_nc_u32_e32 v2, 0xe0, v2
	s_wait_alu 0xfffe
	s_add_co_i32 s21, s21, -1
	s_wait_alu 0xfffe
	s_cmp_lg_u32 s21, 0
	s_wait_dscnt 0x0
	flat_store_b64 v[0:1], v[3:4]
	v_add_co_u32 v0, vcc_lo, v0, s18
	s_wait_alu 0xfffd
	v_add_co_ci_u32_e64 v1, null, s19, v1, vcc_lo
	s_cbranch_scc1 .LBB101_81
	s_branch .LBB101_2
.LBB101_82:
	s_endpgm
	.section	.rodata,"a",@progbits
	.p2align	6, 0x0
	.amdhsa_kernel _ZL31rocblas_trsm_small_right_deviceIddPKPKdPKPdLi28EEv13rocblas_fill_18rocblas_operation_17rocblas_diagonal_iiT0_T1_lilT2_lili
		.amdhsa_group_segment_fixed_size 12544
		.amdhsa_private_segment_fixed_size 0
		.amdhsa_kernarg_size 360
		.amdhsa_user_sgpr_count 2
		.amdhsa_user_sgpr_dispatch_ptr 0
		.amdhsa_user_sgpr_queue_ptr 0
		.amdhsa_user_sgpr_kernarg_segment_ptr 1
		.amdhsa_user_sgpr_dispatch_id 0
		.amdhsa_user_sgpr_private_segment_size 0
		.amdhsa_wavefront_size32 1
		.amdhsa_uses_dynamic_stack 0
		.amdhsa_enable_private_segment 0
		.amdhsa_system_sgpr_workgroup_id_x 1
		.amdhsa_system_sgpr_workgroup_id_y 0
		.amdhsa_system_sgpr_workgroup_id_z 1
		.amdhsa_system_sgpr_workgroup_info 0
		.amdhsa_system_vgpr_workitem_id 0
		.amdhsa_next_free_vgpr 241
		.amdhsa_next_free_sgpr 43
		.amdhsa_reserve_vcc 1
		.amdhsa_float_round_mode_32 0
		.amdhsa_float_round_mode_16_64 0
		.amdhsa_float_denorm_mode_32 3
		.amdhsa_float_denorm_mode_16_64 3
		.amdhsa_fp16_overflow 0
		.amdhsa_workgroup_processor_mode 1
		.amdhsa_memory_ordered 1
		.amdhsa_forward_progress 1
		.amdhsa_inst_pref_size 54
		.amdhsa_round_robin_scheduling 0
		.amdhsa_exception_fp_ieee_invalid_op 0
		.amdhsa_exception_fp_denorm_src 0
		.amdhsa_exception_fp_ieee_div_zero 0
		.amdhsa_exception_fp_ieee_overflow 0
		.amdhsa_exception_fp_ieee_underflow 0
		.amdhsa_exception_fp_ieee_inexact 0
		.amdhsa_exception_int_div_zero 0
	.end_amdhsa_kernel
	.section	.text._ZL31rocblas_trsm_small_right_deviceIddPKPKdPKPdLi28EEv13rocblas_fill_18rocblas_operation_17rocblas_diagonal_iiT0_T1_lilT2_lili,"axG",@progbits,_ZL31rocblas_trsm_small_right_deviceIddPKPKdPKPdLi28EEv13rocblas_fill_18rocblas_operation_17rocblas_diagonal_iiT0_T1_lilT2_lili,comdat
.Lfunc_end101:
	.size	_ZL31rocblas_trsm_small_right_deviceIddPKPKdPKPdLi28EEv13rocblas_fill_18rocblas_operation_17rocblas_diagonal_iiT0_T1_lilT2_lili, .Lfunc_end101-_ZL31rocblas_trsm_small_right_deviceIddPKPKdPKPdLi28EEv13rocblas_fill_18rocblas_operation_17rocblas_diagonal_iiT0_T1_lilT2_lili
                                        ; -- End function
	.set _ZL31rocblas_trsm_small_right_deviceIddPKPKdPKPdLi28EEv13rocblas_fill_18rocblas_operation_17rocblas_diagonal_iiT0_T1_lilT2_lili.num_vgpr, 41
	.set _ZL31rocblas_trsm_small_right_deviceIddPKPKdPKPdLi28EEv13rocblas_fill_18rocblas_operation_17rocblas_diagonal_iiT0_T1_lilT2_lili.num_agpr, 0
	.set _ZL31rocblas_trsm_small_right_deviceIddPKPKdPKPdLi28EEv13rocblas_fill_18rocblas_operation_17rocblas_diagonal_iiT0_T1_lilT2_lili.numbered_sgpr, 43
	.set _ZL31rocblas_trsm_small_right_deviceIddPKPKdPKPdLi28EEv13rocblas_fill_18rocblas_operation_17rocblas_diagonal_iiT0_T1_lilT2_lili.num_named_barrier, 0
	.set _ZL31rocblas_trsm_small_right_deviceIddPKPKdPKPdLi28EEv13rocblas_fill_18rocblas_operation_17rocblas_diagonal_iiT0_T1_lilT2_lili.private_seg_size, 0
	.set _ZL31rocblas_trsm_small_right_deviceIddPKPKdPKPdLi28EEv13rocblas_fill_18rocblas_operation_17rocblas_diagonal_iiT0_T1_lilT2_lili.uses_vcc, 1
	.set _ZL31rocblas_trsm_small_right_deviceIddPKPKdPKPdLi28EEv13rocblas_fill_18rocblas_operation_17rocblas_diagonal_iiT0_T1_lilT2_lili.uses_flat_scratch, 0
	.set _ZL31rocblas_trsm_small_right_deviceIddPKPKdPKPdLi28EEv13rocblas_fill_18rocblas_operation_17rocblas_diagonal_iiT0_T1_lilT2_lili.has_dyn_sized_stack, 0
	.set _ZL31rocblas_trsm_small_right_deviceIddPKPKdPKPdLi28EEv13rocblas_fill_18rocblas_operation_17rocblas_diagonal_iiT0_T1_lilT2_lili.has_recursion, 0
	.set _ZL31rocblas_trsm_small_right_deviceIddPKPKdPKPdLi28EEv13rocblas_fill_18rocblas_operation_17rocblas_diagonal_iiT0_T1_lilT2_lili.has_indirect_call, 0
	.section	.AMDGPU.csdata,"",@progbits
; Kernel info:
; codeLenInByte = 6820
; TotalNumSgprs: 45
; NumVgprs: 41
; ScratchSize: 0
; MemoryBound: 0
; FloatMode: 240
; IeeeMode: 1
; LDSByteSize: 12544 bytes/workgroup (compile time only)
; SGPRBlocks: 0
; VGPRBlocks: 30
; NumSGPRsForWavesPerEU: 45
; NumVGPRsForWavesPerEU: 241
; Occupancy: 3
; WaveLimiterHint : 0
; COMPUTE_PGM_RSRC2:SCRATCH_EN: 0
; COMPUTE_PGM_RSRC2:USER_SGPR: 2
; COMPUTE_PGM_RSRC2:TRAP_HANDLER: 0
; COMPUTE_PGM_RSRC2:TGID_X_EN: 1
; COMPUTE_PGM_RSRC2:TGID_Y_EN: 0
; COMPUTE_PGM_RSRC2:TGID_Z_EN: 1
; COMPUTE_PGM_RSRC2:TIDIG_COMP_CNT: 0
	.section	.text._ZL38rocblas_trsm_small_left_device_sharedBILi32ELi32ELb0EddPKPKdPKPdEv13rocblas_fill_18rocblas_operation_17rocblas_diagonal_iiT3_T4_lilT5_lili,"axG",@progbits,_ZL38rocblas_trsm_small_left_device_sharedBILi32ELi32ELb0EddPKPKdPKPdEv13rocblas_fill_18rocblas_operation_17rocblas_diagonal_iiT3_T4_lilT5_lili,comdat
	.globl	_ZL38rocblas_trsm_small_left_device_sharedBILi32ELi32ELb0EddPKPKdPKPdEv13rocblas_fill_18rocblas_operation_17rocblas_diagonal_iiT3_T4_lilT5_lili ; -- Begin function _ZL38rocblas_trsm_small_left_device_sharedBILi32ELi32ELb0EddPKPKdPKPdEv13rocblas_fill_18rocblas_operation_17rocblas_diagonal_iiT3_T4_lilT5_lili
	.p2align	8
	.type	_ZL38rocblas_trsm_small_left_device_sharedBILi32ELi32ELb0EddPKPKdPKPdEv13rocblas_fill_18rocblas_operation_17rocblas_diagonal_iiT3_T4_lilT5_lili,@function
_ZL38rocblas_trsm_small_left_device_sharedBILi32ELi32ELb0EddPKPKdPKPdEv13rocblas_fill_18rocblas_operation_17rocblas_diagonal_iiT3_T4_lilT5_lili: ; @_ZL38rocblas_trsm_small_left_device_sharedBILi32ELi32ELb0EddPKPKdPKPdEv13rocblas_fill_18rocblas_operation_17rocblas_diagonal_iiT3_T4_lilT5_lili
; %bb.0:
	s_load_b32 s22, s[0:1], 0x60
	s_lshr_b32 s2, ttmp7, 16
	s_wait_kmcnt 0x0
	s_cmp_ge_u32 s2, s22
	s_cbranch_scc1 .LBB102_57
; %bb.1:
	s_clause 0x5
	s_load_b96 s[16:18], s[0:1], 0x28
	s_load_b32 s20, s[0:1], 0x50
	s_load_b128 s[12:15], s[0:1], 0x4
	s_load_b32 s3, s[0:1], 0x68
	s_load_b128 s[4:7], s[0:1], 0x18
	s_load_b128 s[8:11], s[0:1], 0x40
	s_lshl_b32 s26, ttmp9, 5
	v_dual_mov_b32 v7, 0 :: v_dual_lshlrev_b32 v6, 3, v0
	v_lshlrev_b32_e32 v3, 8, v0
	v_lshlrev_b32_e32 v9, 3, v0
	s_mov_b32 s19, 0
	s_delay_alu instid0(VALU_DEP_3) | instskip(NEXT) | instid1(VALU_DEP_3)
	v_or_b32_e32 v8, 0x2000, v6
	v_add_nc_u32_e32 v10, v6, v3
	s_wait_kmcnt 0x0
	s_ashr_i32 s29, s18, 31
	s_ashr_i32 s21, s20, 31
	s_min_i32 s1, s14, 32
	s_add_co_i32 s3, s3, -1
	s_sub_co_i32 s0, s15, s26
	s_add_co_i32 s23, s1, -1
	v_mad_co_i64_i32 v[1:2], null, s20, v0, 0
	s_cmp_ge_u32 ttmp9, s3
	s_mov_b32 s28, s18
	s_cselect_b32 s3, s0, 32
	s_ashr_i32 s27, s26, 31
	s_cmp_lg_u32 s13, 0x84
	v_cmp_gt_i32_e32 vcc_lo, s3, v0
	s_cselect_b32 s24, -1, 0
	s_cmp_gt_i32 s14, 0
	v_cmp_gt_i32_e64 s0, s1, v0
	s_cselect_b32 s3, -1, 0
	s_cmp_lg_u32 s12, 0x6f
	v_lshlrev_b64_e32 v[0:1], 3, v[1:2]
	s_mul_u64 s[20:21], s[20:21], s[26:27]
	s_cselect_b32 s25, -1, 0
	s_lshl_b32 s27, s1, 8
	s_wait_alu 0xfffe
	s_and_b32 s26, vcc_lo, s3
	s_lshl_b64 s[12:13], s[28:29], 3
	s_addk_co_i32 s27, 0xff00
	s_lshl_b64 s[14:15], s[16:17], 3
	s_lshl_b64 s[10:11], s[10:11], 3
	;; [unrolled: 1-line block ×3, first 2 shown]
	s_branch .LBB102_3
.LBB102_2:                              ;   in Loop: Header=BB102_3 Depth=1
	s_wait_alu 0xfffe
	s_or_b32 exec_lo, exec_lo, s3
	s_add_co_i32 s2, s2, 0x10000
	s_wait_alu 0xfffe
	s_cmp_lt_u32 s2, s22
	s_cbranch_scc0 .LBB102_57
.LBB102_3:                              ; =>This Loop Header: Depth=1
                                        ;     Child Loop BB102_5 Depth 2
                                        ;     Child Loop BB102_11 Depth 2
	;; [unrolled: 1-line block ×3, first 2 shown]
                                        ;       Child Loop BB102_18 Depth 3
                                        ;         Child Loop BB102_19 Depth 4
                                        ;         Child Loop BB102_22 Depth 4
                                        ;           Child Loop BB102_23 Depth 5
                                        ;         Child Loop BB102_27 Depth 4
                                        ;           Child Loop BB102_29 Depth 5
                                        ;     Child Loop BB102_37 Depth 2
                                        ;       Child Loop BB102_40 Depth 3
                                        ;         Child Loop BB102_41 Depth 4
                                        ;         Child Loop BB102_43 Depth 4
                                        ;           Child Loop BB102_44 Depth 5
                                        ;         Child Loop BB102_48 Depth 4
                                        ;           Child Loop BB102_50 Depth 5
                                        ;     Child Loop BB102_56 Depth 2
	s_mov_b32 s3, s19
	s_wait_alu 0xfffe
	s_lshl_b64 s[20:21], s[2:3], 3
	s_wait_alu 0xfffe
	s_add_nc_u64 s[28:29], s[8:9], s[20:21]
	global_load_b64 v[2:3], v7, s[28:29]
	s_and_saveexec_b32 s3, s0
	s_cbranch_execz .LBB102_9
; %bb.4:                                ;   in Loop: Header=BB102_3 Depth=1
	s_add_nc_u64 s[20:21], s[6:7], s[20:21]
	v_mov_b32_e32 v11, v6
	global_load_b64 v[4:5], v7, s[20:21]
	s_mov_b32 s18, s1
	s_wait_loadcnt 0x0
	v_add_co_u32 v4, vcc_lo, v4, s14
	s_wait_alu 0xfffd
	v_add_co_ci_u32_e64 v5, null, s15, v5, vcc_lo
	s_delay_alu instid0(VALU_DEP_2) | instskip(SKIP_1) | instid1(VALU_DEP_2)
	v_add_co_u32 v4, vcc_lo, v4, v9
	s_wait_alu 0xfffd
	v_add_co_ci_u32_e64 v5, null, 0, v5, vcc_lo
.LBB102_5:                              ;   Parent Loop BB102_3 Depth=1
                                        ; =>  This Inner Loop Header: Depth=2
	flat_load_b64 v[12:13], v[4:5]
	v_add_co_u32 v4, vcc_lo, v4, s12
	s_wait_alu 0xfffd
	v_add_co_ci_u32_e64 v5, null, s13, v5, vcc_lo
	s_add_co_i32 s18, s18, -1
	s_delay_alu instid0(SALU_CYCLE_1)
	s_cmp_eq_u32 s18, 0
	s_wait_loadcnt_dscnt 0x0
	ds_store_b64 v11, v[12:13]
	v_add_nc_u32_e32 v11, 0x100, v11
	s_cbranch_scc0 .LBB102_5
; %bb.6:                                ;   in Loop: Header=BB102_3 Depth=1
	v_mov_b32_e32 v4, 0
	v_mov_b32_e32 v5, 0x3ff00000
	s_and_b32 vcc_lo, exec_lo, s24
	s_wait_alu 0xfffe
	s_cbranch_vccz .LBB102_8
; %bb.7:                                ;   in Loop: Header=BB102_3 Depth=1
	ds_load_b64 v[4:5], v10
	s_wait_dscnt 0x0
	v_div_scale_f64 v[11:12], null, v[4:5], v[4:5], 1.0
	s_delay_alu instid0(VALU_DEP_1) | instskip(NEXT) | instid1(TRANS32_DEP_1)
	v_rcp_f64_e32 v[13:14], v[11:12]
	v_fma_f64 v[15:16], -v[11:12], v[13:14], 1.0
	s_delay_alu instid0(VALU_DEP_1) | instskip(NEXT) | instid1(VALU_DEP_1)
	v_fma_f64 v[13:14], v[13:14], v[15:16], v[13:14]
	v_fma_f64 v[15:16], -v[11:12], v[13:14], 1.0
	s_delay_alu instid0(VALU_DEP_1) | instskip(SKIP_1) | instid1(VALU_DEP_1)
	v_fma_f64 v[13:14], v[13:14], v[15:16], v[13:14]
	v_div_scale_f64 v[15:16], vcc_lo, 1.0, v[4:5], 1.0
	v_mul_f64_e32 v[17:18], v[15:16], v[13:14]
	s_delay_alu instid0(VALU_DEP_1) | instskip(SKIP_1) | instid1(VALU_DEP_1)
	v_fma_f64 v[11:12], -v[11:12], v[17:18], v[15:16]
	s_wait_alu 0xfffd
	v_div_fmas_f64 v[11:12], v[11:12], v[13:14], v[17:18]
	s_delay_alu instid0(VALU_DEP_1)
	v_div_fixup_f64 v[4:5], v[11:12], v[4:5], 1.0
.LBB102_8:                              ;   in Loop: Header=BB102_3 Depth=1
	ds_store_b64 v10, v[4:5]
.LBB102_9:                              ;   in Loop: Header=BB102_3 Depth=1
	s_wait_alu 0xfffe
	s_or_b32 exec_lo, exec_lo, s3
	s_wait_loadcnt 0x0
	v_add_co_u32 v2, vcc_lo, v2, s10
	s_wait_alu 0xfffd
	v_add_co_ci_u32_e64 v3, null, s11, v3, vcc_lo
	s_delay_alu instid0(VALU_DEP_2) | instskip(SKIP_1) | instid1(VALU_DEP_2)
	v_add_co_u32 v4, vcc_lo, v2, s16
	s_wait_alu 0xfffd
	v_add_co_ci_u32_e64 v5, null, s17, v3, vcc_lo
	s_and_saveexec_b32 s3, s26
	s_cbranch_execz .LBB102_12
; %bb.10:                               ;   in Loop: Header=BB102_3 Depth=1
	v_add_co_u32 v2, vcc_lo, v4, v0
	s_wait_alu 0xfffd
	v_add_co_ci_u32_e64 v3, null, v5, v1, vcc_lo
	v_mov_b32_e32 v11, v8
	s_mov_b32 s18, s1
.LBB102_11:                             ;   Parent Loop BB102_3 Depth=1
                                        ; =>  This Inner Loop Header: Depth=2
	flat_load_b64 v[12:13], v[2:3]
	v_add_co_u32 v2, vcc_lo, v2, 8
	s_wait_alu 0xfffd
	v_add_co_ci_u32_e64 v3, null, 0, v3, vcc_lo
	s_add_co_i32 s18, s18, -1
	s_delay_alu instid0(SALU_CYCLE_1)
	s_cmp_lg_u32 s18, 0
	s_wait_loadcnt_dscnt 0x0
	v_mul_f64_e32 v[12:13], s[4:5], v[12:13]
	ds_store_b64 v11, v[12:13]
	v_add_nc_u32_e32 v11, 0x100, v11
	s_cbranch_scc1 .LBB102_11
.LBB102_12:                             ;   in Loop: Header=BB102_3 Depth=1
	s_wait_alu 0xfffe
	s_or_b32 exec_lo, exec_lo, s3
	s_delay_alu instid0(SALU_CYCLE_1)
	s_and_not1_b32 vcc_lo, exec_lo, s25
	s_mov_b32 s3, -1
	s_wait_dscnt 0x0
	; wave barrier
	global_inv scope:SCOPE_SE
	s_wait_alu 0xfffe
	s_cbranch_vccnz .LBB102_34
; %bb.13:                               ;   in Loop: Header=BB102_3 Depth=1
	s_mov_b32 s18, 0
	s_delay_alu instid0(SALU_CYCLE_1)
	s_mov_b32 s3, s18
	s_branch .LBB102_15
.LBB102_14:                             ;   in Loop: Header=BB102_15 Depth=2
	s_cmp_lt_i32 s3, s1
	s_cselect_b32 s20, -1, 0
	s_add_co_i32 s21, s18, 1
	s_cmp_lt_u32 s18, 2
	s_cselect_b32 s18, -1, 0
	s_wait_alu 0xfffe
	s_and_b32 s18, s20, s18
	s_delay_alu instid0(SALU_CYCLE_1)
	s_and_b32 vcc_lo, exec_lo, s18
	s_mov_b32 s18, s21
	s_wait_alu 0xfffe
	s_cbranch_vccz .LBB102_33
.LBB102_15:                             ;   Parent Loop BB102_3 Depth=1
                                        ; =>  This Loop Header: Depth=2
                                        ;       Child Loop BB102_18 Depth 3
                                        ;         Child Loop BB102_19 Depth 4
                                        ;         Child Loop BB102_22 Depth 4
                                        ;           Child Loop BB102_23 Depth 5
                                        ;         Child Loop BB102_27 Depth 4
                                        ;           Child Loop BB102_29 Depth 5
	s_getpc_b64 s[20:21]
	s_wait_alu 0xfffe
	s_sext_i32_i16 s21, s21
	s_add_co_u32 s20, s20, __const._ZL38rocblas_trsm_small_left_device_sharedBILi32ELi32ELb0EddPKPKdPKPdEv13rocblas_fill_18rocblas_operation_17rocblas_diagonal_iiT3_T4_lilT5_lili.step_sizes@rel32@lo+12
	s_wait_alu 0xfffe
	s_add_co_ci_u32 s21, s21, __const._ZL38rocblas_trsm_small_left_device_sharedBILi32ELi32ELb0EddPKPKdPKPdEv13rocblas_fill_18rocblas_operation_17rocblas_diagonal_iiT3_T4_lilT5_lili.step_sizes@rel32@hi+24
	s_lshl_b64 s[28:29], s[18:19], 2
	s_wait_alu 0xfffe
	s_add_nc_u64 s[20:21], s[20:21], s[28:29]
	s_load_b32 s20, s[20:21], 0x0
	s_wait_kmcnt 0x0
	s_add_co_i32 s21, s20, -1
	s_wait_alu 0xfffe
	s_add_co_i32 s28, s21, s3
	s_wait_alu 0xfffe
	s_cmp_ge_i32 s28, s1
	s_cbranch_scc1 .LBB102_14
; %bb.16:                               ;   in Loop: Header=BB102_15 Depth=2
	s_lshl_b32 s28, s3, 8
	s_max_i32 s29, s20, 1
	s_wait_alu 0xfffe
	v_add_nc_u32_e32 v11, s28, v8
	s_lshl_b32 s30, s20, 8
	s_mul_i32 s31, s3, 0x108
	s_mul_i32 s33, s20, 0x108
	s_branch .LBB102_18
.LBB102_17:                             ;   in Loop: Header=BB102_18 Depth=3
	s_add_co_i32 s3, s3, s20
	v_add_nc_u32_e32 v11, s30, v11
	s_wait_alu 0xfffe
	s_add_co_i32 s34, s21, s3
	s_add_co_i32 s28, s28, s30
	s_add_co_i32 s31, s31, s33
	s_wait_alu 0xfffe
	s_cmp_ge_i32 s34, s1
	s_cbranch_scc1 .LBB102_14
.LBB102_18:                             ;   Parent Loop BB102_3 Depth=1
                                        ;     Parent Loop BB102_15 Depth=2
                                        ; =>    This Loop Header: Depth=3
                                        ;         Child Loop BB102_19 Depth 4
                                        ;         Child Loop BB102_22 Depth 4
                                        ;           Child Loop BB102_23 Depth 5
                                        ;         Child Loop BB102_27 Depth 4
                                        ;           Child Loop BB102_29 Depth 5
	v_mov_b32_e32 v2, v11
	s_mov_b32 s34, 0
	s_mov_b32 s35, s29
.LBB102_19:                             ;   Parent Loop BB102_3 Depth=1
                                        ;     Parent Loop BB102_15 Depth=2
                                        ;       Parent Loop BB102_18 Depth=3
                                        ; =>      This Inner Loop Header: Depth=4
	ds_load_b64 v[12:13], v2
	v_add_nc_u32_e32 v2, 0x100, v2
	s_wait_alu 0xfffe
	s_add_co_i32 s35, s35, -1
	s_wait_dscnt 0x0
	scratch_store_b64 off, v[12:13], s34
	s_add_co_i32 s34, s34, 8
	s_wait_alu 0xfffe
	s_cmp_eq_u32 s35, 0
	s_cbranch_scc0 .LBB102_19
; %bb.20:                               ;   in Loop: Header=BB102_18 Depth=3
	s_cmp_lt_i32 s3, 1
	s_cbranch_scc1 .LBB102_25
; %bb.21:                               ;   in Loop: Header=BB102_18 Depth=3
	s_mov_b32 s34, 0
	s_mov_b32 s35, s28
.LBB102_22:                             ;   Parent Loop BB102_3 Depth=1
                                        ;     Parent Loop BB102_15 Depth=2
                                        ;       Parent Loop BB102_18 Depth=3
                                        ; =>      This Loop Header: Depth=4
                                        ;           Child Loop BB102_23 Depth 5
	s_wait_alu 0xfffe
	v_lshl_add_u32 v2, s34, 8, v8
	s_mov_b32 s36, 0
	s_mov_b32 s37, s35
	;; [unrolled: 1-line block ×3, first 2 shown]
	ds_load_b64 v[2:3], v2
.LBB102_23:                             ;   Parent Loop BB102_3 Depth=1
                                        ;     Parent Loop BB102_15 Depth=2
                                        ;       Parent Loop BB102_18 Depth=3
                                        ;         Parent Loop BB102_22 Depth=4
                                        ; =>        This Inner Loop Header: Depth=5
	scratch_load_b64 v[12:13], off, s36
	s_wait_alu 0xfffe
	v_mov_b32_e32 v14, s37
	s_add_co_i32 s38, s38, -1
	s_addk_co_i32 s37, 0x100
	ds_load_b64 v[14:15], v14
	s_wait_loadcnt_dscnt 0x0
	v_fma_f64 v[12:13], -v[2:3], v[14:15], v[12:13]
	scratch_store_b64 off, v[12:13], s36
	s_add_co_i32 s36, s36, 8
	s_wait_alu 0xfffe
	s_cmp_eq_u32 s38, 0
	s_cbranch_scc0 .LBB102_23
; %bb.24:                               ;   in Loop: Header=BB102_22 Depth=4
	s_add_co_i32 s34, s34, 1
	s_add_co_i32 s35, s35, 8
	s_wait_alu 0xfffe
	s_cmp_eq_u32 s34, s3
	s_cbranch_scc0 .LBB102_22
.LBB102_25:                             ;   in Loop: Header=BB102_18 Depth=3
	s_lshl_b32 s34, s3, 8
	s_mov_b32 s35, 0
	s_wait_alu 0xfffe
	s_mov_b32 s36, s31
	s_branch .LBB102_27
.LBB102_26:                             ;   in Loop: Header=BB102_27 Depth=4
	s_wait_alu 0xfffe
	s_mulk_i32 s38, 0x108
	s_addk_co_i32 s36, 0x100
	s_wait_alu 0xfffe
	v_mov_b32_e32 v12, s38
	s_lshl_b32 s38, s35, 3
	s_add_co_i32 s35, s35, 1
	s_wait_alu 0xfffe
	s_cmp_eq_u32 s35, s29
	ds_load_b64 v[12:13], v12
	s_wait_loadcnt_dscnt 0x0
	v_mul_f64_e32 v[2:3], v[12:13], v[2:3]
	v_add_nc_u32_e32 v12, s37, v8
	scratch_store_b64 off, v[2:3], s38
	ds_store_b64 v12, v[2:3]
	s_cbranch_scc1 .LBB102_17
.LBB102_27:                             ;   Parent Loop BB102_3 Depth=1
                                        ;     Parent Loop BB102_15 Depth=2
                                        ;       Parent Loop BB102_18 Depth=3
                                        ; =>      This Loop Header: Depth=4
                                        ;           Child Loop BB102_29 Depth 5
	s_cmp_lg_u32 s35, 0
	s_cbranch_scc0 .LBB102_31
; %bb.28:                               ;   in Loop: Header=BB102_27 Depth=4
	s_lshl_b32 s39, s35, 3
	s_add_co_i32 s38, s35, s3
	scratch_load_b64 v[2:3], off, s39
	s_wait_alu 0xfffe
	s_lshl_b32 s37, s38, 8
	s_mov_b32 s40, 0
	s_mov_b32 s41, s36
	;; [unrolled: 1-line block ×3, first 2 shown]
.LBB102_29:                             ;   Parent Loop BB102_3 Depth=1
                                        ;     Parent Loop BB102_15 Depth=2
                                        ;       Parent Loop BB102_18 Depth=3
                                        ;         Parent Loop BB102_27 Depth=4
                                        ; =>        This Inner Loop Header: Depth=5
	scratch_load_b64 v[12:13], off, s40
	s_wait_alu 0xfffe
	v_mov_b32_e32 v14, s41
	s_add_co_i32 s42, s42, -1
	s_add_co_i32 s40, s40, 8
	s_add_co_i32 s41, s41, 8
	s_cmp_eq_u32 s42, 0
	ds_load_b64 v[14:15], v14
	s_wait_loadcnt_dscnt 0x0
	v_fma_f64 v[2:3], -v[12:13], v[14:15], v[2:3]
	scratch_store_b64 off, v[2:3], s39
	s_cbranch_scc0 .LBB102_29
; %bb.30:                               ;   in Loop: Header=BB102_27 Depth=4
	s_branch .LBB102_26
.LBB102_31:                             ;   in Loop: Header=BB102_27 Depth=4
                                        ; implicit-def: $vgpr2_vgpr3
                                        ; implicit-def: $sgpr38
                                        ; implicit-def: $sgpr37
	s_cbranch_execz .LBB102_26
; %bb.32:                               ;   in Loop: Header=BB102_27 Depth=4
	scratch_load_b64 v[2:3], off, off
	s_mov_b32 s37, s34
	s_mov_b32 s38, s3
	s_branch .LBB102_26
.LBB102_33:                             ;   in Loop: Header=BB102_3 Depth=1
	s_mov_b32 s3, 0
.LBB102_34:                             ;   in Loop: Header=BB102_3 Depth=1
	s_wait_alu 0xfffe
	s_and_b32 vcc_lo, exec_lo, s3
	s_wait_alu 0xfffe
	s_cbranch_vccz .LBB102_54
; %bb.35:                               ;   in Loop: Header=BB102_3 Depth=1
	s_mov_b32 s18, 0
	s_mov_b32 s3, s23
	s_branch .LBB102_37
.LBB102_36:                             ;   in Loop: Header=BB102_37 Depth=2
	s_cmp_gt_i32 s3, -1
	s_cselect_b32 s20, -1, 0
	s_add_co_i32 s21, s18, 1
	s_cmp_lt_u32 s18, 2
	s_cselect_b32 s18, -1, 0
	s_wait_alu 0xfffe
	s_and_b32 s18, s20, s18
	s_delay_alu instid0(SALU_CYCLE_1)
	s_and_not1_b32 vcc_lo, exec_lo, s18
	s_mov_b32 s18, s21
	s_wait_alu 0xfffe
	s_cbranch_vccnz .LBB102_54
.LBB102_37:                             ;   Parent Loop BB102_3 Depth=1
                                        ; =>  This Loop Header: Depth=2
                                        ;       Child Loop BB102_40 Depth 3
                                        ;         Child Loop BB102_41 Depth 4
                                        ;         Child Loop BB102_43 Depth 4
                                        ;           Child Loop BB102_44 Depth 5
                                        ;         Child Loop BB102_48 Depth 4
                                        ;           Child Loop BB102_50 Depth 5
	s_getpc_b64 s[20:21]
	s_wait_alu 0xfffe
	s_sext_i32_i16 s21, s21
	s_add_co_u32 s20, s20, __const._ZL38rocblas_trsm_small_left_device_sharedBILi32ELi32ELb0EddPKPKdPKPdEv13rocblas_fill_18rocblas_operation_17rocblas_diagonal_iiT3_T4_lilT5_lili.step_sizes@rel32@lo+12
	s_wait_alu 0xfffe
	s_add_co_ci_u32 s21, s21, __const._ZL38rocblas_trsm_small_left_device_sharedBILi32ELi32ELb0EddPKPKdPKPdEv13rocblas_fill_18rocblas_operation_17rocblas_diagonal_iiT3_T4_lilT5_lili.step_sizes@rel32@hi+24
	s_lshl_b64 s[28:29], s[18:19], 2
	s_wait_alu 0xfffe
	s_add_nc_u64 s[20:21], s[20:21], s[28:29]
	s_load_b32 s20, s[20:21], 0x0
	s_wait_kmcnt 0x0
	s_add_co_i32 s21, s20, -1
	s_wait_alu 0xfffe
	s_cmp_lt_i32 s3, s21
	s_cbranch_scc1 .LBB102_36
; %bb.38:                               ;   in Loop: Header=BB102_37 Depth=2
	v_lshl_add_u32 v11, s3, 8, v8
	s_lshl_b32 s29, s20, 8
	s_lshl_b32 s30, s3, 3
	;; [unrolled: 1-line block ×3, first 2 shown]
	s_max_i32 s28, s20, 1
	s_wait_alu 0xfffe
	s_sub_co_i32 s29, 0, s29
	s_add_co_i32 s30, s27, s30
	s_sub_co_i32 s31, 0, s31
	s_mul_i32 s33, s3, 0x108
	s_mul_i32 s34, s20, 0xfffffef8
	s_branch .LBB102_40
.LBB102_39:                             ;   in Loop: Header=BB102_40 Depth=3
	v_add_nc_u32_e32 v11, s29, v11
	s_sub_co_i32 s3, s3, s20
	s_add_co_i32 s30, s30, s31
	s_add_co_i32 s33, s33, s34
	s_wait_alu 0xfffe
	s_cmp_lt_i32 s3, s21
	s_cbranch_scc1 .LBB102_36
.LBB102_40:                             ;   Parent Loop BB102_3 Depth=1
                                        ;     Parent Loop BB102_37 Depth=2
                                        ; =>    This Loop Header: Depth=3
                                        ;         Child Loop BB102_41 Depth 4
                                        ;         Child Loop BB102_43 Depth 4
                                        ;           Child Loop BB102_44 Depth 5
                                        ;         Child Loop BB102_48 Depth 4
                                        ;           Child Loop BB102_50 Depth 5
	v_mov_b32_e32 v2, v11
	s_mov_b32 s35, 0
	s_mov_b32 s36, s28
.LBB102_41:                             ;   Parent Loop BB102_3 Depth=1
                                        ;     Parent Loop BB102_37 Depth=2
                                        ;       Parent Loop BB102_40 Depth=3
                                        ; =>      This Inner Loop Header: Depth=4
	ds_load_b64 v[12:13], v2
	v_add_nc_u32_e32 v2, 0xffffff00, v2
	s_wait_alu 0xfffe
	s_add_co_i32 s36, s36, -1
	s_wait_dscnt 0x0
	scratch_store_b64 off, v[12:13], s35
	s_add_co_i32 s35, s35, 8
	s_wait_alu 0xfffe
	s_cmp_eq_u32 s36, 0
	s_cbranch_scc0 .LBB102_41
; %bb.42:                               ;   in Loop: Header=BB102_40 Depth=3
	s_cmp_le_i32 s23, s3
	s_mov_b32 s35, s30
	s_mov_b32 s36, s23
	s_cbranch_scc1 .LBB102_46
.LBB102_43:                             ;   Parent Loop BB102_3 Depth=1
                                        ;     Parent Loop BB102_37 Depth=2
                                        ;       Parent Loop BB102_40 Depth=3
                                        ; =>      This Loop Header: Depth=4
                                        ;           Child Loop BB102_44 Depth 5
	s_wait_alu 0xfffe
	v_lshl_add_u32 v2, s36, 8, v8
	s_mov_b32 s37, 0
	s_mov_b32 s38, s35
	;; [unrolled: 1-line block ×3, first 2 shown]
	ds_load_b64 v[2:3], v2
.LBB102_44:                             ;   Parent Loop BB102_3 Depth=1
                                        ;     Parent Loop BB102_37 Depth=2
                                        ;       Parent Loop BB102_40 Depth=3
                                        ;         Parent Loop BB102_43 Depth=4
                                        ; =>        This Inner Loop Header: Depth=5
	scratch_load_b64 v[12:13], off, s37
	s_wait_alu 0xfffe
	v_mov_b32_e32 v14, s38
	s_add_co_i32 s39, s39, -1
	s_add_co_i32 s38, s38, -8
	ds_load_b64 v[14:15], v14
	s_wait_loadcnt_dscnt 0x0
	v_fma_f64 v[12:13], -v[2:3], v[14:15], v[12:13]
	scratch_store_b64 off, v[12:13], s37
	s_add_co_i32 s37, s37, 8
	s_wait_alu 0xfffe
	s_cmp_eq_u32 s39, 0
	s_cbranch_scc0 .LBB102_44
; %bb.45:                               ;   in Loop: Header=BB102_43 Depth=4
	s_add_co_i32 s36, s36, -1
	s_addk_co_i32 s35, 0xff00
	s_wait_alu 0xfffe
	s_cmp_le_i32 s36, s3
	s_cbranch_scc0 .LBB102_43
.LBB102_46:                             ;   in Loop: Header=BB102_40 Depth=3
	s_mov_b32 s35, 0
	s_mov_b32 s36, s33
	s_branch .LBB102_48
.LBB102_47:                             ;   in Loop: Header=BB102_48 Depth=4
	s_wait_alu 0xfffe
	s_mul_i32 s38, s37, 0x108
	s_add_co_i32 s36, s36, -8
	s_wait_alu 0xfffe
	v_mov_b32_e32 v12, s38
	s_lshl_b32 s38, s35, 3
	s_add_co_i32 s35, s35, 1
	s_wait_alu 0xfffe
	s_cmp_eq_u32 s35, s28
	ds_load_b64 v[12:13], v12
	s_wait_loadcnt_dscnt 0x0
	v_mul_f64_e32 v[2:3], v[12:13], v[2:3]
	v_lshl_add_u32 v12, s37, 8, v8
	scratch_store_b64 off, v[2:3], s38
	ds_store_b64 v12, v[2:3]
	s_cbranch_scc1 .LBB102_39
.LBB102_48:                             ;   Parent Loop BB102_3 Depth=1
                                        ;     Parent Loop BB102_37 Depth=2
                                        ;       Parent Loop BB102_40 Depth=3
                                        ; =>      This Loop Header: Depth=4
                                        ;           Child Loop BB102_50 Depth 5
	s_wait_alu 0xfffe
	s_cmp_lg_u32 s35, 0
	s_cbranch_scc0 .LBB102_52
; %bb.49:                               ;   in Loop: Header=BB102_48 Depth=4
	s_lshl_b32 s38, s35, 3
	s_sub_co_i32 s37, s3, s35
	scratch_load_b64 v[2:3], off, s38
	s_mov_b32 s39, 0
	s_mov_b32 s40, s36
	s_mov_b32 s41, s35
.LBB102_50:                             ;   Parent Loop BB102_3 Depth=1
                                        ;     Parent Loop BB102_37 Depth=2
                                        ;       Parent Loop BB102_40 Depth=3
                                        ;         Parent Loop BB102_48 Depth=4
                                        ; =>        This Inner Loop Header: Depth=5
	scratch_load_b64 v[12:13], off, s39
	s_wait_alu 0xfffe
	v_mov_b32_e32 v14, s40
	s_add_co_i32 s41, s41, -1
	s_addk_co_i32 s40, 0xff00
	s_add_co_i32 s39, s39, 8
	s_wait_alu 0xfffe
	s_cmp_eq_u32 s41, 0
	ds_load_b64 v[14:15], v14
	s_wait_loadcnt_dscnt 0x0
	v_fma_f64 v[2:3], -v[12:13], v[14:15], v[2:3]
	scratch_store_b64 off, v[2:3], s38
	s_cbranch_scc0 .LBB102_50
; %bb.51:                               ;   in Loop: Header=BB102_48 Depth=4
	s_branch .LBB102_47
.LBB102_52:                             ;   in Loop: Header=BB102_48 Depth=4
                                        ; implicit-def: $vgpr2_vgpr3
                                        ; implicit-def: $sgpr37
	s_cbranch_execz .LBB102_47
; %bb.53:                               ;   in Loop: Header=BB102_48 Depth=4
	scratch_load_b64 v[2:3], off, off
	s_mov_b32 s37, s3
	s_branch .LBB102_47
.LBB102_54:                             ;   in Loop: Header=BB102_3 Depth=1
	s_wait_storecnt 0x0
	; wave barrier
	s_wait_loadcnt_dscnt 0x0
	global_inv scope:SCOPE_SE
	s_and_saveexec_b32 s3, s26
	s_cbranch_execz .LBB102_2
; %bb.55:                               ;   in Loop: Header=BB102_3 Depth=1
	v_add_co_u32 v2, vcc_lo, v4, v0
	s_wait_alu 0xfffd
	v_add_co_ci_u32_e64 v3, null, v5, v1, vcc_lo
	v_mov_b32_e32 v4, v8
	s_mov_b32 s18, s1
.LBB102_56:                             ;   Parent Loop BB102_3 Depth=1
                                        ; =>  This Inner Loop Header: Depth=2
	ds_load_b64 v[11:12], v4
	v_add_nc_u32_e32 v4, 0x100, v4
	s_add_co_i32 s18, s18, -1
	s_delay_alu instid0(SALU_CYCLE_1)
	s_cmp_lg_u32 s18, 0
	s_wait_dscnt 0x0
	flat_store_b64 v[2:3], v[11:12]
	v_add_co_u32 v2, vcc_lo, v2, 8
	s_wait_alu 0xfffd
	v_add_co_ci_u32_e64 v3, null, 0, v3, vcc_lo
	s_cbranch_scc1 .LBB102_56
	s_branch .LBB102_2
.LBB102_57:
	s_endpgm
	.section	.rodata,"a",@progbits
	.p2align	6, 0x0
	.amdhsa_kernel _ZL38rocblas_trsm_small_left_device_sharedBILi32ELi32ELb0EddPKPKdPKPdEv13rocblas_fill_18rocblas_operation_17rocblas_diagonal_iiT3_T4_lilT5_lili
		.amdhsa_group_segment_fixed_size 16384
		.amdhsa_private_segment_fixed_size 272
		.amdhsa_kernarg_size 360
		.amdhsa_user_sgpr_count 2
		.amdhsa_user_sgpr_dispatch_ptr 0
		.amdhsa_user_sgpr_queue_ptr 0
		.amdhsa_user_sgpr_kernarg_segment_ptr 1
		.amdhsa_user_sgpr_dispatch_id 0
		.amdhsa_user_sgpr_private_segment_size 0
		.amdhsa_wavefront_size32 1
		.amdhsa_uses_dynamic_stack 0
		.amdhsa_enable_private_segment 1
		.amdhsa_system_sgpr_workgroup_id_x 1
		.amdhsa_system_sgpr_workgroup_id_y 0
		.amdhsa_system_sgpr_workgroup_id_z 1
		.amdhsa_system_sgpr_workgroup_info 0
		.amdhsa_system_vgpr_workitem_id 0
		.amdhsa_next_free_vgpr 241
		.amdhsa_next_free_sgpr 43
		.amdhsa_reserve_vcc 1
		.amdhsa_float_round_mode_32 0
		.amdhsa_float_round_mode_16_64 0
		.amdhsa_float_denorm_mode_32 3
		.amdhsa_float_denorm_mode_16_64 3
		.amdhsa_fp16_overflow 0
		.amdhsa_workgroup_processor_mode 1
		.amdhsa_memory_ordered 1
		.amdhsa_forward_progress 1
		.amdhsa_inst_pref_size 19
		.amdhsa_round_robin_scheduling 0
		.amdhsa_exception_fp_ieee_invalid_op 0
		.amdhsa_exception_fp_denorm_src 0
		.amdhsa_exception_fp_ieee_div_zero 0
		.amdhsa_exception_fp_ieee_overflow 0
		.amdhsa_exception_fp_ieee_underflow 0
		.amdhsa_exception_fp_ieee_inexact 0
		.amdhsa_exception_int_div_zero 0
	.end_amdhsa_kernel
	.section	.text._ZL38rocblas_trsm_small_left_device_sharedBILi32ELi32ELb0EddPKPKdPKPdEv13rocblas_fill_18rocblas_operation_17rocblas_diagonal_iiT3_T4_lilT5_lili,"axG",@progbits,_ZL38rocblas_trsm_small_left_device_sharedBILi32ELi32ELb0EddPKPKdPKPdEv13rocblas_fill_18rocblas_operation_17rocblas_diagonal_iiT3_T4_lilT5_lili,comdat
.Lfunc_end102:
	.size	_ZL38rocblas_trsm_small_left_device_sharedBILi32ELi32ELb0EddPKPKdPKPdEv13rocblas_fill_18rocblas_operation_17rocblas_diagonal_iiT3_T4_lilT5_lili, .Lfunc_end102-_ZL38rocblas_trsm_small_left_device_sharedBILi32ELi32ELb0EddPKPKdPKPdEv13rocblas_fill_18rocblas_operation_17rocblas_diagonal_iiT3_T4_lilT5_lili
                                        ; -- End function
	.set _ZL38rocblas_trsm_small_left_device_sharedBILi32ELi32ELb0EddPKPKdPKPdEv13rocblas_fill_18rocblas_operation_17rocblas_diagonal_iiT3_T4_lilT5_lili.num_vgpr, 19
	.set _ZL38rocblas_trsm_small_left_device_sharedBILi32ELi32ELb0EddPKPKdPKPdEv13rocblas_fill_18rocblas_operation_17rocblas_diagonal_iiT3_T4_lilT5_lili.num_agpr, 0
	.set _ZL38rocblas_trsm_small_left_device_sharedBILi32ELi32ELb0EddPKPKdPKPdEv13rocblas_fill_18rocblas_operation_17rocblas_diagonal_iiT3_T4_lilT5_lili.numbered_sgpr, 43
	.set _ZL38rocblas_trsm_small_left_device_sharedBILi32ELi32ELb0EddPKPKdPKPdEv13rocblas_fill_18rocblas_operation_17rocblas_diagonal_iiT3_T4_lilT5_lili.num_named_barrier, 0
	.set _ZL38rocblas_trsm_small_left_device_sharedBILi32ELi32ELb0EddPKPKdPKPdEv13rocblas_fill_18rocblas_operation_17rocblas_diagonal_iiT3_T4_lilT5_lili.private_seg_size, 272
	.set _ZL38rocblas_trsm_small_left_device_sharedBILi32ELi32ELb0EddPKPKdPKPdEv13rocblas_fill_18rocblas_operation_17rocblas_diagonal_iiT3_T4_lilT5_lili.uses_vcc, 1
	.set _ZL38rocblas_trsm_small_left_device_sharedBILi32ELi32ELb0EddPKPKdPKPdEv13rocblas_fill_18rocblas_operation_17rocblas_diagonal_iiT3_T4_lilT5_lili.uses_flat_scratch, 0
	.set _ZL38rocblas_trsm_small_left_device_sharedBILi32ELi32ELb0EddPKPKdPKPdEv13rocblas_fill_18rocblas_operation_17rocblas_diagonal_iiT3_T4_lilT5_lili.has_dyn_sized_stack, 0
	.set _ZL38rocblas_trsm_small_left_device_sharedBILi32ELi32ELb0EddPKPKdPKPdEv13rocblas_fill_18rocblas_operation_17rocblas_diagonal_iiT3_T4_lilT5_lili.has_recursion, 0
	.set _ZL38rocblas_trsm_small_left_device_sharedBILi32ELi32ELb0EddPKPKdPKPdEv13rocblas_fill_18rocblas_operation_17rocblas_diagonal_iiT3_T4_lilT5_lili.has_indirect_call, 0
	.section	.AMDGPU.csdata,"",@progbits
; Kernel info:
; codeLenInByte = 2336
; TotalNumSgprs: 45
; NumVgprs: 19
; ScratchSize: 272
; MemoryBound: 0
; FloatMode: 240
; IeeeMode: 1
; LDSByteSize: 16384 bytes/workgroup (compile time only)
; SGPRBlocks: 0
; VGPRBlocks: 30
; NumSGPRsForWavesPerEU: 45
; NumVGPRsForWavesPerEU: 241
; Occupancy: 2
; WaveLimiterHint : 0
; COMPUTE_PGM_RSRC2:SCRATCH_EN: 1
; COMPUTE_PGM_RSRC2:USER_SGPR: 2
; COMPUTE_PGM_RSRC2:TRAP_HANDLER: 0
; COMPUTE_PGM_RSRC2:TGID_X_EN: 1
; COMPUTE_PGM_RSRC2:TGID_Y_EN: 0
; COMPUTE_PGM_RSRC2:TGID_Z_EN: 1
; COMPUTE_PGM_RSRC2:TIDIG_COMP_CNT: 0
	.section	.text._ZL30rocblas_trsm_small_left_deviceILi32ELi32ELb0EddPKPKdPKPdEv13rocblas_fill_18rocblas_operation_17rocblas_diagonal_iiT3_T4_lilT5_lili,"axG",@progbits,_ZL30rocblas_trsm_small_left_deviceILi32ELi32ELb0EddPKPKdPKPdEv13rocblas_fill_18rocblas_operation_17rocblas_diagonal_iiT3_T4_lilT5_lili,comdat
	.globl	_ZL30rocblas_trsm_small_left_deviceILi32ELi32ELb0EddPKPKdPKPdEv13rocblas_fill_18rocblas_operation_17rocblas_diagonal_iiT3_T4_lilT5_lili ; -- Begin function _ZL30rocblas_trsm_small_left_deviceILi32ELi32ELb0EddPKPKdPKPdEv13rocblas_fill_18rocblas_operation_17rocblas_diagonal_iiT3_T4_lilT5_lili
	.p2align	8
	.type	_ZL30rocblas_trsm_small_left_deviceILi32ELi32ELb0EddPKPKdPKPdEv13rocblas_fill_18rocblas_operation_17rocblas_diagonal_iiT3_T4_lilT5_lili,@function
_ZL30rocblas_trsm_small_left_deviceILi32ELi32ELb0EddPKPKdPKPdEv13rocblas_fill_18rocblas_operation_17rocblas_diagonal_iiT3_T4_lilT5_lili: ; @_ZL30rocblas_trsm_small_left_deviceILi32ELi32ELb0EddPKPKdPKPdEv13rocblas_fill_18rocblas_operation_17rocblas_diagonal_iiT3_T4_lilT5_lili
; %bb.0:
	s_load_b32 s28, s[0:1], 0x60
	s_lshr_b32 s2, ttmp7, 16
	s_wait_kmcnt 0x0
	s_cmp_ge_u32 s2, s28
	s_cbranch_scc1 .LBB103_54
; %bb.1:
	s_clause 0x5
	s_load_b96 s[16:18], s[0:1], 0x28
	s_load_b128 s[12:15], s[0:1], 0x4
	s_load_b32 s3, s[0:1], 0x68
	s_load_b32 s20, s[0:1], 0x50
	s_load_b128 s[4:7], s[0:1], 0x18
	s_load_b128 s[8:11], s[0:1], 0x40
	s_lshl_b32 s0, ttmp9, 5
	v_dual_mov_b32 v10, 0 :: v_dual_lshlrev_b32 v9, 3, v0
	v_or_b32_e32 v1, s0, v0
	v_lshlrev_b32_e32 v3, 8, v0
	s_mov_b32 s35, 0
                                        ; implicit-def: $sgpr36
                                        ; implicit-def: $sgpr37
	s_delay_alu instid0(VALU_DEP_1)
	v_add_nc_u32_e32 v13, v9, v3
	s_wait_kmcnt 0x0
	s_ashr_i32 s19, s18, 31
	s_min_i32 s29, s14, 32
	s_add_co_i32 s3, s3, -1
	v_mad_co_i64_i32 v[1:2], null, s20, v1, 0
	s_sub_co_i32 s0, s15, s0
	s_add_co_i32 s30, s29, -1
	s_wait_alu 0xfffe
	s_cmp_ge_u32 ttmp9, s3
	s_mov_b32 s15, 0
	s_cselect_b32 s1, s0, 32
	s_cmp_lg_u32 s13, 0x84
	v_lshlrev_b64_e32 v[1:2], 3, v[1:2]
	s_cselect_b32 s31, -1, 0
	s_cmp_lg_u32 s12, 0x6f
	v_cmp_gt_i32_e64 s0, s29, v0
	s_cselect_b32 s33, -1, 0
	s_lshl_b64 s[10:11], s[10:11], 3
	s_wait_alu 0xfffe
	v_cmp_gt_i32_e64 s1, s1, v0
	v_add_co_u32 v11, vcc_lo, v1, s10
	s_delay_alu instid0(VALU_DEP_1)
	v_add_co_ci_u32_e64 v12, null, s11, v2, vcc_lo
	v_lshlrev_b32_e32 v0, 3, v0
	s_lshl_b32 s34, s29, 8
	s_lshl_b64 s[12:13], s[18:19], 3
	s_addk_co_i32 s34, 0xff00
	s_lshl_b64 s[16:17], s[16:17], 3
	s_branch .LBB103_4
.LBB103_2:                              ;   in Loop: Header=BB103_4 Depth=1
	s_add_co_i32 s2, s2, 0x10000
	s_delay_alu instid0(SALU_CYCLE_1)
	s_cmp_ge_u32 s2, s28
	s_cselect_b32 s14, -1, 0
	s_and_not1_b32 s37, s37, exec_lo
	s_or_not1_b32 s14, s14, exec_lo
.LBB103_3:                              ;   in Loop: Header=BB103_4 Depth=1
	s_or_b32 exec_lo, exec_lo, s3
	s_delay_alu instid0(SALU_CYCLE_1) | instskip(NEXT) | instid1(SALU_CYCLE_1)
	s_and_b32 s3, exec_lo, s14
	s_or_b32 s35, s3, s35
	s_and_not1_b32 s3, s36, exec_lo
	s_and_b32 s14, s37, exec_lo
	s_delay_alu instid0(SALU_CYCLE_1)
	s_or_b32 s36, s3, s14
	s_and_not1_b32 exec_lo, exec_lo, s35
	s_cbranch_execz .LBB103_53
.LBB103_4:                              ; =>This Loop Header: Depth=1
                                        ;     Child Loop BB103_6 Depth 2
                                        ;     Child Loop BB103_14 Depth 2
                                        ;       Child Loop BB103_17 Depth 3
                                        ;         Child Loop BB103_18 Depth 4
                                        ;         Child Loop BB103_21 Depth 4
                                        ;           Child Loop BB103_22 Depth 5
                                        ;         Child Loop BB103_26 Depth 4
                                        ;           Child Loop BB103_28 Depth 5
                                        ;     Child Loop BB103_36 Depth 2
                                        ;       Child Loop BB103_39 Depth 3
                                        ;         Child Loop BB103_40 Depth 4
                                        ;         Child Loop BB103_42 Depth 4
                                        ;           Child Loop BB103_43 Depth 5
                                        ;         Child Loop BB103_47 Depth 4
                                        ;           Child Loop BB103_49 Depth 5
	s_mov_b32 s3, s15
	s_delay_alu instid0(SALU_CYCLE_1) | instskip(NEXT) | instid1(SALU_CYCLE_1)
	s_lshl_b64 s[18:19], s[2:3], 3
	s_add_nc_u64 s[20:21], s[8:9], s[18:19]
	global_load_b64 v[3:4], v10, s[20:21]
	s_and_saveexec_b32 s3, s0
	s_cbranch_execz .LBB103_10
; %bb.5:                                ;   in Loop: Header=BB103_4 Depth=1
	s_add_nc_u64 s[18:19], s[6:7], s[18:19]
	v_mov_b32_e32 v7, v9
	global_load_b64 v[5:6], v10, s[18:19]
	s_mov_b32 s14, s29
	s_wait_loadcnt 0x0
	v_add_co_u32 v5, vcc_lo, v5, s16
	s_wait_alu 0xfffd
	v_add_co_ci_u32_e64 v6, null, s17, v6, vcc_lo
	s_delay_alu instid0(VALU_DEP_2) | instskip(SKIP_1) | instid1(VALU_DEP_2)
	v_add_co_u32 v5, vcc_lo, v5, v0
	s_wait_alu 0xfffd
	v_add_co_ci_u32_e64 v6, null, 0, v6, vcc_lo
.LBB103_6:                              ;   Parent Loop BB103_4 Depth=1
                                        ; =>  This Inner Loop Header: Depth=2
	flat_load_b64 v[14:15], v[5:6]
	v_add_co_u32 v5, vcc_lo, v5, s12
	s_wait_alu 0xfffd
	v_add_co_ci_u32_e64 v6, null, s13, v6, vcc_lo
	s_add_co_i32 s14, s14, -1
	s_delay_alu instid0(SALU_CYCLE_1)
	s_cmp_eq_u32 s14, 0
	s_wait_loadcnt_dscnt 0x0
	ds_store_b64 v7, v[14:15]
	v_add_nc_u32_e32 v7, 0x100, v7
	s_cbranch_scc0 .LBB103_6
; %bb.7:                                ;   in Loop: Header=BB103_4 Depth=1
	v_mov_b32_e32 v5, 0
	v_mov_b32_e32 v6, 0x3ff00000
	s_and_b32 vcc_lo, exec_lo, s31
	s_wait_alu 0xfffe
	s_cbranch_vccz .LBB103_9
; %bb.8:                                ;   in Loop: Header=BB103_4 Depth=1
	ds_load_b64 v[5:6], v13
	s_wait_dscnt 0x0
	v_div_scale_f64 v[7:8], null, v[5:6], v[5:6], 1.0
	s_delay_alu instid0(VALU_DEP_1) | instskip(NEXT) | instid1(TRANS32_DEP_1)
	v_rcp_f64_e32 v[14:15], v[7:8]
	v_fma_f64 v[16:17], -v[7:8], v[14:15], 1.0
	s_delay_alu instid0(VALU_DEP_1) | instskip(NEXT) | instid1(VALU_DEP_1)
	v_fma_f64 v[14:15], v[14:15], v[16:17], v[14:15]
	v_fma_f64 v[16:17], -v[7:8], v[14:15], 1.0
	s_delay_alu instid0(VALU_DEP_1) | instskip(SKIP_1) | instid1(VALU_DEP_1)
	v_fma_f64 v[14:15], v[14:15], v[16:17], v[14:15]
	v_div_scale_f64 v[16:17], vcc_lo, 1.0, v[5:6], 1.0
	v_mul_f64_e32 v[18:19], v[16:17], v[14:15]
	s_delay_alu instid0(VALU_DEP_1) | instskip(SKIP_1) | instid1(VALU_DEP_1)
	v_fma_f64 v[7:8], -v[7:8], v[18:19], v[16:17]
	s_wait_alu 0xfffd
	v_div_fmas_f64 v[7:8], v[7:8], v[14:15], v[18:19]
	s_delay_alu instid0(VALU_DEP_1)
	v_div_fixup_f64 v[5:6], v[7:8], v[5:6], 1.0
.LBB103_9:                              ;   in Loop: Header=BB103_4 Depth=1
	ds_store_b64 v13, v[5:6]
.LBB103_10:                             ;   in Loop: Header=BB103_4 Depth=1
	s_or_b32 exec_lo, exec_lo, s3
	s_mov_b32 s14, -1
	s_or_b32 s37, s37, exec_lo
	; wave barrier
	s_wait_loadcnt_dscnt 0x0
	global_inv scope:SCOPE_SE
	s_and_saveexec_b32 s3, s1
	s_cbranch_execz .LBB103_3
; %bb.11:                               ;   in Loop: Header=BB103_4 Depth=1
	v_add_co_u32 v5, vcc_lo, v3, s10
	s_wait_alu 0xfffd
	v_add_co_ci_u32_e64 v6, null, s11, v4, vcc_lo
	s_delay_alu instid0(VALU_DEP_2) | instskip(SKIP_1) | instid1(VALU_DEP_2)
	v_add_co_u32 v14, vcc_lo, v5, v1
	s_wait_alu 0xfffd
	v_add_co_ci_u32_e64 v15, null, v6, v2, vcc_lo
	s_and_not1_b32 vcc_lo, exec_lo, s33
	s_wait_alu 0xfffe
	s_cbranch_vccnz .LBB103_33
; %bb.12:                               ;   in Loop: Header=BB103_4 Depth=1
	v_add_co_u32 v16, vcc_lo, v3, v11
	s_wait_alu 0xfffd
	v_add_co_ci_u32_e64 v17, null, v4, v12, vcc_lo
	s_mov_b32 s20, 0
	s_mov_b32 s18, 0
	s_branch .LBB103_14
.LBB103_13:                             ;   in Loop: Header=BB103_14 Depth=2
	s_cmp_lt_i32 s18, s29
	s_cselect_b32 s14, -1, 0
	s_add_co_i32 s19, s20, 1
	s_cmp_lt_u32 s20, 2
	s_cselect_b32 s20, -1, 0
	s_wait_alu 0xfffe
	s_and_b32 s14, s14, s20
	s_mov_b32 s20, s19
	s_and_b32 vcc_lo, exec_lo, s14
	s_wait_alu 0xfffe
	s_cbranch_vccz .LBB103_32
.LBB103_14:                             ;   Parent Loop BB103_4 Depth=1
                                        ; =>  This Loop Header: Depth=2
                                        ;       Child Loop BB103_17 Depth 3
                                        ;         Child Loop BB103_18 Depth 4
                                        ;         Child Loop BB103_21 Depth 4
                                        ;           Child Loop BB103_22 Depth 5
                                        ;         Child Loop BB103_26 Depth 4
                                        ;           Child Loop BB103_28 Depth 5
	s_mov_b32 s21, s15
	s_getpc_b64 s[22:23]
	s_wait_alu 0xfffe
	s_sext_i32_i16 s23, s23
	s_add_co_u32 s22, s22, __const._ZL30rocblas_trsm_small_left_deviceILi32ELi32ELb0EddPKPKdPKPdEv13rocblas_fill_18rocblas_operation_17rocblas_diagonal_iiT3_T4_lilT5_lili.step_sizes@rel32@lo+12
	s_wait_alu 0xfffe
	s_add_co_ci_u32 s23, s23, __const._ZL30rocblas_trsm_small_left_deviceILi32ELi32ELb0EddPKPKdPKPdEv13rocblas_fill_18rocblas_operation_17rocblas_diagonal_iiT3_T4_lilT5_lili.step_sizes@rel32@hi+24
	s_lshl_b64 s[24:25], s[20:21], 2
	s_wait_alu 0xfffe
	s_add_nc_u64 s[22:23], s[22:23], s[24:25]
	s_load_b32 s22, s[22:23], 0x0
	s_wait_kmcnt 0x0
	s_add_co_i32 s21, s22, -1
	s_wait_alu 0xfffe
	s_add_co_i32 s14, s21, s18
	s_delay_alu instid0(SALU_CYCLE_1)
	s_cmp_ge_i32 s14, s29
	s_cbranch_scc1 .LBB103_13
; %bb.15:                               ;   in Loop: Header=BB103_14 Depth=2
	s_ashr_i32 s19, s18, 31
	s_ashr_i32 s23, s22, 31
	s_lshl_b64 s[24:25], s[18:19], 3
	s_max_i32 s38, s22, 1
	s_wait_alu 0xfffe
	v_add_co_u32 v5, vcc_lo, v16, s24
	s_wait_alu 0xfffd
	v_add_co_ci_u32_e64 v6, null, s25, v17, vcc_lo
	s_lshl_b64 s[24:25], s[22:23], 3
	s_lshl_b32 s19, s18, 8
	s_lshl_b32 s23, s22, 8
	s_mul_i32 s39, s18, 0x108
	s_mul_i32 s40, s22, 0x108
	s_branch .LBB103_17
.LBB103_16:                             ;   in Loop: Header=BB103_17 Depth=3
	v_add_co_u32 v5, vcc_lo, v5, s24
	s_add_co_i32 s18, s18, s22
	s_wait_alu 0xfffd
	v_add_co_ci_u32_e64 v6, null, s25, v6, vcc_lo
	s_add_co_i32 s14, s21, s18
	s_add_co_i32 s19, s19, s23
	;; [unrolled: 1-line block ×3, first 2 shown]
	s_cmp_ge_i32 s14, s29
	s_cbranch_scc1 .LBB103_13
.LBB103_17:                             ;   Parent Loop BB103_4 Depth=1
                                        ;     Parent Loop BB103_14 Depth=2
                                        ; =>    This Loop Header: Depth=3
                                        ;         Child Loop BB103_18 Depth 4
                                        ;         Child Loop BB103_21 Depth 4
                                        ;           Child Loop BB103_22 Depth 5
                                        ;         Child Loop BB103_26 Depth 4
                                        ;           Child Loop BB103_28 Depth 5
	v_dual_mov_b32 v8, v6 :: v_dual_mov_b32 v7, v5
	s_mov_b32 s14, 0
	s_mov_b32 s26, s38
.LBB103_18:                             ;   Parent Loop BB103_4 Depth=1
                                        ;     Parent Loop BB103_14 Depth=2
                                        ;       Parent Loop BB103_17 Depth=3
                                        ; =>      This Inner Loop Header: Depth=4
	flat_load_b64 v[18:19], v[7:8]
	v_add_co_u32 v7, vcc_lo, v7, 8
	s_wait_alu 0xfffd
	v_add_co_ci_u32_e64 v8, null, 0, v8, vcc_lo
	s_wait_alu 0xfffe
	s_add_co_i32 s26, s26, -1
	s_wait_loadcnt_dscnt 0x0
	v_mul_f64_e32 v[18:19], s[4:5], v[18:19]
	scratch_store_b64 off, v[18:19], s14
	s_add_co_i32 s14, s14, 8
	s_wait_alu 0xfffe
	s_cmp_eq_u32 s26, 0
	s_cbranch_scc0 .LBB103_18
; %bb.19:                               ;   in Loop: Header=BB103_17 Depth=3
	s_cmp_lt_i32 s18, 1
	s_cbranch_scc1 .LBB103_24
; %bb.20:                               ;   in Loop: Header=BB103_17 Depth=3
	s_mov_b32 s14, 0
	s_mov_b32 s26, s19
.LBB103_21:                             ;   Parent Loop BB103_4 Depth=1
                                        ;     Parent Loop BB103_14 Depth=2
                                        ;       Parent Loop BB103_17 Depth=3
                                        ; =>      This Loop Header: Depth=4
                                        ;           Child Loop BB103_22 Depth 5
	s_lshl_b64 s[42:43], s[14:15], 3
	s_mov_b32 s27, 0
	s_wait_alu 0xfffe
	v_add_co_u32 v7, vcc_lo, v14, s42
	s_wait_alu 0xfffd
	v_add_co_ci_u32_e64 v8, null, s43, v15, vcc_lo
	s_mov_b32 s41, s26
	s_mov_b32 s42, s38
	flat_load_b64 v[7:8], v[7:8]
.LBB103_22:                             ;   Parent Loop BB103_4 Depth=1
                                        ;     Parent Loop BB103_14 Depth=2
                                        ;       Parent Loop BB103_17 Depth=3
                                        ;         Parent Loop BB103_21 Depth=4
                                        ; =>        This Inner Loop Header: Depth=5
	scratch_load_b64 v[18:19], off, s27
	s_wait_alu 0xfffe
	v_mov_b32_e32 v20, s41
	s_add_co_i32 s42, s42, -1
	s_addk_co_i32 s41, 0x100
	ds_load_b64 v[20:21], v20
	s_wait_loadcnt_dscnt 0x0
	v_fma_f64 v[18:19], -v[7:8], v[20:21], v[18:19]
	scratch_store_b64 off, v[18:19], s27
	s_add_co_i32 s27, s27, 8
	s_wait_alu 0xfffe
	s_cmp_eq_u32 s42, 0
	s_cbranch_scc0 .LBB103_22
; %bb.23:                               ;   in Loop: Header=BB103_21 Depth=4
	s_add_co_i32 s14, s14, 1
	s_add_co_i32 s26, s26, 8
	s_cmp_eq_u32 s14, s18
	s_cbranch_scc0 .LBB103_21
.LBB103_24:                             ;   in Loop: Header=BB103_17 Depth=3
	s_mov_b32 s14, 0
	s_mov_b32 s41, s39
	s_branch .LBB103_26
.LBB103_25:                             ;   in Loop: Header=BB103_26 Depth=4
	s_wait_alu 0xfffe
	s_mul_i32 s27, s26, 0x108
	s_lshl_b32 s42, s14, 3
	s_wait_alu 0xfffe
	v_mov_b32_e32 v18, s27
	s_ashr_i32 s27, s26, 31
	s_add_co_i32 s14, s14, 1
	s_wait_alu 0xfffe
	s_lshl_b64 s[26:27], s[26:27], 3
	s_addk_co_i32 s41, 0x100
	ds_load_b64 v[18:19], v18
	s_cmp_eq_u32 s14, s38
	s_wait_loadcnt_dscnt 0x0
	v_mul_f64_e32 v[7:8], v[18:19], v[7:8]
	s_wait_alu 0xfffe
	v_add_co_u32 v18, vcc_lo, v14, s26
	s_wait_alu 0xfffd
	v_add_co_ci_u32_e64 v19, null, s27, v15, vcc_lo
	scratch_store_b64 off, v[7:8], s42
	flat_store_b64 v[18:19], v[7:8]
	s_cbranch_scc1 .LBB103_16
.LBB103_26:                             ;   Parent Loop BB103_4 Depth=1
                                        ;     Parent Loop BB103_14 Depth=2
                                        ;       Parent Loop BB103_17 Depth=3
                                        ; =>      This Loop Header: Depth=4
                                        ;           Child Loop BB103_28 Depth 5
	s_cmp_lg_u32 s14, 0
	s_cbranch_scc0 .LBB103_30
; %bb.27:                               ;   in Loop: Header=BB103_26 Depth=4
	s_lshl_b32 s27, s14, 3
	s_add_co_i32 s26, s14, s18
	scratch_load_b64 v[7:8], off, s27
	s_mov_b32 s42, 0
	s_wait_alu 0xfffe
	s_mov_b32 s43, s41
	s_mov_b32 s44, s14
.LBB103_28:                             ;   Parent Loop BB103_4 Depth=1
                                        ;     Parent Loop BB103_14 Depth=2
                                        ;       Parent Loop BB103_17 Depth=3
                                        ;         Parent Loop BB103_26 Depth=4
                                        ; =>        This Inner Loop Header: Depth=5
	scratch_load_b64 v[18:19], off, s42
	s_wait_alu 0xfffe
	v_mov_b32_e32 v20, s43
	s_add_co_i32 s44, s44, -1
	s_add_co_i32 s42, s42, 8
	s_add_co_i32 s43, s43, 8
	s_cmp_eq_u32 s44, 0
	ds_load_b64 v[20:21], v20
	s_wait_loadcnt_dscnt 0x0
	v_fma_f64 v[7:8], -v[18:19], v[20:21], v[7:8]
	scratch_store_b64 off, v[7:8], s27
	s_cbranch_scc0 .LBB103_28
; %bb.29:                               ;   in Loop: Header=BB103_26 Depth=4
	s_branch .LBB103_25
.LBB103_30:                             ;   in Loop: Header=BB103_26 Depth=4
                                        ; implicit-def: $vgpr7_vgpr8
                                        ; implicit-def: $sgpr26
	s_cbranch_execz .LBB103_25
; %bb.31:                               ;   in Loop: Header=BB103_26 Depth=4
	scratch_load_b64 v[7:8], off, off
	s_mov_b32 s26, s18
	s_branch .LBB103_25
.LBB103_32:                             ;   in Loop: Header=BB103_4 Depth=1
	s_mov_b32 s14, 0
.LBB103_33:                             ;   in Loop: Header=BB103_4 Depth=1
	s_delay_alu instid0(SALU_CYCLE_1)
	s_and_b32 vcc_lo, exec_lo, s14
	s_wait_alu 0xfffe
	s_cbranch_vccz .LBB103_2
; %bb.34:                               ;   in Loop: Header=BB103_4 Depth=1
	v_add_co_u32 v5, vcc_lo, v3, v11
	s_wait_alu 0xfffd
	v_add_co_ci_u32_e64 v6, null, v4, v12, vcc_lo
	s_mov_b32 s14, 0
	s_mov_b32 s18, s30
	s_branch .LBB103_36
.LBB103_35:                             ;   in Loop: Header=BB103_36 Depth=2
	s_cmp_gt_i32 s18, -1
	s_cselect_b32 s19, -1, 0
	s_add_co_i32 s20, s14, 1
	s_cmp_lt_u32 s14, 2
	s_cselect_b32 s14, -1, 0
	s_delay_alu instid0(SALU_CYCLE_1) | instskip(NEXT) | instid1(SALU_CYCLE_1)
	s_and_b32 s14, s19, s14
	s_and_not1_b32 vcc_lo, exec_lo, s14
	s_wait_alu 0xfffe
	s_mov_b32 s14, s20
	s_cbranch_vccnz .LBB103_2
.LBB103_36:                             ;   Parent Loop BB103_4 Depth=1
                                        ; =>  This Loop Header: Depth=2
                                        ;       Child Loop BB103_39 Depth 3
                                        ;         Child Loop BB103_40 Depth 4
                                        ;         Child Loop BB103_42 Depth 4
                                        ;           Child Loop BB103_43 Depth 5
                                        ;         Child Loop BB103_47 Depth 4
                                        ;           Child Loop BB103_49 Depth 5
	s_getpc_b64 s[20:21]
	s_wait_alu 0xfffe
	s_sext_i32_i16 s21, s21
	s_add_co_u32 s20, s20, __const._ZL30rocblas_trsm_small_left_deviceILi32ELi32ELb0EddPKPKdPKPdEv13rocblas_fill_18rocblas_operation_17rocblas_diagonal_iiT3_T4_lilT5_lili.step_sizes@rel32@lo+12
	s_wait_alu 0xfffe
	s_add_co_ci_u32 s21, s21, __const._ZL30rocblas_trsm_small_left_deviceILi32ELi32ELb0EddPKPKdPKPdEv13rocblas_fill_18rocblas_operation_17rocblas_diagonal_iiT3_T4_lilT5_lili.step_sizes@rel32@hi+24
	s_lshl_b64 s[22:23], s[14:15], 2
	s_wait_alu 0xfffe
	s_add_nc_u64 s[20:21], s[20:21], s[22:23]
	s_load_b32 s24, s[20:21], 0x0
	s_wait_kmcnt 0x0
	s_add_co_i32 s25, s24, -1
	s_wait_alu 0xfffe
	s_cmp_lt_i32 s18, s25
	s_cbranch_scc1 .LBB103_35
; %bb.37:                               ;   in Loop: Header=BB103_36 Depth=2
	s_lshl_b32 s19, s18, 3
	s_lshl_b32 s20, s24, 3
	s_max_i32 s26, s24, 1
	s_add_co_i32 s27, s34, s19
	s_wait_alu 0xfffe
	s_sub_co_i32 s38, 0, s20
	s_mul_i32 s39, s18, 0x108
	s_mul_i32 s40, s24, 0xfffffef8
	s_branch .LBB103_39
.LBB103_38:                             ;   in Loop: Header=BB103_39 Depth=3
	s_sub_co_i32 s18, s18, s24
	s_add_co_i32 s27, s27, s38
	s_add_co_i32 s39, s39, s40
	s_cmp_lt_i32 s18, s25
	s_cbranch_scc1 .LBB103_35
.LBB103_39:                             ;   Parent Loop BB103_4 Depth=1
                                        ;     Parent Loop BB103_36 Depth=2
                                        ; =>    This Loop Header: Depth=3
                                        ;         Child Loop BB103_40 Depth 4
                                        ;         Child Loop BB103_42 Depth 4
                                        ;           Child Loop BB103_43 Depth 5
                                        ;         Child Loop BB103_47 Depth 4
                                        ;           Child Loop BB103_49 Depth 5
	s_ashr_i32 s19, s18, 31
	s_delay_alu instid0(SALU_CYCLE_1)
	s_lshl_b64 s[20:21], s[18:19], 3
	s_wait_alu 0xfffe
	v_add_co_u32 v3, vcc_lo, v5, s20
	s_wait_alu 0xfffd
	v_add_co_ci_u32_e64 v4, null, s21, v6, vcc_lo
	s_mov_b32 s20, 0
	s_mov_b32 s21, s26
.LBB103_40:                             ;   Parent Loop BB103_4 Depth=1
                                        ;     Parent Loop BB103_36 Depth=2
                                        ;       Parent Loop BB103_39 Depth=3
                                        ; =>      This Inner Loop Header: Depth=4
	flat_load_b64 v[7:8], v[3:4]
	v_add_co_u32 v3, vcc_lo, v3, -8
	s_wait_alu 0xfffd
	v_add_co_ci_u32_e64 v4, null, -1, v4, vcc_lo
	s_wait_alu 0xfffe
	s_add_co_i32 s21, s21, -1
	s_wait_loadcnt_dscnt 0x0
	v_mul_f64_e32 v[7:8], s[4:5], v[7:8]
	scratch_store_b64 off, v[7:8], s20
	s_add_co_i32 s20, s20, 8
	s_wait_alu 0xfffe
	s_cmp_eq_u32 s21, 0
	s_cbranch_scc0 .LBB103_40
; %bb.41:                               ;   in Loop: Header=BB103_39 Depth=3
	s_cmp_le_i32 s30, s18
	s_mov_b32 s22, s27
	s_mov_b32 s20, s30
	s_cbranch_scc1 .LBB103_45
.LBB103_42:                             ;   Parent Loop BB103_4 Depth=1
                                        ;     Parent Loop BB103_36 Depth=2
                                        ;       Parent Loop BB103_39 Depth=3
                                        ; =>      This Loop Header: Depth=4
                                        ;           Child Loop BB103_43 Depth 5
	s_wait_alu 0xfffe
	s_ashr_i32 s21, s20, 31
	s_mov_b32 s23, s22
	s_wait_alu 0xfffe
	s_lshl_b64 s[42:43], s[20:21], 3
	s_mov_b32 s21, 0
	s_wait_alu 0xfffe
	v_add_co_u32 v3, vcc_lo, v14, s42
	s_wait_alu 0xfffd
	v_add_co_ci_u32_e64 v4, null, s43, v15, vcc_lo
	s_mov_b32 s41, s26
	flat_load_b64 v[3:4], v[3:4]
.LBB103_43:                             ;   Parent Loop BB103_4 Depth=1
                                        ;     Parent Loop BB103_36 Depth=2
                                        ;       Parent Loop BB103_39 Depth=3
                                        ;         Parent Loop BB103_42 Depth=4
                                        ; =>        This Inner Loop Header: Depth=5
	scratch_load_b64 v[7:8], off, s21
	v_mov_b32_e32 v16, s23
	s_wait_alu 0xfffe
	s_add_co_i32 s41, s41, -1
	s_add_co_i32 s23, s23, -8
	ds_load_b64 v[16:17], v16
	s_wait_loadcnt_dscnt 0x0
	v_fma_f64 v[7:8], -v[3:4], v[16:17], v[7:8]
	scratch_store_b64 off, v[7:8], s21
	s_add_co_i32 s21, s21, 8
	s_wait_alu 0xfffe
	s_cmp_eq_u32 s41, 0
	s_cbranch_scc0 .LBB103_43
; %bb.44:                               ;   in Loop: Header=BB103_42 Depth=4
	s_add_co_i32 s20, s20, -1
	s_addk_co_i32 s22, 0xff00
	s_wait_alu 0xfffe
	s_cmp_le_i32 s20, s18
	s_cbranch_scc0 .LBB103_42
.LBB103_45:                             ;   in Loop: Header=BB103_39 Depth=3
	s_mov_b32 s41, 0
	s_mov_b32 s42, s39
	s_branch .LBB103_47
.LBB103_46:                             ;   in Loop: Header=BB103_47 Depth=4
	s_wait_alu 0xfffe
	s_mulk_i32 s22, 0x108
	s_lshl_b64 s[20:21], s[20:21], 3
	s_wait_alu 0xfffe
	v_mov_b32_e32 v7, s22
	s_lshl_b32 s22, s41, 3
	s_add_co_i32 s41, s41, 1
	s_add_co_i32 s42, s42, -8
	s_wait_alu 0xfffe
	s_cmp_eq_u32 s41, s26
	ds_load_b64 v[7:8], v7
	s_wait_loadcnt_dscnt 0x0
	v_mul_f64_e32 v[3:4], v[7:8], v[3:4]
	v_add_co_u32 v7, vcc_lo, v14, s20
	s_wait_alu 0xfffd
	v_add_co_ci_u32_e64 v8, null, s21, v15, vcc_lo
	scratch_store_b64 off, v[3:4], s22
	flat_store_b64 v[7:8], v[3:4]
	s_cbranch_scc1 .LBB103_38
.LBB103_47:                             ;   Parent Loop BB103_4 Depth=1
                                        ;     Parent Loop BB103_36 Depth=2
                                        ;       Parent Loop BB103_39 Depth=3
                                        ; =>      This Loop Header: Depth=4
                                        ;           Child Loop BB103_49 Depth 5
	s_wait_alu 0xfffe
	s_cmp_lg_u32 s41, 0
	s_cbranch_scc0 .LBB103_51
; %bb.48:                               ;   in Loop: Header=BB103_47 Depth=4
	s_lshl_b32 s20, s41, 3
	s_mov_b32 s21, 0
	scratch_load_b64 v[3:4], off, s20
	s_mov_b32 s22, s42
	s_mov_b32 s23, s41
.LBB103_49:                             ;   Parent Loop BB103_4 Depth=1
                                        ;     Parent Loop BB103_36 Depth=2
                                        ;       Parent Loop BB103_39 Depth=3
                                        ;         Parent Loop BB103_47 Depth=4
                                        ; =>        This Inner Loop Header: Depth=5
	scratch_load_b64 v[7:8], off, s21
	s_wait_alu 0xfffe
	v_mov_b32_e32 v16, s22
	s_add_co_i32 s23, s23, -1
	s_addk_co_i32 s22, 0xff00
	s_add_co_i32 s21, s21, 8
	s_wait_alu 0xfffe
	s_cmp_eq_u32 s23, 0
	ds_load_b64 v[16:17], v16
	s_wait_loadcnt_dscnt 0x0
	v_fma_f64 v[3:4], -v[7:8], v[16:17], v[3:4]
	scratch_store_b64 off, v[3:4], s20
	s_cbranch_scc0 .LBB103_49
; %bb.50:                               ;   in Loop: Header=BB103_47 Depth=4
	s_sub_co_i32 s22, s18, s41
	s_wait_alu 0xfffe
	s_ashr_i32 s23, s22, 31
	s_wait_alu 0xfffe
	s_mov_b64 s[20:21], s[22:23]
	s_branch .LBB103_46
.LBB103_51:                             ;   in Loop: Header=BB103_47 Depth=4
                                        ; implicit-def: $vgpr3_vgpr4
                                        ; implicit-def: $sgpr22
                                        ; implicit-def: $sgpr20_sgpr21
	s_cbranch_execz .LBB103_46
; %bb.52:                               ;   in Loop: Header=BB103_47 Depth=4
	scratch_load_b64 v[3:4], off, off
	s_mov_b64 s[20:21], s[18:19]
	s_mov_b32 s22, s18
	s_branch .LBB103_46
.LBB103_53:
	s_or_b32 exec_lo, exec_lo, s35
	s_and_saveexec_b32 s0, s36
	s_wait_alu 0xfffe
	s_xor_b32 s0, exec_lo, s0
.LBB103_54:
	s_endpgm
	.section	.rodata,"a",@progbits
	.p2align	6, 0x0
	.amdhsa_kernel _ZL30rocblas_trsm_small_left_deviceILi32ELi32ELb0EddPKPKdPKPdEv13rocblas_fill_18rocblas_operation_17rocblas_diagonal_iiT3_T4_lilT5_lili
		.amdhsa_group_segment_fixed_size 8192
		.amdhsa_private_segment_fixed_size 272
		.amdhsa_kernarg_size 360
		.amdhsa_user_sgpr_count 2
		.amdhsa_user_sgpr_dispatch_ptr 0
		.amdhsa_user_sgpr_queue_ptr 0
		.amdhsa_user_sgpr_kernarg_segment_ptr 1
		.amdhsa_user_sgpr_dispatch_id 0
		.amdhsa_user_sgpr_private_segment_size 0
		.amdhsa_wavefront_size32 1
		.amdhsa_uses_dynamic_stack 0
		.amdhsa_enable_private_segment 1
		.amdhsa_system_sgpr_workgroup_id_x 1
		.amdhsa_system_sgpr_workgroup_id_y 0
		.amdhsa_system_sgpr_workgroup_id_z 1
		.amdhsa_system_sgpr_workgroup_info 0
		.amdhsa_system_vgpr_workitem_id 0
		.amdhsa_next_free_vgpr 241
		.amdhsa_next_free_sgpr 45
		.amdhsa_reserve_vcc 1
		.amdhsa_float_round_mode_32 0
		.amdhsa_float_round_mode_16_64 0
		.amdhsa_float_denorm_mode_32 3
		.amdhsa_float_denorm_mode_16_64 3
		.amdhsa_fp16_overflow 0
		.amdhsa_workgroup_processor_mode 1
		.amdhsa_memory_ordered 1
		.amdhsa_forward_progress 1
		.amdhsa_inst_pref_size 19
		.amdhsa_round_robin_scheduling 0
		.amdhsa_exception_fp_ieee_invalid_op 0
		.amdhsa_exception_fp_denorm_src 0
		.amdhsa_exception_fp_ieee_div_zero 0
		.amdhsa_exception_fp_ieee_overflow 0
		.amdhsa_exception_fp_ieee_underflow 0
		.amdhsa_exception_fp_ieee_inexact 0
		.amdhsa_exception_int_div_zero 0
	.end_amdhsa_kernel
	.section	.text._ZL30rocblas_trsm_small_left_deviceILi32ELi32ELb0EddPKPKdPKPdEv13rocblas_fill_18rocblas_operation_17rocblas_diagonal_iiT3_T4_lilT5_lili,"axG",@progbits,_ZL30rocblas_trsm_small_left_deviceILi32ELi32ELb0EddPKPKdPKPdEv13rocblas_fill_18rocblas_operation_17rocblas_diagonal_iiT3_T4_lilT5_lili,comdat
.Lfunc_end103:
	.size	_ZL30rocblas_trsm_small_left_deviceILi32ELi32ELb0EddPKPKdPKPdEv13rocblas_fill_18rocblas_operation_17rocblas_diagonal_iiT3_T4_lilT5_lili, .Lfunc_end103-_ZL30rocblas_trsm_small_left_deviceILi32ELi32ELb0EddPKPKdPKPdEv13rocblas_fill_18rocblas_operation_17rocblas_diagonal_iiT3_T4_lilT5_lili
                                        ; -- End function
	.set _ZL30rocblas_trsm_small_left_deviceILi32ELi32ELb0EddPKPKdPKPdEv13rocblas_fill_18rocblas_operation_17rocblas_diagonal_iiT3_T4_lilT5_lili.num_vgpr, 22
	.set _ZL30rocblas_trsm_small_left_deviceILi32ELi32ELb0EddPKPKdPKPdEv13rocblas_fill_18rocblas_operation_17rocblas_diagonal_iiT3_T4_lilT5_lili.num_agpr, 0
	.set _ZL30rocblas_trsm_small_left_deviceILi32ELi32ELb0EddPKPKdPKPdEv13rocblas_fill_18rocblas_operation_17rocblas_diagonal_iiT3_T4_lilT5_lili.numbered_sgpr, 45
	.set _ZL30rocblas_trsm_small_left_deviceILi32ELi32ELb0EddPKPKdPKPdEv13rocblas_fill_18rocblas_operation_17rocblas_diagonal_iiT3_T4_lilT5_lili.num_named_barrier, 0
	.set _ZL30rocblas_trsm_small_left_deviceILi32ELi32ELb0EddPKPKdPKPdEv13rocblas_fill_18rocblas_operation_17rocblas_diagonal_iiT3_T4_lilT5_lili.private_seg_size, 272
	.set _ZL30rocblas_trsm_small_left_deviceILi32ELi32ELb0EddPKPKdPKPdEv13rocblas_fill_18rocblas_operation_17rocblas_diagonal_iiT3_T4_lilT5_lili.uses_vcc, 1
	.set _ZL30rocblas_trsm_small_left_deviceILi32ELi32ELb0EddPKPKdPKPdEv13rocblas_fill_18rocblas_operation_17rocblas_diagonal_iiT3_T4_lilT5_lili.uses_flat_scratch, 0
	.set _ZL30rocblas_trsm_small_left_deviceILi32ELi32ELb0EddPKPKdPKPdEv13rocblas_fill_18rocblas_operation_17rocblas_diagonal_iiT3_T4_lilT5_lili.has_dyn_sized_stack, 0
	.set _ZL30rocblas_trsm_small_left_deviceILi32ELi32ELb0EddPKPKdPKPdEv13rocblas_fill_18rocblas_operation_17rocblas_diagonal_iiT3_T4_lilT5_lili.has_recursion, 0
	.set _ZL30rocblas_trsm_small_left_deviceILi32ELi32ELb0EddPKPKdPKPdEv13rocblas_fill_18rocblas_operation_17rocblas_diagonal_iiT3_T4_lilT5_lili.has_indirect_call, 0
	.section	.AMDGPU.csdata,"",@progbits
; Kernel info:
; codeLenInByte = 2368
; TotalNumSgprs: 47
; NumVgprs: 22
; ScratchSize: 272
; MemoryBound: 0
; FloatMode: 240
; IeeeMode: 1
; LDSByteSize: 8192 bytes/workgroup (compile time only)
; SGPRBlocks: 0
; VGPRBlocks: 30
; NumSGPRsForWavesPerEU: 47
; NumVGPRsForWavesPerEU: 241
; Occupancy: 4
; WaveLimiterHint : 1
; COMPUTE_PGM_RSRC2:SCRATCH_EN: 1
; COMPUTE_PGM_RSRC2:USER_SGPR: 2
; COMPUTE_PGM_RSRC2:TRAP_HANDLER: 0
; COMPUTE_PGM_RSRC2:TGID_X_EN: 1
; COMPUTE_PGM_RSRC2:TGID_Y_EN: 0
; COMPUTE_PGM_RSRC2:TGID_Z_EN: 1
; COMPUTE_PGM_RSRC2:TIDIG_COMP_CNT: 0
	.section	.text._ZL38rocblas_trsm_small_left_device_sharedBILi32ELi32ELb1EddPKPKdPKPdEv13rocblas_fill_18rocblas_operation_17rocblas_diagonal_iiT3_T4_lilT5_lili,"axG",@progbits,_ZL38rocblas_trsm_small_left_device_sharedBILi32ELi32ELb1EddPKPKdPKPdEv13rocblas_fill_18rocblas_operation_17rocblas_diagonal_iiT3_T4_lilT5_lili,comdat
	.globl	_ZL38rocblas_trsm_small_left_device_sharedBILi32ELi32ELb1EddPKPKdPKPdEv13rocblas_fill_18rocblas_operation_17rocblas_diagonal_iiT3_T4_lilT5_lili ; -- Begin function _ZL38rocblas_trsm_small_left_device_sharedBILi32ELi32ELb1EddPKPKdPKPdEv13rocblas_fill_18rocblas_operation_17rocblas_diagonal_iiT3_T4_lilT5_lili
	.p2align	8
	.type	_ZL38rocblas_trsm_small_left_device_sharedBILi32ELi32ELb1EddPKPKdPKPdEv13rocblas_fill_18rocblas_operation_17rocblas_diagonal_iiT3_T4_lilT5_lili,@function
_ZL38rocblas_trsm_small_left_device_sharedBILi32ELi32ELb1EddPKPKdPKPdEv13rocblas_fill_18rocblas_operation_17rocblas_diagonal_iiT3_T4_lilT5_lili: ; @_ZL38rocblas_trsm_small_left_device_sharedBILi32ELi32ELb1EddPKPKdPKPdEv13rocblas_fill_18rocblas_operation_17rocblas_diagonal_iiT3_T4_lilT5_lili
; %bb.0:
	s_load_b32 s22, s[0:1], 0x60
	s_lshr_b32 s2, ttmp7, 16
	s_wait_kmcnt 0x0
	s_cmp_ge_u32 s2, s22
	s_cbranch_scc1 .LBB104_57
; %bb.1:
	s_clause 0x5
	s_load_b96 s[16:18], s[0:1], 0x28
	s_load_b32 s20, s[0:1], 0x50
	s_load_b128 s[12:15], s[0:1], 0x4
	s_load_b32 s3, s[0:1], 0x68
	s_load_b128 s[4:7], s[0:1], 0x18
	s_load_b128 s[8:11], s[0:1], 0x40
	s_lshl_b32 s26, ttmp9, 5
	v_dual_mov_b32 v7, 0 :: v_dual_lshlrev_b32 v6, 3, v0
	v_lshlrev_b32_e32 v3, 8, v0
	v_lshlrev_b32_e32 v9, 3, v0
	s_mov_b32 s19, 0
	s_delay_alu instid0(VALU_DEP_3) | instskip(NEXT) | instid1(VALU_DEP_3)
	v_or_b32_e32 v8, 0x2000, v6
	v_add_nc_u32_e32 v10, v6, v3
	s_wait_kmcnt 0x0
	s_ashr_i32 s29, s18, 31
	s_ashr_i32 s21, s20, 31
	s_min_i32 s1, s14, 32
	s_add_co_i32 s3, s3, -1
	s_sub_co_i32 s0, s15, s26
	s_add_co_i32 s23, s1, -1
	v_mad_co_i64_i32 v[1:2], null, s20, v0, 0
	s_cmp_ge_u32 ttmp9, s3
	s_mov_b32 s28, s18
	s_cselect_b32 s3, s0, 32
	s_ashr_i32 s27, s26, 31
	s_cmp_lg_u32 s13, 0x84
	v_cmp_gt_i32_e32 vcc_lo, s3, v0
	s_cselect_b32 s24, -1, 0
	s_cmp_gt_i32 s14, 0
	v_cmp_gt_i32_e64 s0, s1, v0
	s_cselect_b32 s3, -1, 0
	s_cmp_lg_u32 s12, 0x6f
	v_lshlrev_b64_e32 v[0:1], 3, v[1:2]
	s_mul_u64 s[20:21], s[20:21], s[26:27]
	s_cselect_b32 s25, -1, 0
	s_lshl_b32 s27, s1, 3
	s_wait_alu 0xfffe
	s_and_b32 s26, vcc_lo, s3
	s_lshl_b64 s[12:13], s[28:29], 3
	s_add_co_i32 s27, s27, -8
	s_lshl_b64 s[14:15], s[16:17], 3
	s_lshl_b64 s[10:11], s[10:11], 3
	;; [unrolled: 1-line block ×3, first 2 shown]
	s_branch .LBB104_3
.LBB104_2:                              ;   in Loop: Header=BB104_3 Depth=1
	s_wait_alu 0xfffe
	s_or_b32 exec_lo, exec_lo, s3
	s_add_co_i32 s2, s2, 0x10000
	s_wait_alu 0xfffe
	s_cmp_lt_u32 s2, s22
	s_cbranch_scc0 .LBB104_57
.LBB104_3:                              ; =>This Loop Header: Depth=1
                                        ;     Child Loop BB104_5 Depth 2
                                        ;     Child Loop BB104_11 Depth 2
	;; [unrolled: 1-line block ×3, first 2 shown]
                                        ;       Child Loop BB104_18 Depth 3
                                        ;         Child Loop BB104_19 Depth 4
                                        ;         Child Loop BB104_21 Depth 4
                                        ;           Child Loop BB104_22 Depth 5
                                        ;         Child Loop BB104_26 Depth 4
                                        ;           Child Loop BB104_28 Depth 5
                                        ;     Child Loop BB104_36 Depth 2
                                        ;       Child Loop BB104_39 Depth 3
                                        ;         Child Loop BB104_40 Depth 4
                                        ;         Child Loop BB104_43 Depth 4
                                        ;           Child Loop BB104_44 Depth 5
                                        ;         Child Loop BB104_48 Depth 4
                                        ;           Child Loop BB104_50 Depth 5
                                        ;     Child Loop BB104_56 Depth 2
	s_mov_b32 s3, s19
	s_wait_alu 0xfffe
	s_lshl_b64 s[20:21], s[2:3], 3
	s_wait_alu 0xfffe
	s_add_nc_u64 s[28:29], s[8:9], s[20:21]
	global_load_b64 v[2:3], v7, s[28:29]
	s_and_saveexec_b32 s3, s0
	s_cbranch_execz .LBB104_9
; %bb.4:                                ;   in Loop: Header=BB104_3 Depth=1
	s_add_nc_u64 s[20:21], s[6:7], s[20:21]
	v_mov_b32_e32 v11, v6
	global_load_b64 v[4:5], v7, s[20:21]
	s_mov_b32 s18, s1
	s_wait_loadcnt 0x0
	v_add_co_u32 v4, vcc_lo, v4, s14
	s_wait_alu 0xfffd
	v_add_co_ci_u32_e64 v5, null, s15, v5, vcc_lo
	s_delay_alu instid0(VALU_DEP_2) | instskip(SKIP_1) | instid1(VALU_DEP_2)
	v_add_co_u32 v4, vcc_lo, v4, v9
	s_wait_alu 0xfffd
	v_add_co_ci_u32_e64 v5, null, 0, v5, vcc_lo
.LBB104_5:                              ;   Parent Loop BB104_3 Depth=1
                                        ; =>  This Inner Loop Header: Depth=2
	flat_load_b64 v[12:13], v[4:5]
	v_add_co_u32 v4, vcc_lo, v4, s12
	s_wait_alu 0xfffd
	v_add_co_ci_u32_e64 v5, null, s13, v5, vcc_lo
	s_add_co_i32 s18, s18, -1
	s_delay_alu instid0(SALU_CYCLE_1)
	s_cmp_eq_u32 s18, 0
	s_wait_loadcnt_dscnt 0x0
	ds_store_b64 v11, v[12:13]
	v_add_nc_u32_e32 v11, 0x100, v11
	s_cbranch_scc0 .LBB104_5
; %bb.6:                                ;   in Loop: Header=BB104_3 Depth=1
	v_mov_b32_e32 v4, 0
	v_mov_b32_e32 v5, 0x3ff00000
	s_and_b32 vcc_lo, exec_lo, s24
	s_wait_alu 0xfffe
	s_cbranch_vccz .LBB104_8
; %bb.7:                                ;   in Loop: Header=BB104_3 Depth=1
	ds_load_b64 v[4:5], v10
	s_wait_dscnt 0x0
	v_div_scale_f64 v[11:12], null, v[4:5], v[4:5], 1.0
	s_delay_alu instid0(VALU_DEP_1) | instskip(NEXT) | instid1(TRANS32_DEP_1)
	v_rcp_f64_e32 v[13:14], v[11:12]
	v_fma_f64 v[15:16], -v[11:12], v[13:14], 1.0
	s_delay_alu instid0(VALU_DEP_1) | instskip(NEXT) | instid1(VALU_DEP_1)
	v_fma_f64 v[13:14], v[13:14], v[15:16], v[13:14]
	v_fma_f64 v[15:16], -v[11:12], v[13:14], 1.0
	s_delay_alu instid0(VALU_DEP_1) | instskip(SKIP_1) | instid1(VALU_DEP_1)
	v_fma_f64 v[13:14], v[13:14], v[15:16], v[13:14]
	v_div_scale_f64 v[15:16], vcc_lo, 1.0, v[4:5], 1.0
	v_mul_f64_e32 v[17:18], v[15:16], v[13:14]
	s_delay_alu instid0(VALU_DEP_1) | instskip(SKIP_1) | instid1(VALU_DEP_1)
	v_fma_f64 v[11:12], -v[11:12], v[17:18], v[15:16]
	s_wait_alu 0xfffd
	v_div_fmas_f64 v[11:12], v[11:12], v[13:14], v[17:18]
	s_delay_alu instid0(VALU_DEP_1)
	v_div_fixup_f64 v[4:5], v[11:12], v[4:5], 1.0
.LBB104_8:                              ;   in Loop: Header=BB104_3 Depth=1
	ds_store_b64 v10, v[4:5]
.LBB104_9:                              ;   in Loop: Header=BB104_3 Depth=1
	s_wait_alu 0xfffe
	s_or_b32 exec_lo, exec_lo, s3
	s_wait_loadcnt 0x0
	v_add_co_u32 v2, vcc_lo, v2, s10
	s_wait_alu 0xfffd
	v_add_co_ci_u32_e64 v3, null, s11, v3, vcc_lo
	s_delay_alu instid0(VALU_DEP_2) | instskip(SKIP_1) | instid1(VALU_DEP_2)
	v_add_co_u32 v4, vcc_lo, v2, s16
	s_wait_alu 0xfffd
	v_add_co_ci_u32_e64 v5, null, s17, v3, vcc_lo
	s_and_saveexec_b32 s3, s26
	s_cbranch_execz .LBB104_12
; %bb.10:                               ;   in Loop: Header=BB104_3 Depth=1
	v_add_co_u32 v2, vcc_lo, v4, v0
	s_wait_alu 0xfffd
	v_add_co_ci_u32_e64 v3, null, v5, v1, vcc_lo
	v_mov_b32_e32 v11, v8
	s_mov_b32 s18, s1
.LBB104_11:                             ;   Parent Loop BB104_3 Depth=1
                                        ; =>  This Inner Loop Header: Depth=2
	flat_load_b64 v[12:13], v[2:3]
	v_add_co_u32 v2, vcc_lo, v2, 8
	s_wait_alu 0xfffd
	v_add_co_ci_u32_e64 v3, null, 0, v3, vcc_lo
	s_add_co_i32 s18, s18, -1
	s_delay_alu instid0(SALU_CYCLE_1)
	s_cmp_lg_u32 s18, 0
	s_wait_loadcnt_dscnt 0x0
	v_mul_f64_e32 v[12:13], s[4:5], v[12:13]
	ds_store_b64 v11, v[12:13]
	v_add_nc_u32_e32 v11, 0x100, v11
	s_cbranch_scc1 .LBB104_11
.LBB104_12:                             ;   in Loop: Header=BB104_3 Depth=1
	s_wait_alu 0xfffe
	s_or_b32 exec_lo, exec_lo, s3
	s_delay_alu instid0(SALU_CYCLE_1)
	s_and_not1_b32 vcc_lo, exec_lo, s25
	s_mov_b32 s3, -1
	s_wait_dscnt 0x0
	; wave barrier
	global_inv scope:SCOPE_SE
	s_wait_alu 0xfffe
	s_cbranch_vccnz .LBB104_33
; %bb.13:                               ;   in Loop: Header=BB104_3 Depth=1
	s_mov_b32 s18, 0
	s_mov_b32 s3, s23
	s_branch .LBB104_15
.LBB104_14:                             ;   in Loop: Header=BB104_15 Depth=2
	s_cmp_gt_i32 s3, -1
	s_cselect_b32 s20, -1, 0
	s_add_co_i32 s21, s18, 1
	s_cmp_lt_u32 s18, 2
	s_cselect_b32 s18, -1, 0
	s_wait_alu 0xfffe
	s_and_b32 s18, s20, s18
	s_delay_alu instid0(SALU_CYCLE_1)
	s_and_b32 vcc_lo, exec_lo, s18
	s_mov_b32 s18, s21
	s_wait_alu 0xfffe
	s_cbranch_vccz .LBB104_32
.LBB104_15:                             ;   Parent Loop BB104_3 Depth=1
                                        ; =>  This Loop Header: Depth=2
                                        ;       Child Loop BB104_18 Depth 3
                                        ;         Child Loop BB104_19 Depth 4
                                        ;         Child Loop BB104_21 Depth 4
                                        ;           Child Loop BB104_22 Depth 5
                                        ;         Child Loop BB104_26 Depth 4
                                        ;           Child Loop BB104_28 Depth 5
	s_getpc_b64 s[20:21]
	s_wait_alu 0xfffe
	s_sext_i32_i16 s21, s21
	s_add_co_u32 s20, s20, __const._ZL38rocblas_trsm_small_left_device_sharedBILi32ELi32ELb1EddPKPKdPKPdEv13rocblas_fill_18rocblas_operation_17rocblas_diagonal_iiT3_T4_lilT5_lili.step_sizes@rel32@lo+12
	s_wait_alu 0xfffe
	s_add_co_ci_u32 s21, s21, __const._ZL38rocblas_trsm_small_left_device_sharedBILi32ELi32ELb1EddPKPKdPKPdEv13rocblas_fill_18rocblas_operation_17rocblas_diagonal_iiT3_T4_lilT5_lili.step_sizes@rel32@hi+24
	s_lshl_b64 s[28:29], s[18:19], 2
	s_wait_alu 0xfffe
	s_add_nc_u64 s[20:21], s[20:21], s[28:29]
	s_load_b32 s20, s[20:21], 0x0
	s_wait_kmcnt 0x0
	s_add_co_i32 s21, s20, -1
	s_wait_alu 0xfffe
	s_cmp_lt_i32 s3, s21
	s_cbranch_scc1 .LBB104_14
; %bb.16:                               ;   in Loop: Header=BB104_15 Depth=2
	s_lshl_b32 s30, s3, 8
	s_lshl_b32 s29, s20, 8
	s_wait_alu 0xfffe
	v_add_nc_u32_e32 v11, s30, v8
	s_max_i32 s28, s20, 1
	s_sub_co_i32 s29, 0, s29
	s_add_co_i32 s30, s27, s30
	s_mul_i32 s31, s3, 0x108
	s_mul_i32 s33, s20, 0xfffffef8
	s_branch .LBB104_18
.LBB104_17:                             ;   in Loop: Header=BB104_18 Depth=3
	v_add_nc_u32_e32 v11, s29, v11
	s_sub_co_i32 s3, s3, s20
	s_add_co_i32 s30, s30, s29
	s_add_co_i32 s31, s31, s33
	s_wait_alu 0xfffe
	s_cmp_lt_i32 s3, s21
	s_cbranch_scc1 .LBB104_14
.LBB104_18:                             ;   Parent Loop BB104_3 Depth=1
                                        ;     Parent Loop BB104_15 Depth=2
                                        ; =>    This Loop Header: Depth=3
                                        ;         Child Loop BB104_19 Depth 4
                                        ;         Child Loop BB104_21 Depth 4
                                        ;           Child Loop BB104_22 Depth 5
                                        ;         Child Loop BB104_26 Depth 4
                                        ;           Child Loop BB104_28 Depth 5
	v_mov_b32_e32 v2, v11
	s_mov_b32 s34, 0
	s_wait_alu 0xfffe
	s_mov_b32 s35, s28
.LBB104_19:                             ;   Parent Loop BB104_3 Depth=1
                                        ;     Parent Loop BB104_15 Depth=2
                                        ;       Parent Loop BB104_18 Depth=3
                                        ; =>      This Inner Loop Header: Depth=4
	ds_load_b64 v[12:13], v2
	v_add_nc_u32_e32 v2, 0xffffff00, v2
	s_wait_alu 0xfffe
	s_add_co_i32 s35, s35, -1
	s_wait_dscnt 0x0
	scratch_store_b64 off, v[12:13], s34
	s_add_co_i32 s34, s34, 8
	s_wait_alu 0xfffe
	s_cmp_eq_u32 s35, 0
	s_cbranch_scc0 .LBB104_19
; %bb.20:                               ;   in Loop: Header=BB104_18 Depth=3
	s_cmp_le_i32 s23, s3
	s_mov_b32 s34, s30
	s_mov_b32 s35, s23
	s_cbranch_scc1 .LBB104_24
.LBB104_21:                             ;   Parent Loop BB104_3 Depth=1
                                        ;     Parent Loop BB104_15 Depth=2
                                        ;       Parent Loop BB104_18 Depth=3
                                        ; =>      This Loop Header: Depth=4
                                        ;           Child Loop BB104_22 Depth 5
	s_wait_alu 0xfffe
	v_lshl_add_u32 v2, s35, 8, v8
	s_mov_b32 s36, 0
	s_mov_b32 s37, s34
	;; [unrolled: 1-line block ×3, first 2 shown]
	ds_load_b64 v[2:3], v2
.LBB104_22:                             ;   Parent Loop BB104_3 Depth=1
                                        ;     Parent Loop BB104_15 Depth=2
                                        ;       Parent Loop BB104_18 Depth=3
                                        ;         Parent Loop BB104_21 Depth=4
                                        ; =>        This Inner Loop Header: Depth=5
	scratch_load_b64 v[12:13], off, s36
	s_wait_alu 0xfffe
	v_mov_b32_e32 v14, s37
	s_add_co_i32 s38, s38, -1
	s_addk_co_i32 s37, 0xff00
	ds_load_b64 v[14:15], v14
	s_wait_loadcnt_dscnt 0x0
	v_fma_f64 v[12:13], -v[2:3], v[14:15], v[12:13]
	scratch_store_b64 off, v[12:13], s36
	s_add_co_i32 s36, s36, 8
	s_wait_alu 0xfffe
	s_cmp_eq_u32 s38, 0
	s_cbranch_scc0 .LBB104_22
; %bb.23:                               ;   in Loop: Header=BB104_21 Depth=4
	s_add_co_i32 s35, s35, -1
	s_add_co_i32 s34, s34, -8
	s_wait_alu 0xfffe
	s_cmp_le_i32 s35, s3
	s_cbranch_scc0 .LBB104_21
.LBB104_24:                             ;   in Loop: Header=BB104_18 Depth=3
	s_lshl_b32 s34, s3, 8
	s_mov_b32 s35, 0
	s_mov_b32 s36, s31
	s_branch .LBB104_26
.LBB104_25:                             ;   in Loop: Header=BB104_26 Depth=4
	s_wait_alu 0xfffe
	s_mulk_i32 s38, 0x108
	s_addk_co_i32 s36, 0xff00
	s_wait_alu 0xfffe
	v_mov_b32_e32 v12, s38
	s_lshl_b32 s38, s35, 3
	s_add_co_i32 s35, s35, 1
	s_wait_alu 0xfffe
	s_cmp_eq_u32 s35, s28
	ds_load_b64 v[12:13], v12
	s_wait_loadcnt_dscnt 0x0
	v_mul_f64_e32 v[2:3], v[12:13], v[2:3]
	v_add_nc_u32_e32 v12, s37, v8
	scratch_store_b64 off, v[2:3], s38
	ds_store_b64 v12, v[2:3]
	s_cbranch_scc1 .LBB104_17
.LBB104_26:                             ;   Parent Loop BB104_3 Depth=1
                                        ;     Parent Loop BB104_15 Depth=2
                                        ;       Parent Loop BB104_18 Depth=3
                                        ; =>      This Loop Header: Depth=4
                                        ;           Child Loop BB104_28 Depth 5
	s_wait_alu 0xfffe
	s_cmp_lg_u32 s35, 0
	s_cbranch_scc0 .LBB104_30
; %bb.27:                               ;   in Loop: Header=BB104_26 Depth=4
	s_lshl_b32 s39, s35, 3
	s_sub_co_i32 s38, s3, s35
	scratch_load_b64 v[2:3], off, s39
	s_wait_alu 0xfffe
	s_lshl_b32 s37, s38, 8
	s_mov_b32 s40, 0
	s_mov_b32 s41, s36
	;; [unrolled: 1-line block ×3, first 2 shown]
.LBB104_28:                             ;   Parent Loop BB104_3 Depth=1
                                        ;     Parent Loop BB104_15 Depth=2
                                        ;       Parent Loop BB104_18 Depth=3
                                        ;         Parent Loop BB104_26 Depth=4
                                        ; =>        This Inner Loop Header: Depth=5
	scratch_load_b64 v[12:13], off, s40
	s_wait_alu 0xfffe
	v_mov_b32_e32 v14, s41
	s_add_co_i32 s42, s42, -1
	s_add_co_i32 s41, s41, -8
	s_add_co_i32 s40, s40, 8
	s_cmp_eq_u32 s42, 0
	ds_load_b64 v[14:15], v14
	s_wait_loadcnt_dscnt 0x0
	v_fma_f64 v[2:3], -v[12:13], v[14:15], v[2:3]
	scratch_store_b64 off, v[2:3], s39
	s_cbranch_scc0 .LBB104_28
; %bb.29:                               ;   in Loop: Header=BB104_26 Depth=4
	s_branch .LBB104_25
.LBB104_30:                             ;   in Loop: Header=BB104_26 Depth=4
                                        ; implicit-def: $vgpr2_vgpr3
                                        ; implicit-def: $sgpr38
                                        ; implicit-def: $sgpr37
	s_cbranch_execz .LBB104_25
; %bb.31:                               ;   in Loop: Header=BB104_26 Depth=4
	scratch_load_b64 v[2:3], off, off
	s_mov_b32 s37, s34
	s_mov_b32 s38, s3
	s_branch .LBB104_25
.LBB104_32:                             ;   in Loop: Header=BB104_3 Depth=1
	s_mov_b32 s3, 0
.LBB104_33:                             ;   in Loop: Header=BB104_3 Depth=1
	s_wait_alu 0xfffe
	s_and_b32 vcc_lo, exec_lo, s3
	s_wait_alu 0xfffe
	s_cbranch_vccz .LBB104_54
; %bb.34:                               ;   in Loop: Header=BB104_3 Depth=1
	s_mov_b32 s3, 0
	s_wait_alu 0xfffe
	s_mov_b32 s18, s3
	s_branch .LBB104_36
.LBB104_35:                             ;   in Loop: Header=BB104_36 Depth=2
	s_cmp_lt_i32 s3, s1
	s_cselect_b32 s20, -1, 0
	s_add_co_i32 s21, s18, 1
	s_cmp_lt_u32 s18, 2
	s_cselect_b32 s18, -1, 0
	s_wait_alu 0xfffe
	s_and_b32 s18, s20, s18
	s_delay_alu instid0(SALU_CYCLE_1)
	s_and_not1_b32 vcc_lo, exec_lo, s18
	s_mov_b32 s18, s21
	s_wait_alu 0xfffe
	s_cbranch_vccnz .LBB104_54
.LBB104_36:                             ;   Parent Loop BB104_3 Depth=1
                                        ; =>  This Loop Header: Depth=2
                                        ;       Child Loop BB104_39 Depth 3
                                        ;         Child Loop BB104_40 Depth 4
                                        ;         Child Loop BB104_43 Depth 4
                                        ;           Child Loop BB104_44 Depth 5
                                        ;         Child Loop BB104_48 Depth 4
                                        ;           Child Loop BB104_50 Depth 5
	s_getpc_b64 s[20:21]
	s_wait_alu 0xfffe
	s_sext_i32_i16 s21, s21
	s_add_co_u32 s20, s20, __const._ZL38rocblas_trsm_small_left_device_sharedBILi32ELi32ELb1EddPKPKdPKPdEv13rocblas_fill_18rocblas_operation_17rocblas_diagonal_iiT3_T4_lilT5_lili.step_sizes@rel32@lo+12
	s_wait_alu 0xfffe
	s_add_co_ci_u32 s21, s21, __const._ZL38rocblas_trsm_small_left_device_sharedBILi32ELi32ELb1EddPKPKdPKPdEv13rocblas_fill_18rocblas_operation_17rocblas_diagonal_iiT3_T4_lilT5_lili.step_sizes@rel32@hi+24
	s_lshl_b64 s[28:29], s[18:19], 2
	s_wait_alu 0xfffe
	s_add_nc_u64 s[20:21], s[20:21], s[28:29]
	s_load_b32 s20, s[20:21], 0x0
	s_wait_kmcnt 0x0
	s_add_co_i32 s21, s20, -1
	s_wait_alu 0xfffe
	s_add_co_i32 s28, s21, s3
	s_wait_alu 0xfffe
	s_cmp_ge_i32 s28, s1
	s_cbranch_scc1 .LBB104_35
; %bb.37:                               ;   in Loop: Header=BB104_36 Depth=2
	v_lshl_add_u32 v11, s3, 8, v8
	s_max_i32 s28, s20, 1
	s_lshl_b32 s29, s20, 8
	s_lshl_b32 s30, s3, 3
	;; [unrolled: 1-line block ×3, first 2 shown]
	s_mul_i32 s33, s3, 0x108
	s_mul_i32 s34, s20, 0x108
	s_branch .LBB104_39
.LBB104_38:                             ;   in Loop: Header=BB104_39 Depth=3
	s_add_co_i32 s3, s3, s20
	v_add_nc_u32_e32 v11, s29, v11
	s_wait_alu 0xfffe
	s_add_co_i32 s35, s21, s3
	s_add_co_i32 s30, s30, s31
	;; [unrolled: 1-line block ×3, first 2 shown]
	s_wait_alu 0xfffe
	s_cmp_ge_i32 s35, s1
	s_cbranch_scc1 .LBB104_35
.LBB104_39:                             ;   Parent Loop BB104_3 Depth=1
                                        ;     Parent Loop BB104_36 Depth=2
                                        ; =>    This Loop Header: Depth=3
                                        ;         Child Loop BB104_40 Depth 4
                                        ;         Child Loop BB104_43 Depth 4
                                        ;           Child Loop BB104_44 Depth 5
                                        ;         Child Loop BB104_48 Depth 4
                                        ;           Child Loop BB104_50 Depth 5
	v_mov_b32_e32 v2, v11
	s_mov_b32 s35, 0
	s_wait_alu 0xfffe
	s_mov_b32 s36, s28
.LBB104_40:                             ;   Parent Loop BB104_3 Depth=1
                                        ;     Parent Loop BB104_36 Depth=2
                                        ;       Parent Loop BB104_39 Depth=3
                                        ; =>      This Inner Loop Header: Depth=4
	ds_load_b64 v[12:13], v2
	v_add_nc_u32_e32 v2, 0x100, v2
	s_wait_alu 0xfffe
	s_add_co_i32 s36, s36, -1
	s_wait_dscnt 0x0
	scratch_store_b64 off, v[12:13], s35
	s_add_co_i32 s35, s35, 8
	s_wait_alu 0xfffe
	s_cmp_eq_u32 s36, 0
	s_cbranch_scc0 .LBB104_40
; %bb.41:                               ;   in Loop: Header=BB104_39 Depth=3
	s_cmp_lt_i32 s3, 1
	s_cbranch_scc1 .LBB104_46
; %bb.42:                               ;   in Loop: Header=BB104_39 Depth=3
	s_mov_b32 s35, 0
	s_mov_b32 s36, s30
.LBB104_43:                             ;   Parent Loop BB104_3 Depth=1
                                        ;     Parent Loop BB104_36 Depth=2
                                        ;       Parent Loop BB104_39 Depth=3
                                        ; =>      This Loop Header: Depth=4
                                        ;           Child Loop BB104_44 Depth 5
	s_wait_alu 0xfffe
	v_lshl_add_u32 v2, s35, 8, v8
	s_mov_b32 s37, 0
	s_mov_b32 s38, s36
	;; [unrolled: 1-line block ×3, first 2 shown]
	ds_load_b64 v[2:3], v2
.LBB104_44:                             ;   Parent Loop BB104_3 Depth=1
                                        ;     Parent Loop BB104_36 Depth=2
                                        ;       Parent Loop BB104_39 Depth=3
                                        ;         Parent Loop BB104_43 Depth=4
                                        ; =>        This Inner Loop Header: Depth=5
	scratch_load_b64 v[12:13], off, s37
	s_wait_alu 0xfffe
	v_mov_b32_e32 v14, s38
	s_add_co_i32 s39, s39, -1
	s_add_co_i32 s38, s38, 8
	ds_load_b64 v[14:15], v14
	s_wait_loadcnt_dscnt 0x0
	v_fma_f64 v[12:13], -v[2:3], v[14:15], v[12:13]
	scratch_store_b64 off, v[12:13], s37
	s_add_co_i32 s37, s37, 8
	s_wait_alu 0xfffe
	s_cmp_eq_u32 s39, 0
	s_cbranch_scc0 .LBB104_44
; %bb.45:                               ;   in Loop: Header=BB104_43 Depth=4
	s_add_co_i32 s35, s35, 1
	s_addk_co_i32 s36, 0x100
	s_wait_alu 0xfffe
	s_cmp_eq_u32 s35, s3
	s_cbranch_scc0 .LBB104_43
.LBB104_46:                             ;   in Loop: Header=BB104_39 Depth=3
	s_mov_b32 s35, 0
	s_mov_b32 s36, s33
	s_branch .LBB104_48
.LBB104_47:                             ;   in Loop: Header=BB104_48 Depth=4
	s_add_co_i32 s37, s35, s3
	s_add_co_i32 s36, s36, 8
	s_wait_alu 0xfffe
	s_mul_i32 s38, s37, 0x108
	s_wait_alu 0xfffe
	v_mov_b32_e32 v12, s38
	s_lshl_b32 s38, s35, 3
	s_add_co_i32 s35, s35, 1
	s_wait_alu 0xfffe
	s_cmp_eq_u32 s35, s28
	ds_load_b64 v[12:13], v12
	s_wait_loadcnt_dscnt 0x0
	v_mul_f64_e32 v[2:3], v[12:13], v[2:3]
	v_lshl_add_u32 v12, s37, 8, v8
	scratch_store_b64 off, v[2:3], s38
	ds_store_b64 v12, v[2:3]
	s_cbranch_scc1 .LBB104_38
.LBB104_48:                             ;   Parent Loop BB104_3 Depth=1
                                        ;     Parent Loop BB104_36 Depth=2
                                        ;       Parent Loop BB104_39 Depth=3
                                        ; =>      This Loop Header: Depth=4
                                        ;           Child Loop BB104_50 Depth 5
	s_wait_alu 0xfffe
	s_cmp_lg_u32 s35, 0
	s_cbranch_scc0 .LBB104_52
; %bb.49:                               ;   in Loop: Header=BB104_48 Depth=4
	s_lshl_b32 s37, s35, 3
	s_mov_b32 s38, 0
	scratch_load_b64 v[2:3], off, s37
	s_mov_b32 s39, s36
	s_mov_b32 s40, s35
.LBB104_50:                             ;   Parent Loop BB104_3 Depth=1
                                        ;     Parent Loop BB104_36 Depth=2
                                        ;       Parent Loop BB104_39 Depth=3
                                        ;         Parent Loop BB104_48 Depth=4
                                        ; =>        This Inner Loop Header: Depth=5
	scratch_load_b64 v[12:13], off, s38
	s_wait_alu 0xfffe
	v_mov_b32_e32 v14, s39
	s_add_co_i32 s40, s40, -1
	s_addk_co_i32 s39, 0x100
	s_add_co_i32 s38, s38, 8
	s_wait_alu 0xfffe
	s_cmp_eq_u32 s40, 0
	ds_load_b64 v[14:15], v14
	s_wait_loadcnt_dscnt 0x0
	v_fma_f64 v[2:3], -v[12:13], v[14:15], v[2:3]
	scratch_store_b64 off, v[2:3], s37
	s_cbranch_scc0 .LBB104_50
; %bb.51:                               ;   in Loop: Header=BB104_48 Depth=4
	s_branch .LBB104_47
.LBB104_52:                             ;   in Loop: Header=BB104_48 Depth=4
                                        ; implicit-def: $vgpr2_vgpr3
	s_cbranch_execz .LBB104_47
; %bb.53:                               ;   in Loop: Header=BB104_48 Depth=4
	scratch_load_b64 v[2:3], off, off
	s_branch .LBB104_47
.LBB104_54:                             ;   in Loop: Header=BB104_3 Depth=1
	s_wait_storecnt 0x0
	; wave barrier
	s_wait_loadcnt_dscnt 0x0
	global_inv scope:SCOPE_SE
	s_and_saveexec_b32 s3, s26
	s_cbranch_execz .LBB104_2
; %bb.55:                               ;   in Loop: Header=BB104_3 Depth=1
	v_add_co_u32 v2, vcc_lo, v4, v0
	s_wait_alu 0xfffd
	v_add_co_ci_u32_e64 v3, null, v5, v1, vcc_lo
	v_mov_b32_e32 v4, v8
	s_mov_b32 s18, s1
.LBB104_56:                             ;   Parent Loop BB104_3 Depth=1
                                        ; =>  This Inner Loop Header: Depth=2
	ds_load_b64 v[11:12], v4
	v_add_nc_u32_e32 v4, 0x100, v4
	s_add_co_i32 s18, s18, -1
	s_delay_alu instid0(SALU_CYCLE_1)
	s_cmp_lg_u32 s18, 0
	s_wait_dscnt 0x0
	flat_store_b64 v[2:3], v[11:12]
	v_add_co_u32 v2, vcc_lo, v2, 8
	s_wait_alu 0xfffd
	v_add_co_ci_u32_e64 v3, null, 0, v3, vcc_lo
	s_cbranch_scc1 .LBB104_56
	s_branch .LBB104_2
.LBB104_57:
	s_endpgm
	.section	.rodata,"a",@progbits
	.p2align	6, 0x0
	.amdhsa_kernel _ZL38rocblas_trsm_small_left_device_sharedBILi32ELi32ELb1EddPKPKdPKPdEv13rocblas_fill_18rocblas_operation_17rocblas_diagonal_iiT3_T4_lilT5_lili
		.amdhsa_group_segment_fixed_size 16384
		.amdhsa_private_segment_fixed_size 272
		.amdhsa_kernarg_size 360
		.amdhsa_user_sgpr_count 2
		.amdhsa_user_sgpr_dispatch_ptr 0
		.amdhsa_user_sgpr_queue_ptr 0
		.amdhsa_user_sgpr_kernarg_segment_ptr 1
		.amdhsa_user_sgpr_dispatch_id 0
		.amdhsa_user_sgpr_private_segment_size 0
		.amdhsa_wavefront_size32 1
		.amdhsa_uses_dynamic_stack 0
		.amdhsa_enable_private_segment 1
		.amdhsa_system_sgpr_workgroup_id_x 1
		.amdhsa_system_sgpr_workgroup_id_y 0
		.amdhsa_system_sgpr_workgroup_id_z 1
		.amdhsa_system_sgpr_workgroup_info 0
		.amdhsa_system_vgpr_workitem_id 0
		.amdhsa_next_free_vgpr 241
		.amdhsa_next_free_sgpr 43
		.amdhsa_reserve_vcc 1
		.amdhsa_float_round_mode_32 0
		.amdhsa_float_round_mode_16_64 0
		.amdhsa_float_denorm_mode_32 3
		.amdhsa_float_denorm_mode_16_64 3
		.amdhsa_fp16_overflow 0
		.amdhsa_workgroup_processor_mode 1
		.amdhsa_memory_ordered 1
		.amdhsa_forward_progress 1
		.amdhsa_inst_pref_size 19
		.amdhsa_round_robin_scheduling 0
		.amdhsa_exception_fp_ieee_invalid_op 0
		.amdhsa_exception_fp_denorm_src 0
		.amdhsa_exception_fp_ieee_div_zero 0
		.amdhsa_exception_fp_ieee_overflow 0
		.amdhsa_exception_fp_ieee_underflow 0
		.amdhsa_exception_fp_ieee_inexact 0
		.amdhsa_exception_int_div_zero 0
	.end_amdhsa_kernel
	.section	.text._ZL38rocblas_trsm_small_left_device_sharedBILi32ELi32ELb1EddPKPKdPKPdEv13rocblas_fill_18rocblas_operation_17rocblas_diagonal_iiT3_T4_lilT5_lili,"axG",@progbits,_ZL38rocblas_trsm_small_left_device_sharedBILi32ELi32ELb1EddPKPKdPKPdEv13rocblas_fill_18rocblas_operation_17rocblas_diagonal_iiT3_T4_lilT5_lili,comdat
.Lfunc_end104:
	.size	_ZL38rocblas_trsm_small_left_device_sharedBILi32ELi32ELb1EddPKPKdPKPdEv13rocblas_fill_18rocblas_operation_17rocblas_diagonal_iiT3_T4_lilT5_lili, .Lfunc_end104-_ZL38rocblas_trsm_small_left_device_sharedBILi32ELi32ELb1EddPKPKdPKPdEv13rocblas_fill_18rocblas_operation_17rocblas_diagonal_iiT3_T4_lilT5_lili
                                        ; -- End function
	.set _ZL38rocblas_trsm_small_left_device_sharedBILi32ELi32ELb1EddPKPKdPKPdEv13rocblas_fill_18rocblas_operation_17rocblas_diagonal_iiT3_T4_lilT5_lili.num_vgpr, 19
	.set _ZL38rocblas_trsm_small_left_device_sharedBILi32ELi32ELb1EddPKPKdPKPdEv13rocblas_fill_18rocblas_operation_17rocblas_diagonal_iiT3_T4_lilT5_lili.num_agpr, 0
	.set _ZL38rocblas_trsm_small_left_device_sharedBILi32ELi32ELb1EddPKPKdPKPdEv13rocblas_fill_18rocblas_operation_17rocblas_diagonal_iiT3_T4_lilT5_lili.numbered_sgpr, 43
	.set _ZL38rocblas_trsm_small_left_device_sharedBILi32ELi32ELb1EddPKPKdPKPdEv13rocblas_fill_18rocblas_operation_17rocblas_diagonal_iiT3_T4_lilT5_lili.num_named_barrier, 0
	.set _ZL38rocblas_trsm_small_left_device_sharedBILi32ELi32ELb1EddPKPKdPKPdEv13rocblas_fill_18rocblas_operation_17rocblas_diagonal_iiT3_T4_lilT5_lili.private_seg_size, 272
	.set _ZL38rocblas_trsm_small_left_device_sharedBILi32ELi32ELb1EddPKPKdPKPdEv13rocblas_fill_18rocblas_operation_17rocblas_diagonal_iiT3_T4_lilT5_lili.uses_vcc, 1
	.set _ZL38rocblas_trsm_small_left_device_sharedBILi32ELi32ELb1EddPKPKdPKPdEv13rocblas_fill_18rocblas_operation_17rocblas_diagonal_iiT3_T4_lilT5_lili.uses_flat_scratch, 0
	.set _ZL38rocblas_trsm_small_left_device_sharedBILi32ELi32ELb1EddPKPKdPKPdEv13rocblas_fill_18rocblas_operation_17rocblas_diagonal_iiT3_T4_lilT5_lili.has_dyn_sized_stack, 0
	.set _ZL38rocblas_trsm_small_left_device_sharedBILi32ELi32ELb1EddPKPKdPKPdEv13rocblas_fill_18rocblas_operation_17rocblas_diagonal_iiT3_T4_lilT5_lili.has_recursion, 0
	.set _ZL38rocblas_trsm_small_left_device_sharedBILi32ELi32ELb1EddPKPKdPKPdEv13rocblas_fill_18rocblas_operation_17rocblas_diagonal_iiT3_T4_lilT5_lili.has_indirect_call, 0
	.section	.AMDGPU.csdata,"",@progbits
; Kernel info:
; codeLenInByte = 2332
; TotalNumSgprs: 45
; NumVgprs: 19
; ScratchSize: 272
; MemoryBound: 0
; FloatMode: 240
; IeeeMode: 1
; LDSByteSize: 16384 bytes/workgroup (compile time only)
; SGPRBlocks: 0
; VGPRBlocks: 30
; NumSGPRsForWavesPerEU: 45
; NumVGPRsForWavesPerEU: 241
; Occupancy: 2
; WaveLimiterHint : 0
; COMPUTE_PGM_RSRC2:SCRATCH_EN: 1
; COMPUTE_PGM_RSRC2:USER_SGPR: 2
; COMPUTE_PGM_RSRC2:TRAP_HANDLER: 0
; COMPUTE_PGM_RSRC2:TGID_X_EN: 1
; COMPUTE_PGM_RSRC2:TGID_Y_EN: 0
; COMPUTE_PGM_RSRC2:TGID_Z_EN: 1
; COMPUTE_PGM_RSRC2:TIDIG_COMP_CNT: 0
	.section	.text._ZL30rocblas_trsm_small_left_deviceILi32ELi32ELb1EddPKPKdPKPdEv13rocblas_fill_18rocblas_operation_17rocblas_diagonal_iiT3_T4_lilT5_lili,"axG",@progbits,_ZL30rocblas_trsm_small_left_deviceILi32ELi32ELb1EddPKPKdPKPdEv13rocblas_fill_18rocblas_operation_17rocblas_diagonal_iiT3_T4_lilT5_lili,comdat
	.globl	_ZL30rocblas_trsm_small_left_deviceILi32ELi32ELb1EddPKPKdPKPdEv13rocblas_fill_18rocblas_operation_17rocblas_diagonal_iiT3_T4_lilT5_lili ; -- Begin function _ZL30rocblas_trsm_small_left_deviceILi32ELi32ELb1EddPKPKdPKPdEv13rocblas_fill_18rocblas_operation_17rocblas_diagonal_iiT3_T4_lilT5_lili
	.p2align	8
	.type	_ZL30rocblas_trsm_small_left_deviceILi32ELi32ELb1EddPKPKdPKPdEv13rocblas_fill_18rocblas_operation_17rocblas_diagonal_iiT3_T4_lilT5_lili,@function
_ZL30rocblas_trsm_small_left_deviceILi32ELi32ELb1EddPKPKdPKPdEv13rocblas_fill_18rocblas_operation_17rocblas_diagonal_iiT3_T4_lilT5_lili: ; @_ZL30rocblas_trsm_small_left_deviceILi32ELi32ELb1EddPKPKdPKPdEv13rocblas_fill_18rocblas_operation_17rocblas_diagonal_iiT3_T4_lilT5_lili
; %bb.0:
	s_load_b32 s26, s[0:1], 0x60
	s_lshr_b32 s2, ttmp7, 16
	s_wait_kmcnt 0x0
	s_cmp_ge_u32 s2, s26
	s_cbranch_scc1 .LBB105_54
; %bb.1:
	s_clause 0x5
	s_load_b96 s[16:18], s[0:1], 0x28
	s_load_b128 s[12:15], s[0:1], 0x4
	s_load_b32 s3, s[0:1], 0x68
	s_load_b32 s20, s[0:1], 0x50
	s_load_b128 s[4:7], s[0:1], 0x18
	s_load_b128 s[8:11], s[0:1], 0x40
	s_lshl_b32 s0, ttmp9, 5
	v_dual_mov_b32 v8, 0 :: v_dual_lshlrev_b32 v7, 3, v0
	v_or_b32_e32 v1, s0, v0
	v_lshlrev_b32_e32 v3, 8, v0
	s_mov_b32 s33, 0
                                        ; implicit-def: $sgpr34
                                        ; implicit-def: $sgpr35
	s_delay_alu instid0(VALU_DEP_1)
	v_add_nc_u32_e32 v11, v7, v3
	s_wait_kmcnt 0x0
	s_ashr_i32 s19, s18, 31
	s_min_i32 s27, s14, 32
	s_add_co_i32 s3, s3, -1
	v_mad_co_i64_i32 v[1:2], null, s20, v1, 0
	s_sub_co_i32 s0, s15, s0
	s_add_co_i32 s28, s27, -1
	s_wait_alu 0xfffe
	s_cmp_ge_u32 ttmp9, s3
	s_mov_b32 s15, 0
	s_cselect_b32 s1, s0, 32
	s_cmp_lg_u32 s13, 0x84
	v_lshlrev_b64_e32 v[1:2], 3, v[1:2]
	s_cselect_b32 s29, -1, 0
	s_cmp_lg_u32 s12, 0x6f
	v_cmp_gt_i32_e64 s0, s27, v0
	s_cselect_b32 s30, -1, 0
	s_lshl_b64 s[10:11], s[10:11], 3
	s_wait_alu 0xfffe
	v_cmp_gt_i32_e64 s1, s1, v0
	v_add_co_u32 v9, vcc_lo, v1, s10
	s_delay_alu instid0(VALU_DEP_1)
	v_add_co_ci_u32_e64 v10, null, s11, v2, vcc_lo
	v_lshlrev_b32_e32 v0, 3, v0
	s_lshl_b32 s31, s27, 3
	s_lshl_b64 s[12:13], s[18:19], 3
	s_add_co_i32 s31, s31, -8
	s_lshl_b64 s[16:17], s[16:17], 3
	s_branch .LBB105_4
.LBB105_2:                              ;   in Loop: Header=BB105_4 Depth=1
	s_add_co_i32 s2, s2, 0x10000
	s_delay_alu instid0(SALU_CYCLE_1)
	s_cmp_ge_u32 s2, s26
	s_cselect_b32 s14, -1, 0
	s_and_not1_b32 s35, s35, exec_lo
	s_or_not1_b32 s14, s14, exec_lo
.LBB105_3:                              ;   in Loop: Header=BB105_4 Depth=1
	s_or_b32 exec_lo, exec_lo, s3
	s_delay_alu instid0(SALU_CYCLE_1) | instskip(NEXT) | instid1(SALU_CYCLE_1)
	s_and_b32 s3, exec_lo, s14
	s_or_b32 s33, s3, s33
	s_and_not1_b32 s3, s34, exec_lo
	s_and_b32 s14, s35, exec_lo
	s_delay_alu instid0(SALU_CYCLE_1)
	s_or_b32 s34, s3, s14
	s_and_not1_b32 exec_lo, exec_lo, s33
	s_cbranch_execz .LBB105_53
.LBB105_4:                              ; =>This Loop Header: Depth=1
                                        ;     Child Loop BB105_6 Depth 2
                                        ;     Child Loop BB105_14 Depth 2
                                        ;       Child Loop BB105_17 Depth 3
                                        ;         Child Loop BB105_18 Depth 4
                                        ;         Child Loop BB105_20 Depth 4
                                        ;           Child Loop BB105_21 Depth 5
                                        ;         Child Loop BB105_25 Depth 4
                                        ;           Child Loop BB105_27 Depth 5
                                        ;     Child Loop BB105_35 Depth 2
                                        ;       Child Loop BB105_38 Depth 3
                                        ;         Child Loop BB105_39 Depth 4
                                        ;         Child Loop BB105_42 Depth 4
                                        ;           Child Loop BB105_43 Depth 5
                                        ;         Child Loop BB105_47 Depth 4
                                        ;           Child Loop BB105_49 Depth 5
	s_mov_b32 s3, s15
	s_delay_alu instid0(SALU_CYCLE_1) | instskip(NEXT) | instid1(SALU_CYCLE_1)
	s_lshl_b64 s[18:19], s[2:3], 3
	s_add_nc_u64 s[20:21], s[8:9], s[18:19]
	global_load_b64 v[3:4], v8, s[20:21]
	s_and_saveexec_b32 s3, s0
	s_cbranch_execz .LBB105_10
; %bb.5:                                ;   in Loop: Header=BB105_4 Depth=1
	s_add_nc_u64 s[18:19], s[6:7], s[18:19]
	v_mov_b32_e32 v12, v7
	global_load_b64 v[5:6], v8, s[18:19]
	s_mov_b32 s14, s27
	s_wait_loadcnt 0x0
	v_add_co_u32 v5, vcc_lo, v5, s16
	s_wait_alu 0xfffd
	v_add_co_ci_u32_e64 v6, null, s17, v6, vcc_lo
	s_delay_alu instid0(VALU_DEP_2) | instskip(SKIP_1) | instid1(VALU_DEP_2)
	v_add_co_u32 v5, vcc_lo, v5, v0
	s_wait_alu 0xfffd
	v_add_co_ci_u32_e64 v6, null, 0, v6, vcc_lo
.LBB105_6:                              ;   Parent Loop BB105_4 Depth=1
                                        ; =>  This Inner Loop Header: Depth=2
	flat_load_b64 v[13:14], v[5:6]
	v_add_co_u32 v5, vcc_lo, v5, s12
	s_wait_alu 0xfffd
	v_add_co_ci_u32_e64 v6, null, s13, v6, vcc_lo
	s_add_co_i32 s14, s14, -1
	s_delay_alu instid0(SALU_CYCLE_1)
	s_cmp_eq_u32 s14, 0
	s_wait_loadcnt_dscnt 0x0
	ds_store_b64 v12, v[13:14]
	v_add_nc_u32_e32 v12, 0x100, v12
	s_cbranch_scc0 .LBB105_6
; %bb.7:                                ;   in Loop: Header=BB105_4 Depth=1
	v_mov_b32_e32 v5, 0
	v_mov_b32_e32 v6, 0x3ff00000
	s_and_b32 vcc_lo, exec_lo, s29
	s_wait_alu 0xfffe
	s_cbranch_vccz .LBB105_9
; %bb.8:                                ;   in Loop: Header=BB105_4 Depth=1
	ds_load_b64 v[5:6], v11
	s_wait_dscnt 0x0
	v_div_scale_f64 v[12:13], null, v[5:6], v[5:6], 1.0
	s_delay_alu instid0(VALU_DEP_1) | instskip(NEXT) | instid1(TRANS32_DEP_1)
	v_rcp_f64_e32 v[14:15], v[12:13]
	v_fma_f64 v[16:17], -v[12:13], v[14:15], 1.0
	s_delay_alu instid0(VALU_DEP_1) | instskip(NEXT) | instid1(VALU_DEP_1)
	v_fma_f64 v[14:15], v[14:15], v[16:17], v[14:15]
	v_fma_f64 v[16:17], -v[12:13], v[14:15], 1.0
	s_delay_alu instid0(VALU_DEP_1) | instskip(SKIP_1) | instid1(VALU_DEP_1)
	v_fma_f64 v[14:15], v[14:15], v[16:17], v[14:15]
	v_div_scale_f64 v[16:17], vcc_lo, 1.0, v[5:6], 1.0
	v_mul_f64_e32 v[18:19], v[16:17], v[14:15]
	s_delay_alu instid0(VALU_DEP_1) | instskip(SKIP_1) | instid1(VALU_DEP_1)
	v_fma_f64 v[12:13], -v[12:13], v[18:19], v[16:17]
	s_wait_alu 0xfffd
	v_div_fmas_f64 v[12:13], v[12:13], v[14:15], v[18:19]
	s_delay_alu instid0(VALU_DEP_1)
	v_div_fixup_f64 v[5:6], v[12:13], v[5:6], 1.0
.LBB105_9:                              ;   in Loop: Header=BB105_4 Depth=1
	ds_store_b64 v11, v[5:6]
.LBB105_10:                             ;   in Loop: Header=BB105_4 Depth=1
	s_or_b32 exec_lo, exec_lo, s3
	s_mov_b32 s14, -1
	s_or_b32 s35, s35, exec_lo
	; wave barrier
	s_wait_loadcnt_dscnt 0x0
	global_inv scope:SCOPE_SE
	s_and_saveexec_b32 s3, s1
	s_cbranch_execz .LBB105_3
; %bb.11:                               ;   in Loop: Header=BB105_4 Depth=1
	v_add_co_u32 v5, vcc_lo, v3, s10
	s_wait_alu 0xfffd
	v_add_co_ci_u32_e64 v6, null, s11, v4, vcc_lo
	s_delay_alu instid0(VALU_DEP_2) | instskip(SKIP_1) | instid1(VALU_DEP_2)
	v_add_co_u32 v12, vcc_lo, v5, v1
	s_wait_alu 0xfffd
	v_add_co_ci_u32_e64 v13, null, v6, v2, vcc_lo
	s_and_not1_b32 vcc_lo, exec_lo, s30
	s_wait_alu 0xfffe
	s_cbranch_vccnz .LBB105_32
; %bb.12:                               ;   in Loop: Header=BB105_4 Depth=1
	v_add_co_u32 v14, vcc_lo, v3, v9
	s_wait_alu 0xfffd
	v_add_co_ci_u32_e64 v15, null, v4, v10, vcc_lo
	s_mov_b32 s14, 0
	s_mov_b32 s18, s28
	s_branch .LBB105_14
.LBB105_13:                             ;   in Loop: Header=BB105_14 Depth=2
	s_cmp_gt_i32 s18, -1
	s_cselect_b32 s19, -1, 0
	s_add_co_i32 s20, s14, 1
	s_cmp_lt_u32 s14, 2
	s_cselect_b32 s14, -1, 0
	s_delay_alu instid0(SALU_CYCLE_1) | instskip(NEXT) | instid1(SALU_CYCLE_1)
	s_and_b32 s14, s19, s14
	s_and_b32 vcc_lo, exec_lo, s14
	s_wait_alu 0xfffe
	s_mov_b32 s14, s20
	s_cbranch_vccz .LBB105_31
.LBB105_14:                             ;   Parent Loop BB105_4 Depth=1
                                        ; =>  This Loop Header: Depth=2
                                        ;       Child Loop BB105_17 Depth 3
                                        ;         Child Loop BB105_18 Depth 4
                                        ;         Child Loop BB105_20 Depth 4
                                        ;           Child Loop BB105_21 Depth 5
                                        ;         Child Loop BB105_25 Depth 4
                                        ;           Child Loop BB105_27 Depth 5
	s_getpc_b64 s[20:21]
	s_wait_alu 0xfffe
	s_sext_i32_i16 s21, s21
	s_add_co_u32 s20, s20, __const._ZL30rocblas_trsm_small_left_deviceILi32ELi32ELb1EddPKPKdPKPdEv13rocblas_fill_18rocblas_operation_17rocblas_diagonal_iiT3_T4_lilT5_lili.step_sizes@rel32@lo+12
	s_wait_alu 0xfffe
	s_add_co_ci_u32 s21, s21, __const._ZL30rocblas_trsm_small_left_deviceILi32ELi32ELb1EddPKPKdPKPdEv13rocblas_fill_18rocblas_operation_17rocblas_diagonal_iiT3_T4_lilT5_lili.step_sizes@rel32@hi+24
	s_lshl_b64 s[22:23], s[14:15], 2
	s_wait_alu 0xfffe
	s_add_nc_u64 s[20:21], s[20:21], s[22:23]
	s_load_b32 s24, s[20:21], 0x0
	s_wait_kmcnt 0x0
	s_add_co_i32 s25, s24, -1
	s_wait_alu 0xfffe
	s_cmp_lt_i32 s18, s25
	s_cbranch_scc1 .LBB105_13
; %bb.15:                               ;   in Loop: Header=BB105_14 Depth=2
	s_lshl_b32 s19, s18, 8
	s_lshl_b32 s20, s24, 8
	s_max_i32 s36, s24, 1
	s_add_co_i32 s37, s31, s19
	s_wait_alu 0xfffe
	s_sub_co_i32 s38, 0, s20
	s_mul_i32 s39, s18, 0x108
	s_mul_i32 s40, s24, 0xfffffef8
	s_branch .LBB105_17
.LBB105_16:                             ;   in Loop: Header=BB105_17 Depth=3
	s_sub_co_i32 s18, s18, s24
	s_add_co_i32 s37, s37, s38
	s_add_co_i32 s39, s39, s40
	s_cmp_lt_i32 s18, s25
	s_cbranch_scc1 .LBB105_13
.LBB105_17:                             ;   Parent Loop BB105_4 Depth=1
                                        ;     Parent Loop BB105_14 Depth=2
                                        ; =>    This Loop Header: Depth=3
                                        ;         Child Loop BB105_18 Depth 4
                                        ;         Child Loop BB105_20 Depth 4
                                        ;           Child Loop BB105_21 Depth 5
                                        ;         Child Loop BB105_25 Depth 4
                                        ;           Child Loop BB105_27 Depth 5
	s_ashr_i32 s19, s18, 31
	s_delay_alu instid0(SALU_CYCLE_1)
	s_lshl_b64 s[20:21], s[18:19], 3
	s_wait_alu 0xfffe
	v_add_co_u32 v5, vcc_lo, v14, s20
	s_wait_alu 0xfffd
	v_add_co_ci_u32_e64 v6, null, s21, v15, vcc_lo
	s_mov_b32 s20, 0
	s_mov_b32 s21, s36
.LBB105_18:                             ;   Parent Loop BB105_4 Depth=1
                                        ;     Parent Loop BB105_14 Depth=2
                                        ;       Parent Loop BB105_17 Depth=3
                                        ; =>      This Inner Loop Header: Depth=4
	flat_load_b64 v[16:17], v[5:6]
	v_add_co_u32 v5, vcc_lo, v5, -8
	s_wait_alu 0xfffd
	v_add_co_ci_u32_e64 v6, null, -1, v6, vcc_lo
	s_wait_alu 0xfffe
	s_add_co_i32 s21, s21, -1
	s_wait_loadcnt_dscnt 0x0
	v_mul_f64_e32 v[16:17], s[4:5], v[16:17]
	scratch_store_b64 off, v[16:17], s20
	s_add_co_i32 s20, s20, 8
	s_wait_alu 0xfffe
	s_cmp_eq_u32 s21, 0
	s_cbranch_scc0 .LBB105_18
; %bb.19:                               ;   in Loop: Header=BB105_17 Depth=3
	s_cmp_le_i32 s28, s18
	s_mov_b32 s22, s37
	s_mov_b32 s20, s28
	s_cbranch_scc1 .LBB105_23
.LBB105_20:                             ;   Parent Loop BB105_4 Depth=1
                                        ;     Parent Loop BB105_14 Depth=2
                                        ;       Parent Loop BB105_17 Depth=3
                                        ; =>      This Loop Header: Depth=4
                                        ;           Child Loop BB105_21 Depth 5
	s_wait_alu 0xfffe
	s_ashr_i32 s21, s20, 31
	s_mov_b32 s23, s22
	s_wait_alu 0xfffe
	s_lshl_b64 s[42:43], s[20:21], 3
	s_mov_b32 s21, 0
	s_wait_alu 0xfffe
	v_add_co_u32 v5, vcc_lo, v12, s42
	s_wait_alu 0xfffd
	v_add_co_ci_u32_e64 v6, null, s43, v13, vcc_lo
	s_mov_b32 s41, s36
	flat_load_b64 v[5:6], v[5:6]
.LBB105_21:                             ;   Parent Loop BB105_4 Depth=1
                                        ;     Parent Loop BB105_14 Depth=2
                                        ;       Parent Loop BB105_17 Depth=3
                                        ;         Parent Loop BB105_20 Depth=4
                                        ; =>        This Inner Loop Header: Depth=5
	scratch_load_b64 v[16:17], off, s21
	v_mov_b32_e32 v18, s23
	s_wait_alu 0xfffe
	s_add_co_i32 s41, s41, -1
	s_addk_co_i32 s23, 0xff00
	ds_load_b64 v[18:19], v18
	s_wait_loadcnt_dscnt 0x0
	v_fma_f64 v[16:17], -v[5:6], v[18:19], v[16:17]
	scratch_store_b64 off, v[16:17], s21
	s_add_co_i32 s21, s21, 8
	s_wait_alu 0xfffe
	s_cmp_eq_u32 s41, 0
	s_cbranch_scc0 .LBB105_21
; %bb.22:                               ;   in Loop: Header=BB105_20 Depth=4
	s_add_co_i32 s20, s20, -1
	s_add_co_i32 s22, s22, -8
	s_wait_alu 0xfffe
	s_cmp_le_i32 s20, s18
	s_cbranch_scc0 .LBB105_20
.LBB105_23:                             ;   in Loop: Header=BB105_17 Depth=3
	s_mov_b32 s41, 0
	s_mov_b32 s42, s39
	s_branch .LBB105_25
.LBB105_24:                             ;   in Loop: Header=BB105_25 Depth=4
	s_wait_alu 0xfffe
	s_mulk_i32 s22, 0x108
	s_lshl_b64 s[20:21], s[20:21], 3
	s_wait_alu 0xfffe
	v_mov_b32_e32 v16, s22
	s_lshl_b32 s22, s41, 3
	s_add_co_i32 s41, s41, 1
	s_addk_co_i32 s42, 0xff00
	s_wait_alu 0xfffe
	s_cmp_eq_u32 s41, s36
	ds_load_b64 v[16:17], v16
	s_wait_loadcnt_dscnt 0x0
	v_mul_f64_e32 v[5:6], v[16:17], v[5:6]
	v_add_co_u32 v16, vcc_lo, v12, s20
	s_wait_alu 0xfffd
	v_add_co_ci_u32_e64 v17, null, s21, v13, vcc_lo
	scratch_store_b64 off, v[5:6], s22
	flat_store_b64 v[16:17], v[5:6]
	s_cbranch_scc1 .LBB105_16
.LBB105_25:                             ;   Parent Loop BB105_4 Depth=1
                                        ;     Parent Loop BB105_14 Depth=2
                                        ;       Parent Loop BB105_17 Depth=3
                                        ; =>      This Loop Header: Depth=4
                                        ;           Child Loop BB105_27 Depth 5
	s_wait_alu 0xfffe
	s_cmp_lg_u32 s41, 0
	s_cbranch_scc0 .LBB105_29
; %bb.26:                               ;   in Loop: Header=BB105_25 Depth=4
	s_lshl_b32 s20, s41, 3
	s_mov_b32 s21, 0
	scratch_load_b64 v[5:6], off, s20
	s_mov_b32 s22, s42
	s_mov_b32 s23, s41
.LBB105_27:                             ;   Parent Loop BB105_4 Depth=1
                                        ;     Parent Loop BB105_14 Depth=2
                                        ;       Parent Loop BB105_17 Depth=3
                                        ;         Parent Loop BB105_25 Depth=4
                                        ; =>        This Inner Loop Header: Depth=5
	scratch_load_b64 v[16:17], off, s21
	s_wait_alu 0xfffe
	v_mov_b32_e32 v18, s22
	s_add_co_i32 s23, s23, -1
	s_add_co_i32 s22, s22, -8
	s_add_co_i32 s21, s21, 8
	s_wait_alu 0xfffe
	s_cmp_eq_u32 s23, 0
	ds_load_b64 v[18:19], v18
	s_wait_loadcnt_dscnt 0x0
	v_fma_f64 v[5:6], -v[16:17], v[18:19], v[5:6]
	scratch_store_b64 off, v[5:6], s20
	s_cbranch_scc0 .LBB105_27
; %bb.28:                               ;   in Loop: Header=BB105_25 Depth=4
	s_sub_co_i32 s22, s18, s41
	s_wait_alu 0xfffe
	s_ashr_i32 s23, s22, 31
	s_wait_alu 0xfffe
	s_mov_b64 s[20:21], s[22:23]
	s_branch .LBB105_24
.LBB105_29:                             ;   in Loop: Header=BB105_25 Depth=4
                                        ; implicit-def: $vgpr5_vgpr6
                                        ; implicit-def: $sgpr22
                                        ; implicit-def: $sgpr20_sgpr21
	s_cbranch_execz .LBB105_24
; %bb.30:                               ;   in Loop: Header=BB105_25 Depth=4
	scratch_load_b64 v[5:6], off, off
	s_mov_b64 s[20:21], s[18:19]
	s_mov_b32 s22, s18
	s_branch .LBB105_24
.LBB105_31:                             ;   in Loop: Header=BB105_4 Depth=1
	s_mov_b32 s14, 0
.LBB105_32:                             ;   in Loop: Header=BB105_4 Depth=1
	s_delay_alu instid0(SALU_CYCLE_1)
	s_and_b32 vcc_lo, exec_lo, s14
	s_wait_alu 0xfffe
	s_cbranch_vccz .LBB105_2
; %bb.33:                               ;   in Loop: Header=BB105_4 Depth=1
	v_add_co_u32 v14, vcc_lo, v3, v9
	s_wait_alu 0xfffd
	v_add_co_ci_u32_e64 v15, null, v4, v10, vcc_lo
	s_mov_b32 s18, 0
	s_mov_b32 s20, 0
	s_branch .LBB105_35
.LBB105_34:                             ;   in Loop: Header=BB105_35 Depth=2
	s_cmp_lt_i32 s18, s27
	s_cselect_b32 s14, -1, 0
	s_add_co_i32 s19, s20, 1
	s_cmp_lt_u32 s20, 2
	s_cselect_b32 s20, -1, 0
	s_wait_alu 0xfffe
	s_and_b32 s14, s14, s20
	s_mov_b32 s20, s19
	s_and_not1_b32 vcc_lo, exec_lo, s14
	s_wait_alu 0xfffe
	s_cbranch_vccnz .LBB105_2
.LBB105_35:                             ;   Parent Loop BB105_4 Depth=1
                                        ; =>  This Loop Header: Depth=2
                                        ;       Child Loop BB105_38 Depth 3
                                        ;         Child Loop BB105_39 Depth 4
                                        ;         Child Loop BB105_42 Depth 4
                                        ;           Child Loop BB105_43 Depth 5
                                        ;         Child Loop BB105_47 Depth 4
                                        ;           Child Loop BB105_49 Depth 5
	s_mov_b32 s21, s15
	s_getpc_b64 s[22:23]
	s_wait_alu 0xfffe
	s_sext_i32_i16 s23, s23
	s_add_co_u32 s22, s22, __const._ZL30rocblas_trsm_small_left_deviceILi32ELi32ELb1EddPKPKdPKPdEv13rocblas_fill_18rocblas_operation_17rocblas_diagonal_iiT3_T4_lilT5_lili.step_sizes@rel32@lo+12
	s_wait_alu 0xfffe
	s_add_co_ci_u32 s23, s23, __const._ZL30rocblas_trsm_small_left_deviceILi32ELi32ELb1EddPKPKdPKPdEv13rocblas_fill_18rocblas_operation_17rocblas_diagonal_iiT3_T4_lilT5_lili.step_sizes@rel32@hi+24
	s_lshl_b64 s[24:25], s[20:21], 2
	s_wait_alu 0xfffe
	s_add_nc_u64 s[22:23], s[22:23], s[24:25]
	s_load_b32 s22, s[22:23], 0x0
	s_wait_kmcnt 0x0
	s_add_co_i32 s21, s22, -1
	s_wait_alu 0xfffe
	s_add_co_i32 s14, s21, s18
	s_delay_alu instid0(SALU_CYCLE_1)
	s_cmp_ge_i32 s14, s27
	s_cbranch_scc1 .LBB105_34
; %bb.36:                               ;   in Loop: Header=BB105_35 Depth=2
	s_ashr_i32 s19, s18, 31
	s_ashr_i32 s23, s22, 31
	s_lshl_b64 s[24:25], s[18:19], 3
	s_max_i32 s36, s22, 1
	s_wait_alu 0xfffe
	v_add_co_u32 v3, vcc_lo, v14, s24
	s_wait_alu 0xfffd
	v_add_co_ci_u32_e64 v4, null, s25, v15, vcc_lo
	s_lshl_b64 s[24:25], s[22:23], 3
	s_lshl_b32 s19, s18, 3
	s_lshl_b32 s23, s22, 3
	s_mul_i32 s37, s18, 0x108
	s_mul_i32 s38, s22, 0x108
	s_branch .LBB105_38
.LBB105_37:                             ;   in Loop: Header=BB105_38 Depth=3
	v_add_co_u32 v3, vcc_lo, v3, s24
	s_add_co_i32 s18, s18, s22
	s_wait_alu 0xfffd
	v_add_co_ci_u32_e64 v4, null, s25, v4, vcc_lo
	s_add_co_i32 s14, s21, s18
	s_add_co_i32 s19, s19, s23
	;; [unrolled: 1-line block ×3, first 2 shown]
	s_cmp_ge_i32 s14, s27
	s_cbranch_scc1 .LBB105_34
.LBB105_38:                             ;   Parent Loop BB105_4 Depth=1
                                        ;     Parent Loop BB105_35 Depth=2
                                        ; =>    This Loop Header: Depth=3
                                        ;         Child Loop BB105_39 Depth 4
                                        ;         Child Loop BB105_42 Depth 4
                                        ;           Child Loop BB105_43 Depth 5
                                        ;         Child Loop BB105_47 Depth 4
                                        ;           Child Loop BB105_49 Depth 5
	v_dual_mov_b32 v6, v4 :: v_dual_mov_b32 v5, v3
	s_mov_b32 s14, 0
	s_mov_b32 s39, s36
.LBB105_39:                             ;   Parent Loop BB105_4 Depth=1
                                        ;     Parent Loop BB105_35 Depth=2
                                        ;       Parent Loop BB105_38 Depth=3
                                        ; =>      This Inner Loop Header: Depth=4
	flat_load_b64 v[16:17], v[5:6]
	v_add_co_u32 v5, vcc_lo, v5, 8
	s_wait_alu 0xfffd
	v_add_co_ci_u32_e64 v6, null, 0, v6, vcc_lo
	s_add_co_i32 s39, s39, -1
	s_wait_loadcnt_dscnt 0x0
	v_mul_f64_e32 v[16:17], s[4:5], v[16:17]
	scratch_store_b64 off, v[16:17], s14
	s_add_co_i32 s14, s14, 8
	s_cmp_eq_u32 s39, 0
	s_cbranch_scc0 .LBB105_39
; %bb.40:                               ;   in Loop: Header=BB105_38 Depth=3
	s_cmp_lt_i32 s18, 1
	s_cbranch_scc1 .LBB105_45
; %bb.41:                               ;   in Loop: Header=BB105_38 Depth=3
	s_mov_b32 s14, 0
	s_mov_b32 s39, s19
.LBB105_42:                             ;   Parent Loop BB105_4 Depth=1
                                        ;     Parent Loop BB105_35 Depth=2
                                        ;       Parent Loop BB105_38 Depth=3
                                        ; =>      This Loop Header: Depth=4
                                        ;           Child Loop BB105_43 Depth 5
	s_lshl_b64 s[40:41], s[14:15], 3
	s_mov_b32 s42, s36
	s_wait_alu 0xfffe
	v_add_co_u32 v5, vcc_lo, v12, s40
	s_wait_alu 0xfffd
	v_add_co_ci_u32_e64 v6, null, s41, v13, vcc_lo
	s_mov_b32 s40, 0
	s_mov_b32 s41, s39
	flat_load_b64 v[5:6], v[5:6]
.LBB105_43:                             ;   Parent Loop BB105_4 Depth=1
                                        ;     Parent Loop BB105_35 Depth=2
                                        ;       Parent Loop BB105_38 Depth=3
                                        ;         Parent Loop BB105_42 Depth=4
                                        ; =>        This Inner Loop Header: Depth=5
	scratch_load_b64 v[16:17], off, s40
	s_wait_alu 0xfffe
	v_mov_b32_e32 v18, s41
	s_add_co_i32 s42, s42, -1
	s_add_co_i32 s41, s41, 8
	ds_load_b64 v[18:19], v18
	s_wait_loadcnt_dscnt 0x0
	v_fma_f64 v[16:17], -v[5:6], v[18:19], v[16:17]
	scratch_store_b64 off, v[16:17], s40
	s_add_co_i32 s40, s40, 8
	s_wait_alu 0xfffe
	s_cmp_eq_u32 s42, 0
	s_cbranch_scc0 .LBB105_43
; %bb.44:                               ;   in Loop: Header=BB105_42 Depth=4
	s_add_co_i32 s14, s14, 1
	s_addk_co_i32 s39, 0x100
	s_cmp_eq_u32 s14, s18
	s_cbranch_scc0 .LBB105_42
.LBB105_45:                             ;   in Loop: Header=BB105_38 Depth=3
	s_mov_b32 s14, 0
	s_mov_b32 s39, s37
	s_branch .LBB105_47
.LBB105_46:                             ;   in Loop: Header=BB105_47 Depth=4
	s_add_co_i32 s40, s14, s18
	s_lshl_b32 s42, s14, 3
	s_wait_alu 0xfffe
	s_mul_i32 s41, s40, 0x108
	s_add_co_i32 s14, s14, 1
	s_wait_alu 0xfffe
	v_mov_b32_e32 v16, s41
	s_ashr_i32 s41, s40, 31
	s_add_co_i32 s39, s39, 8
	s_wait_alu 0xfffe
	s_lshl_b64 s[40:41], s[40:41], 3
	s_cmp_eq_u32 s14, s36
	ds_load_b64 v[16:17], v16
	s_wait_loadcnt_dscnt 0x0
	v_mul_f64_e32 v[5:6], v[16:17], v[5:6]
	s_wait_alu 0xfffe
	v_add_co_u32 v16, vcc_lo, v12, s40
	s_wait_alu 0xfffd
	v_add_co_ci_u32_e64 v17, null, s41, v13, vcc_lo
	scratch_store_b64 off, v[5:6], s42
	flat_store_b64 v[16:17], v[5:6]
	s_cbranch_scc1 .LBB105_37
.LBB105_47:                             ;   Parent Loop BB105_4 Depth=1
                                        ;     Parent Loop BB105_35 Depth=2
                                        ;       Parent Loop BB105_38 Depth=3
                                        ; =>      This Loop Header: Depth=4
                                        ;           Child Loop BB105_49 Depth 5
	s_cmp_lg_u32 s14, 0
	s_cbranch_scc0 .LBB105_51
; %bb.48:                               ;   in Loop: Header=BB105_47 Depth=4
	s_lshl_b32 s40, s14, 3
	s_mov_b32 s41, 0
	scratch_load_b64 v[5:6], off, s40
	s_mov_b32 s42, s39
	s_mov_b32 s43, s14
.LBB105_49:                             ;   Parent Loop BB105_4 Depth=1
                                        ;     Parent Loop BB105_35 Depth=2
                                        ;       Parent Loop BB105_38 Depth=3
                                        ;         Parent Loop BB105_47 Depth=4
                                        ; =>        This Inner Loop Header: Depth=5
	scratch_load_b64 v[16:17], off, s41
	s_wait_alu 0xfffe
	v_mov_b32_e32 v18, s42
	s_add_co_i32 s43, s43, -1
	s_addk_co_i32 s42, 0x100
	s_add_co_i32 s41, s41, 8
	s_wait_alu 0xfffe
	s_cmp_eq_u32 s43, 0
	ds_load_b64 v[18:19], v18
	s_wait_loadcnt_dscnt 0x0
	v_fma_f64 v[5:6], -v[16:17], v[18:19], v[5:6]
	scratch_store_b64 off, v[5:6], s40
	s_cbranch_scc0 .LBB105_49
; %bb.50:                               ;   in Loop: Header=BB105_47 Depth=4
	s_branch .LBB105_46
.LBB105_51:                             ;   in Loop: Header=BB105_47 Depth=4
                                        ; implicit-def: $vgpr5_vgpr6
	s_cbranch_execz .LBB105_46
; %bb.52:                               ;   in Loop: Header=BB105_47 Depth=4
	scratch_load_b64 v[5:6], off, off
	s_branch .LBB105_46
.LBB105_53:
	s_or_b32 exec_lo, exec_lo, s33
	s_and_saveexec_b32 s0, s34
	s_wait_alu 0xfffe
	s_xor_b32 s0, exec_lo, s0
.LBB105_54:
	s_endpgm
	.section	.rodata,"a",@progbits
	.p2align	6, 0x0
	.amdhsa_kernel _ZL30rocblas_trsm_small_left_deviceILi32ELi32ELb1EddPKPKdPKPdEv13rocblas_fill_18rocblas_operation_17rocblas_diagonal_iiT3_T4_lilT5_lili
		.amdhsa_group_segment_fixed_size 8192
		.amdhsa_private_segment_fixed_size 272
		.amdhsa_kernarg_size 360
		.amdhsa_user_sgpr_count 2
		.amdhsa_user_sgpr_dispatch_ptr 0
		.amdhsa_user_sgpr_queue_ptr 0
		.amdhsa_user_sgpr_kernarg_segment_ptr 1
		.amdhsa_user_sgpr_dispatch_id 0
		.amdhsa_user_sgpr_private_segment_size 0
		.amdhsa_wavefront_size32 1
		.amdhsa_uses_dynamic_stack 0
		.amdhsa_enable_private_segment 1
		.amdhsa_system_sgpr_workgroup_id_x 1
		.amdhsa_system_sgpr_workgroup_id_y 0
		.amdhsa_system_sgpr_workgroup_id_z 1
		.amdhsa_system_sgpr_workgroup_info 0
		.amdhsa_system_vgpr_workitem_id 0
		.amdhsa_next_free_vgpr 241
		.amdhsa_next_free_sgpr 44
		.amdhsa_reserve_vcc 1
		.amdhsa_float_round_mode_32 0
		.amdhsa_float_round_mode_16_64 0
		.amdhsa_float_denorm_mode_32 3
		.amdhsa_float_denorm_mode_16_64 3
		.amdhsa_fp16_overflow 0
		.amdhsa_workgroup_processor_mode 1
		.amdhsa_memory_ordered 1
		.amdhsa_forward_progress 1
		.amdhsa_inst_pref_size 19
		.amdhsa_round_robin_scheduling 0
		.amdhsa_exception_fp_ieee_invalid_op 0
		.amdhsa_exception_fp_denorm_src 0
		.amdhsa_exception_fp_ieee_div_zero 0
		.amdhsa_exception_fp_ieee_overflow 0
		.amdhsa_exception_fp_ieee_underflow 0
		.amdhsa_exception_fp_ieee_inexact 0
		.amdhsa_exception_int_div_zero 0
	.end_amdhsa_kernel
	.section	.text._ZL30rocblas_trsm_small_left_deviceILi32ELi32ELb1EddPKPKdPKPdEv13rocblas_fill_18rocblas_operation_17rocblas_diagonal_iiT3_T4_lilT5_lili,"axG",@progbits,_ZL30rocblas_trsm_small_left_deviceILi32ELi32ELb1EddPKPKdPKPdEv13rocblas_fill_18rocblas_operation_17rocblas_diagonal_iiT3_T4_lilT5_lili,comdat
.Lfunc_end105:
	.size	_ZL30rocblas_trsm_small_left_deviceILi32ELi32ELb1EddPKPKdPKPdEv13rocblas_fill_18rocblas_operation_17rocblas_diagonal_iiT3_T4_lilT5_lili, .Lfunc_end105-_ZL30rocblas_trsm_small_left_deviceILi32ELi32ELb1EddPKPKdPKPdEv13rocblas_fill_18rocblas_operation_17rocblas_diagonal_iiT3_T4_lilT5_lili
                                        ; -- End function
	.set _ZL30rocblas_trsm_small_left_deviceILi32ELi32ELb1EddPKPKdPKPdEv13rocblas_fill_18rocblas_operation_17rocblas_diagonal_iiT3_T4_lilT5_lili.num_vgpr, 20
	.set _ZL30rocblas_trsm_small_left_deviceILi32ELi32ELb1EddPKPKdPKPdEv13rocblas_fill_18rocblas_operation_17rocblas_diagonal_iiT3_T4_lilT5_lili.num_agpr, 0
	.set _ZL30rocblas_trsm_small_left_deviceILi32ELi32ELb1EddPKPKdPKPdEv13rocblas_fill_18rocblas_operation_17rocblas_diagonal_iiT3_T4_lilT5_lili.numbered_sgpr, 44
	.set _ZL30rocblas_trsm_small_left_deviceILi32ELi32ELb1EddPKPKdPKPdEv13rocblas_fill_18rocblas_operation_17rocblas_diagonal_iiT3_T4_lilT5_lili.num_named_barrier, 0
	.set _ZL30rocblas_trsm_small_left_deviceILi32ELi32ELb1EddPKPKdPKPdEv13rocblas_fill_18rocblas_operation_17rocblas_diagonal_iiT3_T4_lilT5_lili.private_seg_size, 272
	.set _ZL30rocblas_trsm_small_left_deviceILi32ELi32ELb1EddPKPKdPKPdEv13rocblas_fill_18rocblas_operation_17rocblas_diagonal_iiT3_T4_lilT5_lili.uses_vcc, 1
	.set _ZL30rocblas_trsm_small_left_deviceILi32ELi32ELb1EddPKPKdPKPdEv13rocblas_fill_18rocblas_operation_17rocblas_diagonal_iiT3_T4_lilT5_lili.uses_flat_scratch, 0
	.set _ZL30rocblas_trsm_small_left_deviceILi32ELi32ELb1EddPKPKdPKPdEv13rocblas_fill_18rocblas_operation_17rocblas_diagonal_iiT3_T4_lilT5_lili.has_dyn_sized_stack, 0
	.set _ZL30rocblas_trsm_small_left_deviceILi32ELi32ELb1EddPKPKdPKPdEv13rocblas_fill_18rocblas_operation_17rocblas_diagonal_iiT3_T4_lilT5_lili.has_recursion, 0
	.set _ZL30rocblas_trsm_small_left_deviceILi32ELi32ELb1EddPKPKdPKPdEv13rocblas_fill_18rocblas_operation_17rocblas_diagonal_iiT3_T4_lilT5_lili.has_indirect_call, 0
	.section	.AMDGPU.csdata,"",@progbits
; Kernel info:
; codeLenInByte = 2356
; TotalNumSgprs: 46
; NumVgprs: 20
; ScratchSize: 272
; MemoryBound: 0
; FloatMode: 240
; IeeeMode: 1
; LDSByteSize: 8192 bytes/workgroup (compile time only)
; SGPRBlocks: 0
; VGPRBlocks: 30
; NumSGPRsForWavesPerEU: 46
; NumVGPRsForWavesPerEU: 241
; Occupancy: 4
; WaveLimiterHint : 1
; COMPUTE_PGM_RSRC2:SCRATCH_EN: 1
; COMPUTE_PGM_RSRC2:USER_SGPR: 2
; COMPUTE_PGM_RSRC2:TRAP_HANDLER: 0
; COMPUTE_PGM_RSRC2:TGID_X_EN: 1
; COMPUTE_PGM_RSRC2:TGID_Y_EN: 0
; COMPUTE_PGM_RSRC2:TGID_Z_EN: 1
; COMPUTE_PGM_RSRC2:TIDIG_COMP_CNT: 0
	.section	.text._ZL31rocblas_trsm_small_right_deviceIddPKPKdPKPdLi32EEv13rocblas_fill_18rocblas_operation_17rocblas_diagonal_iiT0_T1_lilT2_lili,"axG",@progbits,_ZL31rocblas_trsm_small_right_deviceIddPKPKdPKPdLi32EEv13rocblas_fill_18rocblas_operation_17rocblas_diagonal_iiT0_T1_lilT2_lili,comdat
	.globl	_ZL31rocblas_trsm_small_right_deviceIddPKPKdPKPdLi32EEv13rocblas_fill_18rocblas_operation_17rocblas_diagonal_iiT0_T1_lilT2_lili ; -- Begin function _ZL31rocblas_trsm_small_right_deviceIddPKPKdPKPdLi32EEv13rocblas_fill_18rocblas_operation_17rocblas_diagonal_iiT0_T1_lilT2_lili
	.p2align	8
	.type	_ZL31rocblas_trsm_small_right_deviceIddPKPKdPKPdLi32EEv13rocblas_fill_18rocblas_operation_17rocblas_diagonal_iiT0_T1_lilT2_lili,@function
_ZL31rocblas_trsm_small_right_deviceIddPKPKdPKPdLi32EEv13rocblas_fill_18rocblas_operation_17rocblas_diagonal_iiT0_T1_lilT2_lili: ; @_ZL31rocblas_trsm_small_right_deviceIddPKPKdPKPdLi32EEv13rocblas_fill_18rocblas_operation_17rocblas_diagonal_iiT0_T1_lilT2_lili
; %bb.0:
	s_load_b32 s22, s[0:1], 0x60
	s_lshr_b32 s2, ttmp7, 16
	s_wait_kmcnt 0x0
	s_cmp_ge_u32 s2, s22
	s_cbranch_scc1 .LBB106_82
; %bb.1:
	s_clause 0x6
	s_load_b96 s[16:18], s[0:1], 0x28
	s_load_b32 s30, s[0:1], 0x50
	s_load_b128 s[12:15], s[0:1], 0x0
	s_load_b32 s23, s[0:1], 0x10
	s_load_b32 s3, s[0:1], 0x68
	s_load_b128 s[4:7], s[0:1], 0x18
	s_load_b128 s[8:11], s[0:1], 0x40
	s_mov_b32 s20, ttmp9
	v_dual_mov_b32 v5, 0x3ff00000 :: v_dual_lshlrev_b32 v10, 3, v0
	v_dual_mov_b32 v4, 0 :: v_dual_lshlrev_b32 v1, 8, v0
	v_lshlrev_b32_e32 v15, 3, v0
	s_delay_alu instid0(VALU_DEP_3) | instskip(NEXT) | instid1(VALU_DEP_3)
	v_or_b32_e32 v11, 0x2000, v10
	v_add_nc_u32_e32 v14, v10, v1
	s_wait_kmcnt 0x0
	s_ashr_i32 s19, s18, 31
	s_ashr_i32 s31, s30, 31
	s_cmp_lg_u32 s12, 0x7a
	s_cselect_b32 s26, -1, 0
	s_min_i32 s1, s23, 32
	s_lshl_b32 s0, ttmp9, 5
	s_add_co_i32 s3, s3, -1
	s_add_co_i32 s24, s1, -1
	s_sub_co_i32 s0, s15, s0
	s_cmp_ge_u32 ttmp9, s3
	s_mul_i32 s34, s1, 0x108
	s_cselect_b32 s15, s0, 32
	s_ashr_i32 s21, ttmp9, 31
	v_cmp_gt_i32_e32 vcc_lo, s15, v0
	s_lshl_b64 s[20:21], s[20:21], 8
	s_cmp_eq_u32 s14, 0x84
	v_cmp_gt_i32_e64 s0, s1, v0
	s_cselect_b32 s25, -1, 0
	s_cmp_gt_i32 s23, 0
	s_mov_b32 s3, 0
	s_cselect_b32 s14, -1, 0
	s_cmp_lg_u32 s13, 0x6f
	s_cselect_b32 s13, -1, 0
	s_cmp_lg_u32 s12, 0x79
	s_cselect_b32 s12, -1, 0
	s_or_b32 s26, s26, s13
	s_or_b32 s27, s12, s13
	s_cmp_gt_i32 s23, 3
	v_cndmask_b32_e64 v12, 0, 1, s12
	s_cselect_b32 s28, -1, 0
	s_lshl_b32 s33, s1, 8
	s_lshl_b32 s36, s1, 3
	v_or_b32_e32 v2, s33, v10
	s_wait_alu 0xfffe
	s_and_b32 s29, vcc_lo, s14
	s_lshl_b64 s[12:13], s[18:19], 3
	s_lshl_b64 s[14:15], s[30:31], 3
	s_add_co_i32 s30, s34, 0xfffffee0
	v_add_nc_u32_e32 v13, 0x1f00, v2
	s_add_co_i32 s31, s33, 0xffffff00
	s_addk_co_i32 s33, 0xfef8
	s_addk_co_i32 s34, 0xfbf8
	s_add_co_i32 s35, s36, -8
	s_addk_co_i32 s36, 0xfef8
	s_lshl_b64 s[16:17], s[16:17], 3
	s_lshl_b64 s[10:11], s[10:11], 3
	s_branch .LBB106_3
.LBB106_2:                              ;   in Loop: Header=BB106_3 Depth=1
	s_wait_alu 0xfffe
	s_or_b32 exec_lo, exec_lo, s18
	s_add_co_i32 s2, s2, 0x10000
	s_delay_alu instid0(SALU_CYCLE_1)
	s_cmp_lt_u32 s2, s22
	s_cbranch_scc0 .LBB106_82
.LBB106_3:                              ; =>This Loop Header: Depth=1
                                        ;     Child Loop BB106_5 Depth 2
                                        ;     Child Loop BB106_10 Depth 2
                                        ;     Child Loop BB106_16 Depth 2
                                        ;       Child Loop BB106_17 Depth 3
                                        ;     Child Loop BB106_23 Depth 2
                                        ;       Child Loop BB106_24 Depth 3
                                        ;     Child Loop BB106_28 Depth 2
	;; [unrolled: 2-line block ×3, first 2 shown]
                                        ;     Child Loop BB106_41 Depth 2
                                        ;       Child Loop BB106_42 Depth 3
                                        ;       Child Loop BB106_44 Depth 3
                                        ;     Child Loop BB106_48 Depth 2
                                        ;       Child Loop BB106_49 Depth 3
                                        ;     Child Loop BB106_57 Depth 2
                                        ;     Child Loop BB106_62 Depth 2
                                        ;       Child Loop BB106_63 Depth 3
                                        ;       Child Loop BB106_65 Depth 3
                                        ;     Child Loop BB106_70 Depth 2
                                        ;       Child Loop BB106_71 Depth 3
                                        ;     Child Loop BB106_77 Depth 2
	;; [unrolled: 2-line block ×3, first 2 shown]
	s_lshl_b64 s[18:19], s[2:3], 3
	s_wait_alu 0xfffe
	s_add_nc_u64 s[38:39], s[8:9], s[18:19]
	global_load_b64 v[0:1], v4, s[38:39]
	s_and_saveexec_b32 s37, s0
	s_cbranch_execz .LBB106_8
; %bb.4:                                ;   in Loop: Header=BB106_3 Depth=1
	s_add_nc_u64 s[18:19], s[6:7], s[18:19]
	v_mov_b32_e32 v6, v10
	global_load_b64 v[2:3], v4, s[18:19]
	s_mov_b32 s18, s1
	s_wait_loadcnt 0x0
	v_add_co_u32 v2, vcc_lo, v2, s16
	s_wait_alu 0xfffd
	v_add_co_ci_u32_e64 v3, null, s17, v3, vcc_lo
	s_delay_alu instid0(VALU_DEP_2) | instskip(SKIP_1) | instid1(VALU_DEP_2)
	v_add_co_u32 v2, vcc_lo, v2, v15
	s_wait_alu 0xfffd
	v_add_co_ci_u32_e64 v3, null, 0, v3, vcc_lo
.LBB106_5:                              ;   Parent Loop BB106_3 Depth=1
                                        ; =>  This Inner Loop Header: Depth=2
	flat_load_b64 v[7:8], v[2:3]
	s_wait_alu 0xfffe
	v_add_co_u32 v2, vcc_lo, v2, s12
	s_wait_alu 0xfffd
	v_add_co_ci_u32_e64 v3, null, s13, v3, vcc_lo
	s_add_co_i32 s18, s18, -1
	s_wait_alu 0xfffe
	s_cmp_eq_u32 s18, 0
	s_wait_loadcnt_dscnt 0x0
	ds_store_b64 v6, v[7:8]
	v_add_nc_u32_e32 v6, 0x100, v6
	s_cbranch_scc0 .LBB106_5
; %bb.6:                                ;   in Loop: Header=BB106_3 Depth=1
	s_and_b32 vcc_lo, exec_lo, s25
	s_wait_alu 0xfffe
	s_cbranch_vccz .LBB106_8
; %bb.7:                                ;   in Loop: Header=BB106_3 Depth=1
	ds_store_b64 v14, v[4:5]
.LBB106_8:                              ;   in Loop: Header=BB106_3 Depth=1
	s_wait_alu 0xfffe
	s_or_b32 exec_lo, exec_lo, s37
	s_wait_loadcnt 0x0
	v_add_co_u32 v0, vcc_lo, v0, s10
	s_wait_alu 0xfffd
	v_add_co_ci_u32_e64 v1, null, s11, v1, vcc_lo
	s_delay_alu instid0(VALU_DEP_2) | instskip(SKIP_1) | instid1(VALU_DEP_2)
	v_add_co_u32 v16, vcc_lo, v0, s20
	s_wait_alu 0xfffd
	v_add_co_ci_u32_e64 v17, null, s21, v1, vcc_lo
	s_and_saveexec_b32 s18, s29
	s_cbranch_execz .LBB106_11
; %bb.9:                                ;   in Loop: Header=BB106_3 Depth=1
	v_add_co_u32 v0, vcc_lo, v16, v15
	s_wait_alu 0xfffd
	v_add_co_ci_u32_e64 v1, null, 0, v17, vcc_lo
	v_mov_b32_e32 v2, v11
	s_mov_b32 s19, s23
.LBB106_10:                             ;   Parent Loop BB106_3 Depth=1
                                        ; =>  This Inner Loop Header: Depth=2
	flat_load_b64 v[6:7], v[0:1]
	s_wait_alu 0xfffe
	v_add_co_u32 v0, vcc_lo, v0, s14
	s_wait_alu 0xfffd
	v_add_co_ci_u32_e64 v1, null, s15, v1, vcc_lo
	s_add_co_i32 s19, s19, -1
	s_wait_alu 0xfffe
	s_cmp_lg_u32 s19, 0
	s_wait_loadcnt_dscnt 0x0
	v_mul_f64_e32 v[6:7], s[4:5], v[6:7]
	ds_store_b64 v2, v[6:7]
	v_add_nc_u32_e32 v2, 0x100, v2
	s_cbranch_scc1 .LBB106_10
.LBB106_11:                             ;   in Loop: Header=BB106_3 Depth=1
	s_wait_alu 0xfffe
	s_or_b32 exec_lo, exec_lo, s18
	s_delay_alu instid0(SALU_CYCLE_1)
	s_and_b32 vcc_lo, exec_lo, s27
	s_mov_b32 s18, -1
	s_wait_dscnt 0x0
	; wave barrier
	global_inv scope:SCOPE_SE
	s_wait_alu 0xfffe
	s_cbranch_vccz .LBB106_67
; %bb.12:                               ;   in Loop: Header=BB106_3 Depth=1
	s_and_b32 vcc_lo, exec_lo, s26
	s_wait_alu 0xfffe
	s_cbranch_vccz .LBB106_46
; %bb.13:                               ;   in Loop: Header=BB106_3 Depth=1
	v_cmp_ne_u32_e32 vcc_lo, 1, v12
	s_cbranch_vccnz .LBB106_26
; %bb.14:                               ;   in Loop: Header=BB106_3 Depth=1
	s_and_not1_b32 vcc_lo, exec_lo, s28
	s_mov_b32 s37, 0
	s_wait_alu 0xfffe
	s_cbranch_vccnz .LBB106_20
; %bb.15:                               ;   in Loop: Header=BB106_3 Depth=1
	s_mov_b32 s18, 0
	s_mov_b32 s19, 0
.LBB106_16:                             ;   Parent Loop BB106_3 Depth=1
                                        ; =>  This Loop Header: Depth=2
                                        ;       Child Loop BB106_17 Depth 3
	s_wait_alu 0xfffe
	s_lshl_b32 s38, s19, 8
	s_or_b32 s37, s19, 1
	s_wait_alu 0xfffe
	v_dual_mov_b32 v21, v11 :: v_dual_add_nc_u32 v18, s38, v11
	s_or_b32 s39, s38, 0x300
	v_lshl_add_u32 v20, s37, 8, v11
	s_wait_alu 0xfffe
	v_add_nc_u32_e32 v19, s39, v11
	ds_load_2addr_stride64_b64 v[0:3], v18 offset1:1
	ds_load_b64 v[8:9], v20
	ds_load_b64 v[6:7], v19
	s_cmp_eq_u32 s19, 0
	s_mov_b32 s39, s18
	s_mov_b32 s40, s19
	s_cbranch_scc1 .LBB106_18
.LBB106_17:                             ;   Parent Loop BB106_3 Depth=1
                                        ;     Parent Loop BB106_16 Depth=2
                                        ; =>    This Inner Loop Header: Depth=3
	s_wait_alu 0xfffe
	v_mov_b32_e32 v26, s39
	s_add_co_i32 s40, s40, -1
	s_addk_co_i32 s39, 0x100
	s_wait_alu 0xfffe
	s_cmp_eq_u32 s40, 0
	ds_load_b64 v[30:31], v21
	ds_load_b128 v[22:25], v26
	ds_load_b128 v[26:29], v26 offset:16
	v_add_nc_u32_e32 v21, 0x100, v21
	s_wait_dscnt 0x1
	v_fma_f64 v[0:1], -v[30:31], v[22:23], v[0:1]
	v_fma_f64 v[8:9], -v[30:31], v[24:25], v[8:9]
	s_wait_dscnt 0x0
	v_fma_f64 v[2:3], -v[30:31], v[26:27], v[2:3]
	v_fma_f64 v[6:7], -v[30:31], v[28:29], v[6:7]
	s_cbranch_scc0 .LBB106_17
.LBB106_18:                             ;   in Loop: Header=BB106_16 Depth=2
	s_lshl_b32 s39, s19, 3
	s_lshl_b32 s37, s37, 3
	s_wait_alu 0xfffe
	s_add_co_i32 s38, s39, s38
	s_wait_alu 0xfffe
	v_dual_mov_b32 v42, s38 :: v_dual_add_nc_u32 v21, 0x200, v18
	s_addk_co_i32 s38, 0x108
	s_add_co_i32 s18, s18, 32
	s_wait_alu 0xfffe
	s_sub_co_i32 s37, s38, s37
	ds_load_b128 v[22:25], v42
	ds_load_b128 v[26:29], v42 offset:16
	s_wait_alu 0xfffe
	s_add_co_i32 s37, s37, s39
	s_wait_dscnt 0x1
	v_div_scale_f64 v[30:31], null, v[22:23], v[22:23], v[0:1]
	v_div_scale_f64 v[36:37], vcc_lo, v[0:1], v[22:23], v[0:1]
	s_delay_alu instid0(VALU_DEP_2) | instskip(NEXT) | instid1(TRANS32_DEP_1)
	v_rcp_f64_e32 v[32:33], v[30:31]
	v_fma_f64 v[34:35], -v[30:31], v[32:33], 1.0
	s_delay_alu instid0(VALU_DEP_1) | instskip(NEXT) | instid1(VALU_DEP_1)
	v_fma_f64 v[32:33], v[32:33], v[34:35], v[32:33]
	v_fma_f64 v[34:35], -v[30:31], v[32:33], 1.0
	s_delay_alu instid0(VALU_DEP_1) | instskip(NEXT) | instid1(VALU_DEP_1)
	v_fma_f64 v[32:33], v[32:33], v[34:35], v[32:33]
	v_mul_f64_e32 v[34:35], v[36:37], v[32:33]
	s_delay_alu instid0(VALU_DEP_1) | instskip(SKIP_1) | instid1(VALU_DEP_1)
	v_fma_f64 v[30:31], -v[30:31], v[34:35], v[36:37]
	s_wait_alu 0xfffd
	v_div_fmas_f64 v[30:31], v[30:31], v[32:33], v[34:35]
	s_delay_alu instid0(VALU_DEP_1) | instskip(NEXT) | instid1(VALU_DEP_1)
	v_div_fixup_f64 v[0:1], v[30:31], v[22:23], v[0:1]
	v_fma_f64 v[8:9], -v[0:1], v[24:25], v[8:9]
	ds_load_2addr_b64 v[22:25], v42 offset0:33 offset1:34
	ds_load_b128 v[30:33], v42 offset:528
	s_wait_dscnt 0x2
	v_fma_f64 v[2:3], -v[0:1], v[26:27], v[2:3]
	v_fma_f64 v[6:7], -v[0:1], v[28:29], v[6:7]
	s_wait_dscnt 0x1
	v_div_scale_f64 v[34:35], null, v[22:23], v[22:23], v[8:9]
	v_div_scale_f64 v[40:41], vcc_lo, v[8:9], v[22:23], v[8:9]
	s_delay_alu instid0(VALU_DEP_2) | instskip(NEXT) | instid1(TRANS32_DEP_1)
	v_rcp_f64_e32 v[36:37], v[34:35]
	v_fma_f64 v[38:39], -v[34:35], v[36:37], 1.0
	s_delay_alu instid0(VALU_DEP_1) | instskip(NEXT) | instid1(VALU_DEP_1)
	v_fma_f64 v[36:37], v[36:37], v[38:39], v[36:37]
	v_fma_f64 v[38:39], -v[34:35], v[36:37], 1.0
	s_delay_alu instid0(VALU_DEP_1) | instskip(NEXT) | instid1(VALU_DEP_1)
	v_fma_f64 v[36:37], v[36:37], v[38:39], v[36:37]
	v_mul_f64_e32 v[38:39], v[40:41], v[36:37]
	s_delay_alu instid0(VALU_DEP_1) | instskip(SKIP_1) | instid1(VALU_DEP_1)
	v_fma_f64 v[34:35], -v[34:35], v[38:39], v[40:41]
	s_wait_alu 0xfffd
	v_div_fmas_f64 v[34:35], v[34:35], v[36:37], v[38:39]
	s_delay_alu instid0(VALU_DEP_1) | instskip(NEXT) | instid1(VALU_DEP_1)
	v_div_fixup_f64 v[8:9], v[34:35], v[22:23], v[8:9]
	v_fma_f64 v[2:3], -v[8:9], v[24:25], v[2:3]
	s_wait_dscnt 0x0
	s_delay_alu instid0(VALU_DEP_1) | instskip(SKIP_1) | instid1(VALU_DEP_2)
	v_div_scale_f64 v[22:23], null, v[30:31], v[30:31], v[2:3]
	v_div_scale_f64 v[34:35], vcc_lo, v[2:3], v[30:31], v[2:3]
	v_rcp_f64_e32 v[24:25], v[22:23]
	s_delay_alu instid0(TRANS32_DEP_1) | instskip(NEXT) | instid1(VALU_DEP_1)
	v_fma_f64 v[26:27], -v[22:23], v[24:25], 1.0
	v_fma_f64 v[24:25], v[24:25], v[26:27], v[24:25]
	s_delay_alu instid0(VALU_DEP_1) | instskip(NEXT) | instid1(VALU_DEP_1)
	v_fma_f64 v[26:27], -v[22:23], v[24:25], 1.0
	v_fma_f64 v[24:25], v[24:25], v[26:27], v[24:25]
	s_delay_alu instid0(VALU_DEP_1) | instskip(NEXT) | instid1(VALU_DEP_1)
	v_mul_f64_e32 v[26:27], v[34:35], v[24:25]
	v_fma_f64 v[22:23], -v[22:23], v[26:27], v[34:35]
	s_wait_alu 0xfffd
	s_delay_alu instid0(VALU_DEP_1)
	v_div_fmas_f64 v[22:23], v[22:23], v[24:25], v[26:27]
	s_wait_alu 0xfffe
	v_mov_b32_e32 v24, s37
	s_add_co_i32 s37, s19, 4
	s_add_co_i32 s19, s19, 7
	ds_load_b64 v[24:25], v24 offset:24
	ds_load_b64 v[26:27], v42 offset:792
	s_wait_alu 0xfffe
	s_cmp_ge_i32 s19, s1
	s_wait_dscnt 0x1
	v_fma_f64 v[6:7], -v[8:9], v[24:25], v[6:7]
	v_div_fixup_f64 v[2:3], v[22:23], v[30:31], v[2:3]
	s_delay_alu instid0(VALU_DEP_1) | instskip(SKIP_1) | instid1(VALU_DEP_1)
	v_fma_f64 v[6:7], -v[2:3], v[32:33], v[6:7]
	s_wait_dscnt 0x0
	v_div_scale_f64 v[22:23], null, v[26:27], v[26:27], v[6:7]
	s_delay_alu instid0(VALU_DEP_1) | instskip(NEXT) | instid1(TRANS32_DEP_1)
	v_rcp_f64_e32 v[24:25], v[22:23]
	v_fma_f64 v[28:29], -v[22:23], v[24:25], 1.0
	s_delay_alu instid0(VALU_DEP_1) | instskip(NEXT) | instid1(VALU_DEP_1)
	v_fma_f64 v[24:25], v[24:25], v[28:29], v[24:25]
	v_fma_f64 v[28:29], -v[22:23], v[24:25], 1.0
	s_delay_alu instid0(VALU_DEP_1) | instskip(SKIP_1) | instid1(VALU_DEP_1)
	v_fma_f64 v[24:25], v[24:25], v[28:29], v[24:25]
	v_div_scale_f64 v[28:29], vcc_lo, v[6:7], v[26:27], v[6:7]
	v_mul_f64_e32 v[30:31], v[28:29], v[24:25]
	s_delay_alu instid0(VALU_DEP_1) | instskip(SKIP_1) | instid1(VALU_DEP_1)
	v_fma_f64 v[22:23], -v[22:23], v[30:31], v[28:29]
	s_wait_alu 0xfffd
	v_div_fmas_f64 v[22:23], v[22:23], v[24:25], v[30:31]
	s_delay_alu instid0(VALU_DEP_1)
	v_div_fixup_f64 v[6:7], v[22:23], v[26:27], v[6:7]
	ds_store_b64 v18, v[0:1]
	ds_store_b64 v20, v[8:9]
	;; [unrolled: 1-line block ×4, first 2 shown]
	s_cbranch_scc1 .LBB106_20
; %bb.19:                               ;   in Loop: Header=BB106_16 Depth=2
	s_mov_b32 s19, s37
	s_branch .LBB106_16
.LBB106_20:                             ;   in Loop: Header=BB106_3 Depth=1
	s_wait_alu 0xfffe
	s_cmp_ge_i32 s37, s1
	s_cbranch_scc1 .LBB106_25
; %bb.21:                               ;   in Loop: Header=BB106_3 Depth=1
	s_lshl_b32 s18, s37, 3
	s_branch .LBB106_23
.LBB106_22:                             ;   in Loop: Header=BB106_23 Depth=2
	s_lshl_b32 s38, s37, 3
	s_add_co_i32 s37, s37, 1
	s_wait_alu 0xfffe
	s_add_co_i32 s19, s38, s19
	s_add_co_i32 s18, s18, 8
	s_wait_alu 0xfffe
	v_mov_b32_e32 v3, s19
	s_cmp_ge_i32 s37, s1
	ds_load_b64 v[6:7], v3
	s_wait_dscnt 0x0
	v_div_scale_f64 v[8:9], null, v[6:7], v[6:7], v[0:1]
	s_delay_alu instid0(VALU_DEP_1) | instskip(NEXT) | instid1(TRANS32_DEP_1)
	v_rcp_f64_e32 v[18:19], v[8:9]
	v_fma_f64 v[20:21], -v[8:9], v[18:19], 1.0
	s_delay_alu instid0(VALU_DEP_1) | instskip(NEXT) | instid1(VALU_DEP_1)
	v_fma_f64 v[18:19], v[18:19], v[20:21], v[18:19]
	v_fma_f64 v[20:21], -v[8:9], v[18:19], 1.0
	s_delay_alu instid0(VALU_DEP_1) | instskip(SKIP_1) | instid1(VALU_DEP_1)
	v_fma_f64 v[18:19], v[18:19], v[20:21], v[18:19]
	v_div_scale_f64 v[20:21], vcc_lo, v[0:1], v[6:7], v[0:1]
	v_mul_f64_e32 v[22:23], v[20:21], v[18:19]
	s_delay_alu instid0(VALU_DEP_1) | instskip(SKIP_1) | instid1(VALU_DEP_1)
	v_fma_f64 v[8:9], -v[8:9], v[22:23], v[20:21]
	s_wait_alu 0xfffd
	v_div_fmas_f64 v[8:9], v[8:9], v[18:19], v[22:23]
	s_delay_alu instid0(VALU_DEP_1)
	v_div_fixup_f64 v[0:1], v[8:9], v[6:7], v[0:1]
	ds_store_b64 v2, v[0:1]
	s_cbranch_scc1 .LBB106_25
.LBB106_23:                             ;   Parent Loop BB106_3 Depth=1
                                        ; =>  This Loop Header: Depth=2
                                        ;       Child Loop BB106_24 Depth 3
	s_lshl_b32 s19, s37, 8
	s_cmp_eq_u32 s37, 0
	s_wait_alu 0xfffe
	v_dual_mov_b32 v3, v11 :: v_dual_add_nc_u32 v2, s19, v11
	s_mov_b32 s38, s18
	s_mov_b32 s39, s37
	ds_load_b64 v[0:1], v2
	s_cbranch_scc1 .LBB106_22
.LBB106_24:                             ;   Parent Loop BB106_3 Depth=1
                                        ;     Parent Loop BB106_23 Depth=2
                                        ; =>    This Inner Loop Header: Depth=3
	s_wait_alu 0xfffe
	v_mov_b32_e32 v8, s38
	s_add_co_i32 s39, s39, -1
	s_addk_co_i32 s38, 0x100
	s_wait_alu 0xfffe
	s_cmp_eq_u32 s39, 0
	ds_load_b64 v[6:7], v3
	ds_load_b64 v[8:9], v8
	v_add_nc_u32_e32 v3, 0x100, v3
	s_wait_dscnt 0x0
	v_fma_f64 v[0:1], -v[6:7], v[8:9], v[0:1]
	s_cbranch_scc0 .LBB106_24
	s_branch .LBB106_22
.LBB106_25:                             ;   in Loop: Header=BB106_3 Depth=1
	s_mov_b32 s18, 0
.LBB106_26:                             ;   in Loop: Header=BB106_3 Depth=1
	s_wait_alu 0xfffe
	s_and_b32 vcc_lo, exec_lo, s18
	s_wait_alu 0xfffe
	s_cbranch_vccz .LBB106_45
; %bb.27:                               ;   in Loop: Header=BB106_3 Depth=1
	s_mov_b32 s37, s24
	s_and_not1_b32 vcc_lo, exec_lo, s28
	s_mov_b32 s18, s30
	s_mov_b32 s19, s24
	s_wait_alu 0xfffe
	s_cbranch_vccnz .LBB106_32
.LBB106_28:                             ;   Parent Loop BB106_3 Depth=1
                                        ; =>  This Loop Header: Depth=2
                                        ;       Child Loop BB106_29 Depth 3
	s_wait_alu 0xfffe
	s_add_co_i32 s39, s19, -1
	s_add_co_i32 s40, s19, -3
	v_lshl_add_u32 v18, s19, 8, v11
	s_add_co_i32 s38, s19, -2
	s_wait_alu 0xfffe
	v_lshl_add_u32 v19, s39, 8, v11
	s_lshl_b32 s37, s40, 8
	v_lshl_add_u32 v20, s38, 8, v11
	s_wait_alu 0xfffe
	v_dual_mov_b32 v22, v13 :: v_dual_add_nc_u32 v21, s37, v11
	ds_load_b64 v[8:9], v18
	ds_load_b64 v[6:7], v19
	;; [unrolled: 1-line block ×4, first 2 shown]
	s_cmp_le_i32 s24, s19
	s_mov_b32 s41, s18
	s_mov_b32 s42, s24
	s_cbranch_scc1 .LBB106_30
.LBB106_29:                             ;   Parent Loop BB106_3 Depth=1
                                        ;     Parent Loop BB106_28 Depth=2
                                        ; =>    This Inner Loop Header: Depth=3
	s_wait_alu 0xfffe
	v_mov_b32_e32 v27, s41
	s_add_co_i32 s42, s42, -1
	s_addk_co_i32 s41, 0xff00
	s_wait_alu 0xfffe
	s_cmp_le_i32 s42, s19
	ds_load_b64 v[31:32], v22
	ds_load_2addr_b64 v[23:26], v27 offset0:2 offset1:3
	ds_load_2addr_b64 v[27:30], v27 offset1:1
	v_add_nc_u32_e32 v22, 0xffffff00, v22
	s_wait_dscnt 0x1
	v_fma_f64 v[8:9], -v[31:32], v[25:26], v[8:9]
	v_fma_f64 v[6:7], -v[31:32], v[23:24], v[6:7]
	s_wait_dscnt 0x0
	v_fma_f64 v[2:3], -v[31:32], v[29:30], v[2:3]
	v_fma_f64 v[0:1], -v[31:32], v[27:28], v[0:1]
	s_cbranch_scc0 .LBB106_29
.LBB106_30:                             ;   in Loop: Header=BB106_28 Depth=2
	s_lshl_b32 s41, s19, 3
	s_lshl_b32 s42, s19, 8
	;; [unrolled: 1-line block ×3, first 2 shown]
	s_wait_alu 0xfffe
	s_add_co_i32 s42, s41, s42
	s_sub_co_i32 s18, s18, 32
	s_wait_alu 0xfffe
	s_add_co_i32 s43, s42, -8
	s_sub_co_i32 s42, s42, 24
	s_wait_alu 0xfffe
	v_mov_b32_e32 v22, s43
	s_lshl_b32 s43, s39, 8
	s_lshl_b32 s39, s39, 3
	s_wait_alu 0xfffe
	s_add_co_i32 s43, s41, s43
	ds_load_2addr_b64 v[22:25], v22 offset1:1
	s_wait_alu 0xfffe
	s_add_co_i32 s43, s43, -8
	s_wait_alu 0xfffe
	v_mov_b32_e32 v26, s43
	s_sub_co_i32 s39, s43, s39
	s_wait_alu 0xfffe
	s_add_co_i32 s39, s39, s40
	ds_load_b64 v[26:27], v26
	s_wait_dscnt 0x1
	v_div_scale_f64 v[28:29], null, v[24:25], v[24:25], v[8:9]
	v_div_scale_f64 v[34:35], vcc_lo, v[8:9], v[24:25], v[8:9]
	s_delay_alu instid0(VALU_DEP_2) | instskip(NEXT) | instid1(TRANS32_DEP_1)
	v_rcp_f64_e32 v[30:31], v[28:29]
	v_fma_f64 v[32:33], -v[28:29], v[30:31], 1.0
	s_delay_alu instid0(VALU_DEP_1) | instskip(NEXT) | instid1(VALU_DEP_1)
	v_fma_f64 v[30:31], v[30:31], v[32:33], v[30:31]
	v_fma_f64 v[32:33], -v[28:29], v[30:31], 1.0
	s_delay_alu instid0(VALU_DEP_1) | instskip(NEXT) | instid1(VALU_DEP_1)
	v_fma_f64 v[30:31], v[30:31], v[32:33], v[30:31]
	v_mul_f64_e32 v[32:33], v[34:35], v[30:31]
	s_delay_alu instid0(VALU_DEP_1) | instskip(SKIP_1) | instid1(VALU_DEP_1)
	v_fma_f64 v[28:29], -v[28:29], v[32:33], v[34:35]
	s_wait_alu 0xfffd
	v_div_fmas_f64 v[28:29], v[28:29], v[30:31], v[32:33]
	s_delay_alu instid0(VALU_DEP_1) | instskip(NEXT) | instid1(VALU_DEP_1)
	v_div_fixup_f64 v[28:29], v[28:29], v[24:25], v[8:9]
	v_fma_f64 v[30:31], -v[28:29], v[22:23], v[6:7]
	s_wait_dscnt 0x0
	s_delay_alu instid0(VALU_DEP_1) | instskip(SKIP_1) | instid1(VALU_DEP_2)
	v_div_scale_f64 v[6:7], null, v[26:27], v[26:27], v[30:31]
	v_div_scale_f64 v[24:25], vcc_lo, v[30:31], v[26:27], v[30:31]
	v_rcp_f64_e32 v[8:9], v[6:7]
	s_delay_alu instid0(TRANS32_DEP_1) | instskip(NEXT) | instid1(VALU_DEP_1)
	v_fma_f64 v[22:23], -v[6:7], v[8:9], 1.0
	v_fma_f64 v[8:9], v[8:9], v[22:23], v[8:9]
	s_delay_alu instid0(VALU_DEP_1) | instskip(NEXT) | instid1(VALU_DEP_1)
	v_fma_f64 v[22:23], -v[6:7], v[8:9], 1.0
	v_fma_f64 v[8:9], v[8:9], v[22:23], v[8:9]
	s_delay_alu instid0(VALU_DEP_1) | instskip(NEXT) | instid1(VALU_DEP_1)
	v_mul_f64_e32 v[22:23], v[24:25], v[8:9]
	v_fma_f64 v[6:7], -v[6:7], v[22:23], v[24:25]
	s_wait_alu 0xfffd
	s_delay_alu instid0(VALU_DEP_1)
	v_div_fmas_f64 v[32:33], v[6:7], v[8:9], v[22:23]
	v_mov_b32_e32 v6, s42
	s_wait_alu 0xfffe
	v_mov_b32_e32 v22, s39
	s_lshl_b32 s39, s38, 8
	s_lshl_b32 s38, s38, 3
	s_wait_alu 0xfffe
	s_add_co_i32 s39, s41, s39
	ds_load_2addr_b64 v[6:9], v6 offset1:1
	ds_load_2addr_b64 v[22:25], v22 offset1:1
	s_wait_alu 0xfffe
	s_sub_co_i32 s38, s39, s38
	s_add_co_i32 s41, s41, s37
	s_wait_alu 0xfffe
	s_add_co_i32 s38, s38, s40
	s_sub_co_i32 s37, s41, 24
	s_wait_alu 0xfffe
	s_add_co_i32 s38, s38, -16
	s_wait_dscnt 0x1
	v_fma_f64 v[2:3], -v[28:29], v[8:9], v[2:3]
	v_fma_f64 v[0:1], -v[28:29], v[6:7], v[0:1]
	v_div_fixup_f64 v[8:9], v[32:33], v[26:27], v[30:31]
	v_mov_b32_e32 v30, s37
	s_add_co_i32 s37, s19, -4
	s_cmp_lt_i32 s19, 7
	ds_load_b64 v[30:31], v30
	s_wait_dscnt 0x1
	v_fma_f64 v[2:3], -v[8:9], v[24:25], v[2:3]
	s_wait_alu 0xfffe
	v_mov_b32_e32 v24, s38
	v_fma_f64 v[0:1], -v[8:9], v[22:23], v[0:1]
	ds_load_2addr_b64 v[24:27], v24 offset1:1
	s_wait_dscnt 0x0
	v_div_scale_f64 v[32:33], null, v[26:27], v[26:27], v[2:3]
	v_div_scale_f64 v[38:39], vcc_lo, v[2:3], v[26:27], v[2:3]
	s_delay_alu instid0(VALU_DEP_2) | instskip(NEXT) | instid1(TRANS32_DEP_1)
	v_rcp_f64_e32 v[34:35], v[32:33]
	v_fma_f64 v[36:37], -v[32:33], v[34:35], 1.0
	s_delay_alu instid0(VALU_DEP_1) | instskip(NEXT) | instid1(VALU_DEP_1)
	v_fma_f64 v[34:35], v[34:35], v[36:37], v[34:35]
	v_fma_f64 v[36:37], -v[32:33], v[34:35], 1.0
	s_delay_alu instid0(VALU_DEP_1) | instskip(NEXT) | instid1(VALU_DEP_1)
	v_fma_f64 v[34:35], v[34:35], v[36:37], v[34:35]
	v_mul_f64_e32 v[36:37], v[38:39], v[34:35]
	s_delay_alu instid0(VALU_DEP_1) | instskip(SKIP_1) | instid1(VALU_DEP_1)
	v_fma_f64 v[32:33], -v[32:33], v[36:37], v[38:39]
	s_wait_alu 0xfffd
	v_div_fmas_f64 v[6:7], v[32:33], v[34:35], v[36:37]
	s_delay_alu instid0(VALU_DEP_1) | instskip(NEXT) | instid1(VALU_DEP_1)
	v_div_fixup_f64 v[2:3], v[6:7], v[26:27], v[2:3]
	v_fma_f64 v[0:1], -v[2:3], v[24:25], v[0:1]
	s_delay_alu instid0(VALU_DEP_1) | instskip(NEXT) | instid1(VALU_DEP_1)
	v_div_scale_f64 v[6:7], null, v[30:31], v[30:31], v[0:1]
	v_rcp_f64_e32 v[22:23], v[6:7]
	s_delay_alu instid0(TRANS32_DEP_1) | instskip(NEXT) | instid1(VALU_DEP_1)
	v_fma_f64 v[24:25], -v[6:7], v[22:23], 1.0
	v_fma_f64 v[22:23], v[22:23], v[24:25], v[22:23]
	s_delay_alu instid0(VALU_DEP_1) | instskip(NEXT) | instid1(VALU_DEP_1)
	v_fma_f64 v[24:25], -v[6:7], v[22:23], 1.0
	v_fma_f64 v[22:23], v[22:23], v[24:25], v[22:23]
	v_div_scale_f64 v[24:25], vcc_lo, v[0:1], v[30:31], v[0:1]
	s_delay_alu instid0(VALU_DEP_1) | instskip(NEXT) | instid1(VALU_DEP_1)
	v_mul_f64_e32 v[26:27], v[24:25], v[22:23]
	v_fma_f64 v[6:7], -v[6:7], v[26:27], v[24:25]
	s_wait_alu 0xfffd
	s_delay_alu instid0(VALU_DEP_1) | instskip(NEXT) | instid1(VALU_DEP_1)
	v_div_fmas_f64 v[6:7], v[6:7], v[22:23], v[26:27]
	v_div_fixup_f64 v[0:1], v[6:7], v[30:31], v[0:1]
	ds_store_b64 v18, v[28:29]
	ds_store_b64 v19, v[8:9]
	;; [unrolled: 1-line block ×4, first 2 shown]
	s_cbranch_scc1 .LBB106_32
; %bb.31:                               ;   in Loop: Header=BB106_28 Depth=2
	s_mov_b32 s19, s37
	s_branch .LBB106_28
.LBB106_32:                             ;   in Loop: Header=BB106_3 Depth=1
	s_cmp_lt_i32 s37, 0
	s_cbranch_scc1 .LBB106_45
; %bb.33:                               ;   in Loop: Header=BB106_3 Depth=1
	s_bitcmp1_b32 s37, 0
	s_cselect_b32 s18, -1, 0
	s_wait_alu 0xfffe
	s_and_b32 vcc_lo, exec_lo, s18
	s_mov_b32 s18, s37
	s_wait_alu 0xfffe
	s_cbranch_vccnz .LBB106_38
; %bb.34:                               ;   in Loop: Header=BB106_3 Depth=1
	s_lshl_b32 s18, s37, 8
	s_cmp_le_i32 s24, s37
	s_wait_alu 0xfffe
	v_add_nc_u32_e32 v2, s18, v11
	ds_load_b64 v[0:1], v2
	s_cbranch_scc1 .LBB106_37
; %bb.35:                               ;   in Loop: Header=BB106_3 Depth=1
	v_mov_b32_e32 v3, v13
	s_lshl_b32 s19, s37, 3
	s_mov_b32 s38, s24
	s_wait_alu 0xfffe
	s_add_co_i32 s19, s31, s19
.LBB106_36:                             ;   Parent Loop BB106_3 Depth=1
                                        ; =>  This Inner Loop Header: Depth=2
	s_wait_alu 0xfffe
	v_mov_b32_e32 v8, s19
	s_add_co_i32 s38, s38, -1
	s_addk_co_i32 s19, 0xff00
	s_wait_alu 0xfffe
	s_cmp_gt_i32 s38, s37
	ds_load_b64 v[6:7], v3
	ds_load_b64 v[8:9], v8
	v_add_nc_u32_e32 v3, 0xffffff00, v3
	s_wait_dscnt 0x0
	v_fma_f64 v[0:1], -v[6:7], v[8:9], v[0:1]
	s_cbranch_scc1 .LBB106_36
.LBB106_37:                             ;   in Loop: Header=BB106_3 Depth=1
	s_lshl_b32 s19, s37, 3
	s_wait_alu 0xfffe
	s_add_co_i32 s18, s19, s18
	s_wait_alu 0xfffe
	v_mov_b32_e32 v3, s18
	s_add_co_i32 s18, s37, -1
	ds_load_b64 v[6:7], v3
	s_wait_dscnt 0x0
	v_div_scale_f64 v[8:9], null, v[6:7], v[6:7], v[0:1]
	s_delay_alu instid0(VALU_DEP_1) | instskip(NEXT) | instid1(TRANS32_DEP_1)
	v_rcp_f64_e32 v[18:19], v[8:9]
	v_fma_f64 v[20:21], -v[8:9], v[18:19], 1.0
	s_delay_alu instid0(VALU_DEP_1) | instskip(NEXT) | instid1(VALU_DEP_1)
	v_fma_f64 v[18:19], v[18:19], v[20:21], v[18:19]
	v_fma_f64 v[20:21], -v[8:9], v[18:19], 1.0
	s_delay_alu instid0(VALU_DEP_1) | instskip(SKIP_1) | instid1(VALU_DEP_1)
	v_fma_f64 v[18:19], v[18:19], v[20:21], v[18:19]
	v_div_scale_f64 v[20:21], vcc_lo, v[0:1], v[6:7], v[0:1]
	v_mul_f64_e32 v[22:23], v[20:21], v[18:19]
	s_delay_alu instid0(VALU_DEP_1) | instskip(SKIP_1) | instid1(VALU_DEP_1)
	v_fma_f64 v[8:9], -v[8:9], v[22:23], v[20:21]
	s_wait_alu 0xfffd
	v_div_fmas_f64 v[8:9], v[8:9], v[18:19], v[22:23]
	s_delay_alu instid0(VALU_DEP_1)
	v_div_fixup_f64 v[0:1], v[8:9], v[6:7], v[0:1]
	ds_store_b64 v2, v[0:1]
.LBB106_38:                             ;   in Loop: Header=BB106_3 Depth=1
	s_cmp_eq_u32 s37, 0
	s_cbranch_scc1 .LBB106_45
; %bb.39:                               ;   in Loop: Header=BB106_3 Depth=1
	s_wait_alu 0xfffe
	s_lshl_b32 s37, s18, 3
	s_wait_alu 0xfffe
	s_add_co_i32 s19, s31, s37
	s_add_co_i32 s37, s33, s37
	s_branch .LBB106_41
.LBB106_40:                             ;   in Loop: Header=BB106_41 Depth=2
	s_add_co_i32 s38, s38, s39
	s_add_co_i32 s19, s19, -16
	s_wait_alu 0xfffe
	s_add_co_i32 s38, s38, -8
	s_add_co_i32 s37, s37, -16
	s_wait_alu 0xfffe
	v_mov_b32_e32 v0, s38
	s_add_co_i32 s38, s18, -2
	s_cmp_lt_i32 s18, 2
	s_wait_alu 0xfffe
	s_mov_b32 s18, s38
	ds_load_b64 v[0:1], v0
	s_wait_dscnt 0x0
	v_div_scale_f64 v[8:9], null, v[0:1], v[0:1], v[2:3]
	s_delay_alu instid0(VALU_DEP_1) | instskip(NEXT) | instid1(TRANS32_DEP_1)
	v_rcp_f64_e32 v[18:19], v[8:9]
	v_fma_f64 v[20:21], -v[8:9], v[18:19], 1.0
	s_delay_alu instid0(VALU_DEP_1) | instskip(NEXT) | instid1(VALU_DEP_1)
	v_fma_f64 v[18:19], v[18:19], v[20:21], v[18:19]
	v_fma_f64 v[20:21], -v[8:9], v[18:19], 1.0
	s_delay_alu instid0(VALU_DEP_1) | instskip(SKIP_1) | instid1(VALU_DEP_1)
	v_fma_f64 v[18:19], v[18:19], v[20:21], v[18:19]
	v_div_scale_f64 v[20:21], vcc_lo, v[2:3], v[0:1], v[2:3]
	v_mul_f64_e32 v[22:23], v[20:21], v[18:19]
	s_delay_alu instid0(VALU_DEP_1) | instskip(SKIP_1) | instid1(VALU_DEP_1)
	v_fma_f64 v[8:9], -v[8:9], v[22:23], v[20:21]
	s_wait_alu 0xfffd
	v_div_fmas_f64 v[8:9], v[8:9], v[18:19], v[22:23]
	s_delay_alu instid0(VALU_DEP_1)
	v_div_fixup_f64 v[0:1], v[8:9], v[0:1], v[2:3]
	ds_store_b64 v7, v[0:1]
	s_cbranch_scc1 .LBB106_45
.LBB106_41:                             ;   Parent Loop BB106_3 Depth=1
                                        ; =>  This Loop Header: Depth=2
                                        ;       Child Loop BB106_42 Depth 3
                                        ;       Child Loop BB106_44 Depth 3
	s_wait_alu 0xfffe
	s_lshl_b32 s39, s18, 8
	v_mov_b32_e32 v2, v13
	s_wait_alu 0xfffe
	v_add_nc_u32_e32 v6, s39, v11
	s_cmp_le_i32 s24, s18
	s_mov_b32 s38, s19
	s_mov_b32 s40, s24
	ds_load_b64 v[0:1], v6
	s_cbranch_scc1 .LBB106_43
.LBB106_42:                             ;   Parent Loop BB106_3 Depth=1
                                        ;     Parent Loop BB106_41 Depth=2
                                        ; =>    This Inner Loop Header: Depth=3
	s_wait_alu 0xfffe
	v_mov_b32_e32 v3, s38
	s_add_co_i32 s40, s40, -1
	s_addk_co_i32 s38, 0xff00
	s_wait_alu 0xfffe
	s_cmp_le_i32 s40, s18
	ds_load_b64 v[7:8], v2
	ds_load_b64 v[18:19], v3
	v_add_nc_u32_e32 v2, 0xffffff00, v2
	s_wait_dscnt 0x0
	v_fma_f64 v[0:1], -v[7:8], v[18:19], v[0:1]
	s_cbranch_scc0 .LBB106_42
.LBB106_43:                             ;   in Loop: Header=BB106_41 Depth=2
	s_lshl_b32 s38, s18, 3
	s_mov_b32 s41, s1
	s_wait_alu 0xfffe
	s_add_co_i32 s40, s38, s39
	s_addk_co_i32 s39, 0xff00
	s_wait_alu 0xfffe
	v_dual_mov_b32 v2, s40 :: v_dual_add_nc_u32 v7, s39, v11
	s_cmp_le_i32 s1, s18
	s_mov_b32 s40, s37
	ds_load_b64 v[8:9], v2
	ds_load_b64 v[2:3], v7
	s_wait_dscnt 0x1
	v_div_scale_f64 v[18:19], null, v[8:9], v[8:9], v[0:1]
	s_delay_alu instid0(VALU_DEP_1) | instskip(NEXT) | instid1(TRANS32_DEP_1)
	v_rcp_f64_e32 v[20:21], v[18:19]
	v_fma_f64 v[22:23], -v[18:19], v[20:21], 1.0
	s_delay_alu instid0(VALU_DEP_1) | instskip(NEXT) | instid1(VALU_DEP_1)
	v_fma_f64 v[20:21], v[20:21], v[22:23], v[20:21]
	v_fma_f64 v[22:23], -v[18:19], v[20:21], 1.0
	s_delay_alu instid0(VALU_DEP_1) | instskip(SKIP_1) | instid1(VALU_DEP_1)
	v_fma_f64 v[20:21], v[20:21], v[22:23], v[20:21]
	v_div_scale_f64 v[22:23], vcc_lo, v[0:1], v[8:9], v[0:1]
	v_mul_f64_e32 v[24:25], v[22:23], v[20:21]
	s_delay_alu instid0(VALU_DEP_1) | instskip(SKIP_1) | instid1(VALU_DEP_1)
	v_fma_f64 v[18:19], -v[18:19], v[24:25], v[22:23]
	s_wait_alu 0xfffd
	v_div_fmas_f64 v[18:19], v[18:19], v[20:21], v[24:25]
	s_delay_alu instid0(VALU_DEP_1)
	v_div_fixup_f64 v[8:9], v[18:19], v[8:9], v[0:1]
	v_mov_b32_e32 v0, v13
	ds_store_b64 v6, v[8:9]
	s_cbranch_scc1 .LBB106_40
.LBB106_44:                             ;   Parent Loop BB106_3 Depth=1
                                        ;     Parent Loop BB106_41 Depth=2
                                        ; =>    This Inner Loop Header: Depth=3
	s_wait_alu 0xfffe
	v_mov_b32_e32 v1, s40
	s_add_co_i32 s41, s41, -1
	s_addk_co_i32 s40, 0xff00
	s_wait_alu 0xfffe
	s_cmp_gt_i32 s41, s18
	ds_load_b64 v[8:9], v0
	ds_load_b64 v[18:19], v1
	v_add_nc_u32_e32 v0, 0xffffff00, v0
	s_wait_dscnt 0x0
	v_fma_f64 v[2:3], -v[8:9], v[18:19], v[2:3]
	s_cbranch_scc1 .LBB106_44
	s_branch .LBB106_40
.LBB106_45:                             ;   in Loop: Header=BB106_3 Depth=1
	s_mov_b32 s18, 0
.LBB106_46:                             ;   in Loop: Header=BB106_3 Depth=1
	s_wait_alu 0xfffe
	s_and_not1_b32 vcc_lo, exec_lo, s18
	s_wait_alu 0xfffe
	s_cbranch_vccnz .LBB106_66
; %bb.47:                               ;   in Loop: Header=BB106_3 Depth=1
	s_mov_b32 s37, s24
	s_and_not1_b32 vcc_lo, exec_lo, s28
	s_mov_b32 s18, s34
	s_mov_b32 s19, s24
	s_wait_alu 0xfffe
	s_cbranch_vccnz .LBB106_53
.LBB106_48:                             ;   Parent Loop BB106_3 Depth=1
                                        ; =>  This Loop Header: Depth=2
                                        ;       Child Loop BB106_49 Depth 3
	s_wait_alu 0xfffe
	s_add_co_i32 s39, s19, -1
	v_lshl_add_u32 v18, s19, 8, v11
	s_add_co_i32 s38, s19, -2
	s_wait_alu 0xfffe
	v_lshl_add_u32 v19, s39, 8, v11
	s_add_co_i32 s37, s19, -3
	v_lshl_add_u32 v20, s38, 8, v11
	s_wait_alu 0xfffe
	v_lshl_add_u32 v21, s37, 8, v11
	ds_load_b64 v[8:9], v18
	ds_load_b64 v[6:7], v19
	ds_load_b64 v[2:3], v20
	ds_load_b64 v[0:1], v21
	v_mov_b32_e32 v22, v13
	s_cmp_le_i32 s24, s19
	s_mov_b32 s40, s18
	s_mov_b32 s41, s24
	s_cbranch_scc1 .LBB106_50
.LBB106_49:                             ;   Parent Loop BB106_3 Depth=1
                                        ;     Parent Loop BB106_48 Depth=2
                                        ; =>    This Inner Loop Header: Depth=3
	s_wait_alu 0xfffe
	v_mov_b32_e32 v27, s40
	s_add_co_i32 s41, s41, -1
	s_add_co_i32 s40, s40, -8
	s_wait_alu 0xfffe
	s_cmp_le_i32 s41, s19
	ds_load_b64 v[31:32], v22
	ds_load_2addr_b64 v[23:26], v27 offset0:64 offset1:96
	ds_load_2addr_b64 v[27:30], v27 offset1:32
	v_add_nc_u32_e32 v22, 0xffffff00, v22
	s_wait_dscnt 0x1
	v_fma_f64 v[8:9], -v[31:32], v[25:26], v[8:9]
	v_fma_f64 v[6:7], -v[31:32], v[23:24], v[6:7]
	s_wait_dscnt 0x0
	v_fma_f64 v[2:3], -v[31:32], v[29:30], v[2:3]
	v_fma_f64 v[0:1], -v[31:32], v[27:28], v[0:1]
	s_cbranch_scc0 .LBB106_49
.LBB106_50:                             ;   in Loop: Header=BB106_48 Depth=2
	s_lshl_b32 s42, s39, 5
	s_lshl_b32 s41, s38, 5
	;; [unrolled: 1-line block ×3, first 2 shown]
; %bb.51:                               ;   in Loop: Header=BB106_48 Depth=2
	s_mul_i32 s43, s19, 0x108
	s_wait_alu 0xfffe
	s_lshl_b32 s42, s42, 3
	v_mov_b32_e32 v22, s43
	s_lshl_b32 s39, s39, 3
	s_lshl_b32 s38, s38, 3
	s_wait_alu 0xfffe
	s_add_co_i32 s39, s42, s39
	s_lshl_b32 s37, s37, 3
	ds_load_b64 v[26:27], v22
	s_wait_alu 0xfffe
	v_mov_b32_e32 v22, s39
	s_lshl_b32 s39, s41, 3
	s_lshl_b32 s41, s19, 3
	s_wait_alu 0xfffe
	s_add_co_i32 s38, s39, s38
	s_add_co_i32 s42, s39, s41
	ds_load_2addr_b64 v[22:25], v22 offset1:1
	s_addk_co_i32 s18, 0xfc00
	s_wait_dscnt 0x1
	v_div_scale_f64 v[28:29], null, v[26:27], v[26:27], v[8:9]
	v_div_scale_f64 v[34:35], vcc_lo, v[8:9], v[26:27], v[8:9]
	s_delay_alu instid0(VALU_DEP_2) | instskip(NEXT) | instid1(TRANS32_DEP_1)
	v_rcp_f64_e32 v[30:31], v[28:29]
	v_fma_f64 v[32:33], -v[28:29], v[30:31], 1.0
	s_delay_alu instid0(VALU_DEP_1) | instskip(NEXT) | instid1(VALU_DEP_1)
	v_fma_f64 v[30:31], v[30:31], v[32:33], v[30:31]
	v_fma_f64 v[32:33], -v[28:29], v[30:31], 1.0
	s_delay_alu instid0(VALU_DEP_1) | instskip(NEXT) | instid1(VALU_DEP_1)
	v_fma_f64 v[30:31], v[30:31], v[32:33], v[30:31]
	v_mul_f64_e32 v[32:33], v[34:35], v[30:31]
	s_delay_alu instid0(VALU_DEP_1) | instskip(SKIP_1) | instid1(VALU_DEP_1)
	v_fma_f64 v[28:29], -v[28:29], v[32:33], v[34:35]
	s_wait_alu 0xfffd
	v_div_fmas_f64 v[28:29], v[28:29], v[30:31], v[32:33]
	s_delay_alu instid0(VALU_DEP_1) | instskip(SKIP_1) | instid1(VALU_DEP_1)
	v_div_fixup_f64 v[30:31], v[28:29], v[26:27], v[8:9]
	s_wait_dscnt 0x0
	v_fma_f64 v[24:25], -v[30:31], v[24:25], v[6:7]
	s_delay_alu instid0(VALU_DEP_1) | instskip(SKIP_1) | instid1(VALU_DEP_2)
	v_div_scale_f64 v[6:7], null, v[22:23], v[22:23], v[24:25]
	v_div_scale_f64 v[28:29], vcc_lo, v[24:25], v[22:23], v[24:25]
	v_rcp_f64_e32 v[8:9], v[6:7]
	s_delay_alu instid0(TRANS32_DEP_1) | instskip(NEXT) | instid1(VALU_DEP_1)
	v_fma_f64 v[26:27], -v[6:7], v[8:9], 1.0
	v_fma_f64 v[8:9], v[8:9], v[26:27], v[8:9]
	s_delay_alu instid0(VALU_DEP_1) | instskip(NEXT) | instid1(VALU_DEP_1)
	v_fma_f64 v[26:27], -v[6:7], v[8:9], 1.0
	v_fma_f64 v[8:9], v[8:9], v[26:27], v[8:9]
	s_delay_alu instid0(VALU_DEP_1) | instskip(NEXT) | instid1(VALU_DEP_1)
	v_mul_f64_e32 v[26:27], v[28:29], v[8:9]
	v_fma_f64 v[6:7], -v[6:7], v[26:27], v[28:29]
	s_wait_alu 0xfffd
	s_delay_alu instid0(VALU_DEP_1)
	v_div_fmas_f64 v[26:27], v[6:7], v[8:9], v[26:27]
	s_wait_alu 0xfffe
	v_mov_b32_e32 v6, s42
	ds_load_b64 v[28:29], v6
	v_mov_b32_e32 v6, s38
	s_lshl_b32 s38, s40, 3
	s_wait_alu 0xfffe
	s_add_co_i32 s39, s38, s41
	s_add_co_i32 s37, s38, s37
	ds_load_2addr_b64 v[6:9], v6 offset1:1
	s_wait_alu 0xfffe
	s_add_co_i32 s39, s39, -8
	s_wait_dscnt 0x1
	v_fma_f64 v[2:3], -v[30:31], v[28:29], v[2:3]
	v_div_fixup_f64 v[32:33], v[26:27], v[22:23], v[24:25]
	s_wait_dscnt 0x0
	s_delay_alu instid0(VALU_DEP_1) | instskip(NEXT) | instid1(VALU_DEP_1)
	v_fma_f64 v[2:3], -v[32:33], v[8:9], v[2:3]
	v_div_scale_f64 v[8:9], null, v[6:7], v[6:7], v[2:3]
	v_div_scale_f64 v[26:27], vcc_lo, v[2:3], v[6:7], v[2:3]
	s_delay_alu instid0(VALU_DEP_2) | instskip(NEXT) | instid1(TRANS32_DEP_1)
	v_rcp_f64_e32 v[22:23], v[8:9]
	v_fma_f64 v[24:25], -v[8:9], v[22:23], 1.0
	s_delay_alu instid0(VALU_DEP_1) | instskip(NEXT) | instid1(VALU_DEP_1)
	v_fma_f64 v[22:23], v[22:23], v[24:25], v[22:23]
	v_fma_f64 v[24:25], -v[8:9], v[22:23], 1.0
	s_delay_alu instid0(VALU_DEP_1) | instskip(SKIP_4) | instid1(VALU_DEP_1)
	v_fma_f64 v[34:35], v[22:23], v[24:25], v[22:23]
	s_wait_alu 0xfffe
	v_mov_b32_e32 v22, s39
	ds_load_2addr_b64 v[22:25], v22 offset1:1
	v_mul_f64_e32 v[36:37], v[26:27], v[34:35]
	v_fma_f64 v[8:9], -v[8:9], v[36:37], v[26:27]
	v_mov_b32_e32 v26, s37
	s_add_co_i32 s37, s19, -4
	s_cmp_lt_i32 s19, 7
	ds_load_2addr_b64 v[26:29], v26 offset1:1
	s_wait_dscnt 0x1
	v_fma_f64 v[0:1], -v[30:31], v[24:25], v[0:1]
	s_wait_alu 0xfffd
	v_div_fmas_f64 v[8:9], v[8:9], v[34:35], v[36:37]
	s_delay_alu instid0(VALU_DEP_2) | instskip(NEXT) | instid1(VALU_DEP_2)
	v_fma_f64 v[0:1], -v[32:33], v[22:23], v[0:1]
	v_div_fixup_f64 v[2:3], v[8:9], v[6:7], v[2:3]
	s_wait_dscnt 0x0
	s_delay_alu instid0(VALU_DEP_1) | instskip(NEXT) | instid1(VALU_DEP_1)
	v_fma_f64 v[0:1], -v[2:3], v[28:29], v[0:1]
	v_div_scale_f64 v[6:7], null, v[26:27], v[26:27], v[0:1]
	s_delay_alu instid0(VALU_DEP_1) | instskip(NEXT) | instid1(TRANS32_DEP_1)
	v_rcp_f64_e32 v[8:9], v[6:7]
	v_fma_f64 v[22:23], -v[6:7], v[8:9], 1.0
	s_delay_alu instid0(VALU_DEP_1) | instskip(NEXT) | instid1(VALU_DEP_1)
	v_fma_f64 v[8:9], v[8:9], v[22:23], v[8:9]
	v_fma_f64 v[22:23], -v[6:7], v[8:9], 1.0
	s_delay_alu instid0(VALU_DEP_1) | instskip(SKIP_1) | instid1(VALU_DEP_1)
	v_fma_f64 v[8:9], v[8:9], v[22:23], v[8:9]
	v_div_scale_f64 v[22:23], vcc_lo, v[0:1], v[26:27], v[0:1]
	v_mul_f64_e32 v[24:25], v[22:23], v[8:9]
	s_delay_alu instid0(VALU_DEP_1) | instskip(SKIP_1) | instid1(VALU_DEP_1)
	v_fma_f64 v[6:7], -v[6:7], v[24:25], v[22:23]
	s_wait_alu 0xfffd
	v_div_fmas_f64 v[6:7], v[6:7], v[8:9], v[24:25]
	s_delay_alu instid0(VALU_DEP_1)
	v_div_fixup_f64 v[0:1], v[6:7], v[26:27], v[0:1]
	ds_store_b64 v18, v[30:31]
	ds_store_b64 v19, v[32:33]
	;; [unrolled: 1-line block ×4, first 2 shown]
	s_cbranch_scc1 .LBB106_53
; %bb.52:                               ;   in Loop: Header=BB106_48 Depth=2
	s_wait_alu 0xfffe
	s_mov_b32 s19, s37
	s_branch .LBB106_48
.LBB106_53:                             ;   in Loop: Header=BB106_3 Depth=1
	s_wait_alu 0xfffe
	s_cmp_lt_i32 s37, 0
	s_cbranch_scc1 .LBB106_66
; %bb.54:                               ;   in Loop: Header=BB106_3 Depth=1
	s_bitcmp1_b32 s37, 0
	s_cselect_b32 s18, -1, 0
	s_wait_alu 0xfffe
	s_and_b32 vcc_lo, exec_lo, s18
	s_mov_b32 s18, s37
	s_wait_alu 0xfffe
	s_cbranch_vccnz .LBB106_59
; %bb.55:                               ;   in Loop: Header=BB106_3 Depth=1
	v_lshl_add_u32 v2, s37, 8, v11
	s_cmp_le_i32 s24, s37
	ds_load_b64 v[0:1], v2
	s_cbranch_scc1 .LBB106_58
; %bb.56:                               ;   in Loop: Header=BB106_3 Depth=1
	v_mov_b32_e32 v3, v13
	s_lshl_b32 s18, s37, 8
	s_mov_b32 s19, s24
	s_wait_alu 0xfffe
	s_add_co_i32 s18, s35, s18
.LBB106_57:                             ;   Parent Loop BB106_3 Depth=1
                                        ; =>  This Inner Loop Header: Depth=2
	s_wait_alu 0xfffe
	v_mov_b32_e32 v8, s18
	s_add_co_i32 s19, s19, -1
	s_add_co_i32 s18, s18, -8
	s_wait_alu 0xfffe
	s_cmp_gt_u32 s19, s37
	ds_load_b64 v[6:7], v3
	ds_load_b64 v[8:9], v8
	v_add_nc_u32_e32 v3, 0xffffff00, v3
	s_wait_dscnt 0x0
	v_fma_f64 v[0:1], -v[6:7], v[8:9], v[0:1]
	s_cbranch_scc1 .LBB106_57
.LBB106_58:                             ;   in Loop: Header=BB106_3 Depth=1
	s_mul_i32 s18, s37, 0x108
	s_wait_alu 0xfffe
	v_mov_b32_e32 v3, s18
	s_add_co_i32 s18, s37, -1
	ds_load_b64 v[6:7], v3
	s_wait_dscnt 0x0
	v_div_scale_f64 v[8:9], null, v[6:7], v[6:7], v[0:1]
	s_delay_alu instid0(VALU_DEP_1) | instskip(NEXT) | instid1(TRANS32_DEP_1)
	v_rcp_f64_e32 v[18:19], v[8:9]
	v_fma_f64 v[20:21], -v[8:9], v[18:19], 1.0
	s_delay_alu instid0(VALU_DEP_1) | instskip(NEXT) | instid1(VALU_DEP_1)
	v_fma_f64 v[18:19], v[18:19], v[20:21], v[18:19]
	v_fma_f64 v[20:21], -v[8:9], v[18:19], 1.0
	s_delay_alu instid0(VALU_DEP_1) | instskip(SKIP_1) | instid1(VALU_DEP_1)
	v_fma_f64 v[18:19], v[18:19], v[20:21], v[18:19]
	v_div_scale_f64 v[20:21], vcc_lo, v[0:1], v[6:7], v[0:1]
	v_mul_f64_e32 v[22:23], v[20:21], v[18:19]
	s_delay_alu instid0(VALU_DEP_1) | instskip(SKIP_1) | instid1(VALU_DEP_1)
	v_fma_f64 v[8:9], -v[8:9], v[22:23], v[20:21]
	s_wait_alu 0xfffd
	v_div_fmas_f64 v[8:9], v[8:9], v[18:19], v[22:23]
	s_delay_alu instid0(VALU_DEP_1)
	v_div_fixup_f64 v[0:1], v[8:9], v[6:7], v[0:1]
	ds_store_b64 v2, v[0:1]
.LBB106_59:                             ;   in Loop: Header=BB106_3 Depth=1
	s_cmp_eq_u32 s37, 0
	s_cbranch_scc1 .LBB106_66
; %bb.60:                               ;   in Loop: Header=BB106_3 Depth=1
	s_wait_alu 0xfffe
	s_lshl_b32 s37, s18, 8
	s_wait_alu 0xfffe
	s_add_co_i32 s19, s35, s37
	s_add_co_i32 s37, s36, s37
	s_branch .LBB106_62
.LBB106_61:                             ;   in Loop: Header=BB106_62 Depth=2
	s_addk_co_i32 s39, 0xfef8
	s_add_co_i32 s18, s18, -2
	s_wait_alu 0xfffe
	v_mov_b32_e32 v0, s39
	s_addk_co_i32 s19, 0xfe00
	s_addk_co_i32 s37, 0xfe00
	s_cmp_eq_u32 s38, 0
	ds_load_b64 v[0:1], v0
	s_wait_dscnt 0x0
	v_div_scale_f64 v[8:9], null, v[0:1], v[0:1], v[2:3]
	s_delay_alu instid0(VALU_DEP_1) | instskip(NEXT) | instid1(TRANS32_DEP_1)
	v_rcp_f64_e32 v[18:19], v[8:9]
	v_fma_f64 v[20:21], -v[8:9], v[18:19], 1.0
	s_delay_alu instid0(VALU_DEP_1) | instskip(NEXT) | instid1(VALU_DEP_1)
	v_fma_f64 v[18:19], v[18:19], v[20:21], v[18:19]
	v_fma_f64 v[20:21], -v[8:9], v[18:19], 1.0
	s_delay_alu instid0(VALU_DEP_1) | instskip(SKIP_1) | instid1(VALU_DEP_1)
	v_fma_f64 v[18:19], v[18:19], v[20:21], v[18:19]
	v_div_scale_f64 v[20:21], vcc_lo, v[2:3], v[0:1], v[2:3]
	v_mul_f64_e32 v[22:23], v[20:21], v[18:19]
	s_delay_alu instid0(VALU_DEP_1) | instskip(SKIP_1) | instid1(VALU_DEP_1)
	v_fma_f64 v[8:9], -v[8:9], v[22:23], v[20:21]
	s_wait_alu 0xfffd
	v_div_fmas_f64 v[8:9], v[8:9], v[18:19], v[22:23]
	s_delay_alu instid0(VALU_DEP_1)
	v_div_fixup_f64 v[0:1], v[8:9], v[0:1], v[2:3]
	ds_store_b64 v7, v[0:1]
	s_cbranch_scc1 .LBB106_66
.LBB106_62:                             ;   Parent Loop BB106_3 Depth=1
                                        ; =>  This Loop Header: Depth=2
                                        ;       Child Loop BB106_63 Depth 3
                                        ;       Child Loop BB106_65 Depth 3
	v_lshl_add_u32 v6, s18, 8, v11
	v_mov_b32_e32 v2, v13
	s_cmp_le_i32 s24, s18
	s_wait_alu 0xfffe
	s_mov_b32 s38, s19
	s_mov_b32 s39, s24
	ds_load_b64 v[0:1], v6
	s_cbranch_scc1 .LBB106_64
.LBB106_63:                             ;   Parent Loop BB106_3 Depth=1
                                        ;     Parent Loop BB106_62 Depth=2
                                        ; =>    This Inner Loop Header: Depth=3
	s_wait_alu 0xfffe
	v_mov_b32_e32 v3, s38
	s_add_co_i32 s39, s39, -1
	s_add_co_i32 s38, s38, -8
	s_wait_alu 0xfffe
	s_cmp_le_u32 s39, s18
	ds_load_b64 v[7:8], v2
	ds_load_b64 v[18:19], v3
	v_add_nc_u32_e32 v2, 0xffffff00, v2
	s_wait_dscnt 0x0
	v_fma_f64 v[0:1], -v[7:8], v[18:19], v[0:1]
	s_cbranch_scc0 .LBB106_63
.LBB106_64:                             ;   in Loop: Header=BB106_62 Depth=2
	s_mul_i32 s39, s18, 0x108
	s_add_co_i32 s38, s18, -1
	s_wait_alu 0xfffe
	v_mov_b32_e32 v2, s39
	v_lshl_add_u32 v7, s38, 8, v11
	s_cmp_le_i32 s1, s18
	s_mov_b32 s40, s37
	s_mov_b32 s41, s24
	ds_load_b64 v[8:9], v2
	ds_load_b64 v[2:3], v7
	s_wait_dscnt 0x1
	v_div_scale_f64 v[18:19], null, v[8:9], v[8:9], v[0:1]
	s_delay_alu instid0(VALU_DEP_1) | instskip(NEXT) | instid1(TRANS32_DEP_1)
	v_rcp_f64_e32 v[20:21], v[18:19]
	v_fma_f64 v[22:23], -v[18:19], v[20:21], 1.0
	s_delay_alu instid0(VALU_DEP_1) | instskip(NEXT) | instid1(VALU_DEP_1)
	v_fma_f64 v[20:21], v[20:21], v[22:23], v[20:21]
	v_fma_f64 v[22:23], -v[18:19], v[20:21], 1.0
	s_delay_alu instid0(VALU_DEP_1) | instskip(SKIP_1) | instid1(VALU_DEP_1)
	v_fma_f64 v[20:21], v[20:21], v[22:23], v[20:21]
	v_div_scale_f64 v[22:23], vcc_lo, v[0:1], v[8:9], v[0:1]
	v_mul_f64_e32 v[24:25], v[22:23], v[20:21]
	s_delay_alu instid0(VALU_DEP_1) | instskip(SKIP_1) | instid1(VALU_DEP_1)
	v_fma_f64 v[18:19], -v[18:19], v[24:25], v[22:23]
	s_wait_alu 0xfffd
	v_div_fmas_f64 v[18:19], v[18:19], v[20:21], v[24:25]
	s_delay_alu instid0(VALU_DEP_1)
	v_div_fixup_f64 v[8:9], v[18:19], v[8:9], v[0:1]
	v_mov_b32_e32 v0, v13
	ds_store_b64 v6, v[8:9]
	s_cbranch_scc1 .LBB106_61
.LBB106_65:                             ;   Parent Loop BB106_3 Depth=1
                                        ;     Parent Loop BB106_62 Depth=2
                                        ; =>    This Inner Loop Header: Depth=3
	s_wait_alu 0xfffe
	v_mov_b32_e32 v1, s40
	s_add_co_i32 s41, s41, -1
	s_add_co_i32 s40, s40, -8
	s_wait_alu 0xfffe
	s_cmp_gt_u32 s41, s38
	ds_load_b64 v[8:9], v0
	ds_load_b64 v[18:19], v1
	v_add_nc_u32_e32 v0, 0xffffff00, v0
	s_wait_dscnt 0x0
	v_fma_f64 v[2:3], -v[8:9], v[18:19], v[2:3]
	s_cbranch_scc1 .LBB106_65
	s_branch .LBB106_61
.LBB106_66:                             ;   in Loop: Header=BB106_3 Depth=1
	s_mov_b32 s18, 0
.LBB106_67:                             ;   in Loop: Header=BB106_3 Depth=1
	s_wait_alu 0xfffe
	s_and_not1_b32 vcc_lo, exec_lo, s18
	s_wait_alu 0xfffe
	s_cbranch_vccnz .LBB106_79
; %bb.68:                               ;   in Loop: Header=BB106_3 Depth=1
	s_and_not1_b32 vcc_lo, exec_lo, s28
	s_mov_b32 s37, 0
	s_wait_alu 0xfffe
	s_cbranch_vccnz .LBB106_74
; %bb.69:                               ;   in Loop: Header=BB106_3 Depth=1
	s_mov_b32 s18, 0
	s_mov_b32 s19, 0
.LBB106_70:                             ;   Parent Loop BB106_3 Depth=1
                                        ; =>  This Loop Header: Depth=2
                                        ;       Child Loop BB106_71 Depth 3
	s_wait_alu 0xfffe
	s_or_b32 s39, s19, 1
	v_lshl_add_u32 v18, s19, 8, v11
	s_or_b32 s37, s19, 2
	s_or_b32 s38, s19, 3
	s_wait_alu 0xfffe
	v_lshl_add_u32 v19, s39, 8, v11
	v_lshl_add_u32 v20, s37, 8, v11
	;; [unrolled: 1-line block ×3, first 2 shown]
	ds_load_b64 v[8:9], v18
	ds_load_b64 v[6:7], v19
	;; [unrolled: 1-line block ×4, first 2 shown]
	v_mov_b32_e32 v22, v11
	s_cmp_eq_u32 s19, 0
	s_mov_b32 s40, s18
	s_mov_b32 s41, s19
	s_cbranch_scc1 .LBB106_72
.LBB106_71:                             ;   Parent Loop BB106_3 Depth=1
                                        ;     Parent Loop BB106_70 Depth=2
                                        ; =>    This Inner Loop Header: Depth=3
	s_wait_alu 0xfffe
	v_mov_b32_e32 v27, s40
	s_add_co_i32 s41, s41, -1
	s_add_co_i32 s40, s40, 8
	s_wait_alu 0xfffe
	s_cmp_eq_u32 s41, 0
	ds_load_b64 v[31:32], v22
	ds_load_2addr_b64 v[23:26], v27 offset1:32
	ds_load_2addr_b64 v[27:30], v27 offset0:64 offset1:96
	v_add_nc_u32_e32 v22, 0x100, v22
	s_wait_dscnt 0x1
	v_fma_f64 v[8:9], -v[31:32], v[23:24], v[8:9]
	v_fma_f64 v[6:7], -v[31:32], v[25:26], v[6:7]
	s_wait_dscnt 0x0
	v_fma_f64 v[2:3], -v[31:32], v[27:28], v[2:3]
	v_fma_f64 v[0:1], -v[31:32], v[29:30], v[0:1]
	s_cbranch_scc0 .LBB106_71
.LBB106_72:                             ;   in Loop: Header=BB106_70 Depth=2
	s_mul_i32 s41, s19, 0x108
	s_lshl_b32 s40, s39, 5
	s_wait_alu 0xfffe
	v_mov_b32_e32 v22, s41
	s_lshl_b32 s40, s40, 3
	s_lshl_b32 s41, s19, 3
	s_lshl_b32 s39, s37, 5
	s_wait_alu 0xfffe
	s_add_co_i32 s40, s40, s41
	ds_load_b64 v[26:27], v22
	s_wait_alu 0xfffe
	v_mov_b32_e32 v22, s40
	s_lshl_b32 s39, s39, 3
	s_lshl_b32 s37, s37, 3
	s_wait_alu 0xfffe
	s_add_co_i32 s40, s39, s41
	s_add_co_i32 s37, s39, s37
	ds_load_b128 v[22:25], v22
	s_lshl_b32 s38, s38, 5
	s_addk_co_i32 s18, 0x400
	s_wait_dscnt 0x1
	v_div_scale_f64 v[28:29], null, v[26:27], v[26:27], v[8:9]
	v_div_scale_f64 v[34:35], vcc_lo, v[8:9], v[26:27], v[8:9]
	s_delay_alu instid0(VALU_DEP_2) | instskip(NEXT) | instid1(TRANS32_DEP_1)
	v_rcp_f64_e32 v[30:31], v[28:29]
	v_fma_f64 v[32:33], -v[28:29], v[30:31], 1.0
	s_delay_alu instid0(VALU_DEP_1) | instskip(NEXT) | instid1(VALU_DEP_1)
	v_fma_f64 v[30:31], v[30:31], v[32:33], v[30:31]
	v_fma_f64 v[32:33], -v[28:29], v[30:31], 1.0
	s_delay_alu instid0(VALU_DEP_1) | instskip(NEXT) | instid1(VALU_DEP_1)
	v_fma_f64 v[30:31], v[30:31], v[32:33], v[30:31]
	v_mul_f64_e32 v[32:33], v[34:35], v[30:31]
	s_delay_alu instid0(VALU_DEP_1) | instskip(SKIP_1) | instid1(VALU_DEP_1)
	v_fma_f64 v[28:29], -v[28:29], v[32:33], v[34:35]
	s_wait_alu 0xfffd
	v_div_fmas_f64 v[28:29], v[28:29], v[30:31], v[32:33]
	s_delay_alu instid0(VALU_DEP_1) | instskip(SKIP_1) | instid1(VALU_DEP_1)
	v_div_fixup_f64 v[26:27], v[28:29], v[26:27], v[8:9]
	s_wait_dscnt 0x0
	v_fma_f64 v[22:23], -v[26:27], v[22:23], v[6:7]
	s_delay_alu instid0(VALU_DEP_1) | instskip(SKIP_1) | instid1(VALU_DEP_2)
	v_div_scale_f64 v[6:7], null, v[24:25], v[24:25], v[22:23]
	v_div_scale_f64 v[30:31], vcc_lo, v[22:23], v[24:25], v[22:23]
	v_rcp_f64_e32 v[8:9], v[6:7]
	s_delay_alu instid0(TRANS32_DEP_1) | instskip(NEXT) | instid1(VALU_DEP_1)
	v_fma_f64 v[28:29], -v[6:7], v[8:9], 1.0
	v_fma_f64 v[8:9], v[8:9], v[28:29], v[8:9]
	s_delay_alu instid0(VALU_DEP_1) | instskip(NEXT) | instid1(VALU_DEP_1)
	v_fma_f64 v[28:29], -v[6:7], v[8:9], 1.0
	v_fma_f64 v[8:9], v[8:9], v[28:29], v[8:9]
	s_delay_alu instid0(VALU_DEP_1) | instskip(NEXT) | instid1(VALU_DEP_1)
	v_mul_f64_e32 v[28:29], v[30:31], v[8:9]
	v_fma_f64 v[6:7], -v[6:7], v[28:29], v[30:31]
	s_wait_alu 0xfffe
	v_mov_b32_e32 v30, s37
	s_lshl_b32 s37, s38, 3
	s_wait_alu 0xfffe
	s_add_co_i32 s37, s37, s41
	ds_load_b64 v[30:31], v30
	s_wait_alu 0xfffd
	v_div_fmas_f64 v[28:29], v[6:7], v[8:9], v[28:29]
	v_mov_b32_e32 v6, s40
	ds_load_b128 v[6:9], v6
	s_wait_dscnt 0x0
	v_fma_f64 v[2:3], -v[26:27], v[6:7], v[2:3]
	v_div_fixup_f64 v[28:29], v[28:29], v[24:25], v[22:23]
	s_delay_alu instid0(VALU_DEP_1) | instskip(NEXT) | instid1(VALU_DEP_1)
	v_fma_f64 v[2:3], -v[28:29], v[8:9], v[2:3]
	v_div_scale_f64 v[6:7], null, v[30:31], v[30:31], v[2:3]
	v_div_scale_f64 v[24:25], vcc_lo, v[2:3], v[30:31], v[2:3]
	s_delay_alu instid0(VALU_DEP_2) | instskip(NEXT) | instid1(TRANS32_DEP_1)
	v_rcp_f64_e32 v[8:9], v[6:7]
	v_fma_f64 v[22:23], -v[6:7], v[8:9], 1.0
	s_delay_alu instid0(VALU_DEP_1) | instskip(NEXT) | instid1(VALU_DEP_1)
	v_fma_f64 v[8:9], v[8:9], v[22:23], v[8:9]
	v_fma_f64 v[22:23], -v[6:7], v[8:9], 1.0
	s_delay_alu instid0(VALU_DEP_1)
	v_fma_f64 v[32:33], v[8:9], v[22:23], v[8:9]
	s_wait_alu 0xfffe
	v_mov_b32_e32 v22, s37
	s_add_co_i32 s37, s19, 4
	s_add_co_i32 s19, s19, 7
	s_wait_alu 0xfffe
	s_cmp_ge_i32 s19, s1
	s_delay_alu instid0(VALU_DEP_2) | instskip(NEXT) | instid1(VALU_DEP_1)
	v_mul_f64_e32 v[34:35], v[24:25], v[32:33]
	v_fma_f64 v[36:37], -v[6:7], v[34:35], v[24:25]
	ds_load_b128 v[6:9], v22
	ds_load_b128 v[22:25], v22 offset:16
	s_wait_dscnt 0x1
	v_fma_f64 v[0:1], -v[26:27], v[6:7], v[0:1]
	s_wait_alu 0xfffd
	v_div_fmas_f64 v[6:7], v[36:37], v[32:33], v[34:35]
	s_delay_alu instid0(VALU_DEP_2) | instskip(NEXT) | instid1(VALU_DEP_2)
	v_fma_f64 v[0:1], -v[28:29], v[8:9], v[0:1]
	v_div_fixup_f64 v[2:3], v[6:7], v[30:31], v[2:3]
	s_wait_dscnt 0x0
	s_delay_alu instid0(VALU_DEP_1) | instskip(NEXT) | instid1(VALU_DEP_1)
	v_fma_f64 v[0:1], -v[2:3], v[22:23], v[0:1]
	v_div_scale_f64 v[6:7], null, v[24:25], v[24:25], v[0:1]
	s_delay_alu instid0(VALU_DEP_1) | instskip(NEXT) | instid1(TRANS32_DEP_1)
	v_rcp_f64_e32 v[8:9], v[6:7]
	v_fma_f64 v[22:23], -v[6:7], v[8:9], 1.0
	s_delay_alu instid0(VALU_DEP_1) | instskip(NEXT) | instid1(VALU_DEP_1)
	v_fma_f64 v[8:9], v[8:9], v[22:23], v[8:9]
	v_fma_f64 v[22:23], -v[6:7], v[8:9], 1.0
	s_delay_alu instid0(VALU_DEP_1) | instskip(SKIP_1) | instid1(VALU_DEP_1)
	v_fma_f64 v[8:9], v[8:9], v[22:23], v[8:9]
	v_div_scale_f64 v[22:23], vcc_lo, v[0:1], v[24:25], v[0:1]
	v_mul_f64_e32 v[30:31], v[22:23], v[8:9]
	s_delay_alu instid0(VALU_DEP_1) | instskip(SKIP_1) | instid1(VALU_DEP_1)
	v_fma_f64 v[6:7], -v[6:7], v[30:31], v[22:23]
	s_wait_alu 0xfffd
	v_div_fmas_f64 v[6:7], v[6:7], v[8:9], v[30:31]
	s_delay_alu instid0(VALU_DEP_1)
	v_div_fixup_f64 v[0:1], v[6:7], v[24:25], v[0:1]
	ds_store_b64 v18, v[26:27]
	ds_store_b64 v19, v[28:29]
	;; [unrolled: 1-line block ×4, first 2 shown]
	s_cbranch_scc1 .LBB106_74
; %bb.73:                               ;   in Loop: Header=BB106_70 Depth=2
	s_mov_b32 s19, s37
	s_branch .LBB106_70
.LBB106_74:                             ;   in Loop: Header=BB106_3 Depth=1
	s_cmp_ge_i32 s37, s1
	s_cbranch_scc1 .LBB106_79
; %bb.75:                               ;   in Loop: Header=BB106_3 Depth=1
	s_lshl_b32 s18, s37, 8
	s_branch .LBB106_77
.LBB106_76:                             ;   in Loop: Header=BB106_77 Depth=2
	s_mul_i32 s19, s37, 0x108
	s_add_co_i32 s37, s37, 1
	s_wait_alu 0xfffe
	v_mov_b32_e32 v3, s19
	s_addk_co_i32 s18, 0x100
	s_cmp_ge_i32 s37, s1
	ds_load_b64 v[6:7], v3
	s_wait_dscnt 0x0
	v_div_scale_f64 v[8:9], null, v[6:7], v[6:7], v[0:1]
	s_delay_alu instid0(VALU_DEP_1) | instskip(NEXT) | instid1(TRANS32_DEP_1)
	v_rcp_f64_e32 v[18:19], v[8:9]
	v_fma_f64 v[20:21], -v[8:9], v[18:19], 1.0
	s_delay_alu instid0(VALU_DEP_1) | instskip(NEXT) | instid1(VALU_DEP_1)
	v_fma_f64 v[18:19], v[18:19], v[20:21], v[18:19]
	v_fma_f64 v[20:21], -v[8:9], v[18:19], 1.0
	s_delay_alu instid0(VALU_DEP_1) | instskip(SKIP_1) | instid1(VALU_DEP_1)
	v_fma_f64 v[18:19], v[18:19], v[20:21], v[18:19]
	v_div_scale_f64 v[20:21], vcc_lo, v[0:1], v[6:7], v[0:1]
	v_mul_f64_e32 v[22:23], v[20:21], v[18:19]
	s_delay_alu instid0(VALU_DEP_1) | instskip(SKIP_1) | instid1(VALU_DEP_1)
	v_fma_f64 v[8:9], -v[8:9], v[22:23], v[20:21]
	s_wait_alu 0xfffd
	v_div_fmas_f64 v[8:9], v[8:9], v[18:19], v[22:23]
	s_delay_alu instid0(VALU_DEP_1)
	v_div_fixup_f64 v[0:1], v[8:9], v[6:7], v[0:1]
	ds_store_b64 v2, v[0:1]
	s_cbranch_scc1 .LBB106_79
.LBB106_77:                             ;   Parent Loop BB106_3 Depth=1
                                        ; =>  This Loop Header: Depth=2
                                        ;       Child Loop BB106_78 Depth 3
	v_lshl_add_u32 v2, s37, 8, v11
	v_mov_b32_e32 v3, v11
	s_cmp_eq_u32 s37, 0
	s_wait_alu 0xfffe
	s_mov_b32 s19, s18
	s_mov_b32 s38, s37
	ds_load_b64 v[0:1], v2
	s_cbranch_scc1 .LBB106_76
.LBB106_78:                             ;   Parent Loop BB106_3 Depth=1
                                        ;     Parent Loop BB106_77 Depth=2
                                        ; =>    This Inner Loop Header: Depth=3
	s_wait_alu 0xfffe
	v_mov_b32_e32 v8, s19
	s_add_co_i32 s38, s38, -1
	s_add_co_i32 s19, s19, 8
	s_wait_alu 0xfffe
	s_cmp_eq_u32 s38, 0
	ds_load_b64 v[6:7], v3
	ds_load_b64 v[8:9], v8
	v_add_nc_u32_e32 v3, 0x100, v3
	s_wait_dscnt 0x0
	v_fma_f64 v[0:1], -v[6:7], v[8:9], v[0:1]
	s_cbranch_scc0 .LBB106_78
	s_branch .LBB106_76
.LBB106_79:                             ;   in Loop: Header=BB106_3 Depth=1
	s_and_saveexec_b32 s18, s29
	s_cbranch_execz .LBB106_2
; %bb.80:                               ;   in Loop: Header=BB106_3 Depth=1
	v_add_co_u32 v0, vcc_lo, v16, v15
	s_wait_alu 0xfffd
	v_add_co_ci_u32_e64 v1, null, 0, v17, vcc_lo
	v_mov_b32_e32 v2, v11
	s_mov_b32 s19, s23
.LBB106_81:                             ;   Parent Loop BB106_3 Depth=1
                                        ; =>  This Inner Loop Header: Depth=2
	ds_load_b64 v[6:7], v2
	v_add_nc_u32_e32 v2, 0x100, v2
	s_wait_alu 0xfffe
	s_add_co_i32 s19, s19, -1
	s_wait_alu 0xfffe
	s_cmp_lg_u32 s19, 0
	s_wait_dscnt 0x0
	flat_store_b64 v[0:1], v[6:7]
	v_add_co_u32 v0, vcc_lo, v0, s14
	s_wait_alu 0xfffd
	v_add_co_ci_u32_e64 v1, null, s15, v1, vcc_lo
	s_cbranch_scc1 .LBB106_81
	s_branch .LBB106_2
.LBB106_82:
	s_endpgm
	.section	.rodata,"a",@progbits
	.p2align	6, 0x0
	.amdhsa_kernel _ZL31rocblas_trsm_small_right_deviceIddPKPKdPKPdLi32EEv13rocblas_fill_18rocblas_operation_17rocblas_diagonal_iiT0_T1_lilT2_lili
		.amdhsa_group_segment_fixed_size 16384
		.amdhsa_private_segment_fixed_size 0
		.amdhsa_kernarg_size 360
		.amdhsa_user_sgpr_count 2
		.amdhsa_user_sgpr_dispatch_ptr 0
		.amdhsa_user_sgpr_queue_ptr 0
		.amdhsa_user_sgpr_kernarg_segment_ptr 1
		.amdhsa_user_sgpr_dispatch_id 0
		.amdhsa_user_sgpr_private_segment_size 0
		.amdhsa_wavefront_size32 1
		.amdhsa_uses_dynamic_stack 0
		.amdhsa_enable_private_segment 0
		.amdhsa_system_sgpr_workgroup_id_x 1
		.amdhsa_system_sgpr_workgroup_id_y 0
		.amdhsa_system_sgpr_workgroup_id_z 1
		.amdhsa_system_sgpr_workgroup_info 0
		.amdhsa_system_vgpr_workitem_id 0
		.amdhsa_next_free_vgpr 241
		.amdhsa_next_free_sgpr 44
		.amdhsa_reserve_vcc 1
		.amdhsa_float_round_mode_32 0
		.amdhsa_float_round_mode_16_64 0
		.amdhsa_float_denorm_mode_32 3
		.amdhsa_float_denorm_mode_16_64 3
		.amdhsa_fp16_overflow 0
		.amdhsa_workgroup_processor_mode 1
		.amdhsa_memory_ordered 1
		.amdhsa_forward_progress 1
		.amdhsa_inst_pref_size 55
		.amdhsa_round_robin_scheduling 0
		.amdhsa_exception_fp_ieee_invalid_op 0
		.amdhsa_exception_fp_denorm_src 0
		.amdhsa_exception_fp_ieee_div_zero 0
		.amdhsa_exception_fp_ieee_overflow 0
		.amdhsa_exception_fp_ieee_underflow 0
		.amdhsa_exception_fp_ieee_inexact 0
		.amdhsa_exception_int_div_zero 0
	.end_amdhsa_kernel
	.section	.text._ZL31rocblas_trsm_small_right_deviceIddPKPKdPKPdLi32EEv13rocblas_fill_18rocblas_operation_17rocblas_diagonal_iiT0_T1_lilT2_lili,"axG",@progbits,_ZL31rocblas_trsm_small_right_deviceIddPKPKdPKPdLi32EEv13rocblas_fill_18rocblas_operation_17rocblas_diagonal_iiT0_T1_lilT2_lili,comdat
.Lfunc_end106:
	.size	_ZL31rocblas_trsm_small_right_deviceIddPKPKdPKPdLi32EEv13rocblas_fill_18rocblas_operation_17rocblas_diagonal_iiT0_T1_lilT2_lili, .Lfunc_end106-_ZL31rocblas_trsm_small_right_deviceIddPKPKdPKPdLi32EEv13rocblas_fill_18rocblas_operation_17rocblas_diagonal_iiT0_T1_lilT2_lili
                                        ; -- End function
	.set _ZL31rocblas_trsm_small_right_deviceIddPKPKdPKPdLi32EEv13rocblas_fill_18rocblas_operation_17rocblas_diagonal_iiT0_T1_lilT2_lili.num_vgpr, 43
	.set _ZL31rocblas_trsm_small_right_deviceIddPKPKdPKPdLi32EEv13rocblas_fill_18rocblas_operation_17rocblas_diagonal_iiT0_T1_lilT2_lili.num_agpr, 0
	.set _ZL31rocblas_trsm_small_right_deviceIddPKPKdPKPdLi32EEv13rocblas_fill_18rocblas_operation_17rocblas_diagonal_iiT0_T1_lilT2_lili.numbered_sgpr, 44
	.set _ZL31rocblas_trsm_small_right_deviceIddPKPKdPKPdLi32EEv13rocblas_fill_18rocblas_operation_17rocblas_diagonal_iiT0_T1_lilT2_lili.num_named_barrier, 0
	.set _ZL31rocblas_trsm_small_right_deviceIddPKPKdPKPdLi32EEv13rocblas_fill_18rocblas_operation_17rocblas_diagonal_iiT0_T1_lilT2_lili.private_seg_size, 0
	.set _ZL31rocblas_trsm_small_right_deviceIddPKPKdPKPdLi32EEv13rocblas_fill_18rocblas_operation_17rocblas_diagonal_iiT0_T1_lilT2_lili.uses_vcc, 1
	.set _ZL31rocblas_trsm_small_right_deviceIddPKPKdPKPdLi32EEv13rocblas_fill_18rocblas_operation_17rocblas_diagonal_iiT0_T1_lilT2_lili.uses_flat_scratch, 0
	.set _ZL31rocblas_trsm_small_right_deviceIddPKPKdPKPdLi32EEv13rocblas_fill_18rocblas_operation_17rocblas_diagonal_iiT0_T1_lilT2_lili.has_dyn_sized_stack, 0
	.set _ZL31rocblas_trsm_small_right_deviceIddPKPKdPKPdLi32EEv13rocblas_fill_18rocblas_operation_17rocblas_diagonal_iiT0_T1_lilT2_lili.has_recursion, 0
	.set _ZL31rocblas_trsm_small_right_deviceIddPKPKdPKPdLi32EEv13rocblas_fill_18rocblas_operation_17rocblas_diagonal_iiT0_T1_lilT2_lili.has_indirect_call, 0
	.section	.AMDGPU.csdata,"",@progbits
; Kernel info:
; codeLenInByte = 6992
; TotalNumSgprs: 46
; NumVgprs: 43
; ScratchSize: 0
; MemoryBound: 0
; FloatMode: 240
; IeeeMode: 1
; LDSByteSize: 16384 bytes/workgroup (compile time only)
; SGPRBlocks: 0
; VGPRBlocks: 30
; NumSGPRsForWavesPerEU: 46
; NumVGPRsForWavesPerEU: 241
; Occupancy: 2
; WaveLimiterHint : 0
; COMPUTE_PGM_RSRC2:SCRATCH_EN: 0
; COMPUTE_PGM_RSRC2:USER_SGPR: 2
; COMPUTE_PGM_RSRC2:TRAP_HANDLER: 0
; COMPUTE_PGM_RSRC2:TGID_X_EN: 1
; COMPUTE_PGM_RSRC2:TGID_Y_EN: 0
; COMPUTE_PGM_RSRC2:TGID_Z_EN: 1
; COMPUTE_PGM_RSRC2:TIDIG_COMP_CNT: 0
	.section	.text._ZL38rocblas_trsm_small_left_device_sharedBILi64ELi32ELb0EddPKPKdPKPdEv13rocblas_fill_18rocblas_operation_17rocblas_diagonal_iiT3_T4_lilT5_lili,"axG",@progbits,_ZL38rocblas_trsm_small_left_device_sharedBILi64ELi32ELb0EddPKPKdPKPdEv13rocblas_fill_18rocblas_operation_17rocblas_diagonal_iiT3_T4_lilT5_lili,comdat
	.globl	_ZL38rocblas_trsm_small_left_device_sharedBILi64ELi32ELb0EddPKPKdPKPdEv13rocblas_fill_18rocblas_operation_17rocblas_diagonal_iiT3_T4_lilT5_lili ; -- Begin function _ZL38rocblas_trsm_small_left_device_sharedBILi64ELi32ELb0EddPKPKdPKPdEv13rocblas_fill_18rocblas_operation_17rocblas_diagonal_iiT3_T4_lilT5_lili
	.p2align	8
	.type	_ZL38rocblas_trsm_small_left_device_sharedBILi64ELi32ELb0EddPKPKdPKPdEv13rocblas_fill_18rocblas_operation_17rocblas_diagonal_iiT3_T4_lilT5_lili,@function
_ZL38rocblas_trsm_small_left_device_sharedBILi64ELi32ELb0EddPKPKdPKPdEv13rocblas_fill_18rocblas_operation_17rocblas_diagonal_iiT3_T4_lilT5_lili: ; @_ZL38rocblas_trsm_small_left_device_sharedBILi64ELi32ELb0EddPKPKdPKPdEv13rocblas_fill_18rocblas_operation_17rocblas_diagonal_iiT3_T4_lilT5_lili
; %bb.0:
	s_load_b32 s22, s[0:1], 0x60
	s_lshr_b32 s2, ttmp7, 16
	s_wait_kmcnt 0x0
	s_cmp_ge_u32 s2, s22
	s_cbranch_scc1 .LBB107_57
; %bb.1:
	s_clause 0x5
	s_load_b96 s[16:18], s[0:1], 0x28
	s_load_b32 s20, s[0:1], 0x50
	s_load_b128 s[12:15], s[0:1], 0x4
	s_load_b32 s3, s[0:1], 0x68
	s_load_b128 s[4:7], s[0:1], 0x18
	s_load_b128 s[8:11], s[0:1], 0x40
	s_lshl_b32 s26, ttmp9, 6
	v_dual_mov_b32 v7, 0 :: v_dual_lshlrev_b32 v6, 3, v0
	v_lshlrev_b32_e32 v3, 9, v0
	v_lshlrev_b32_e32 v9, 3, v0
	s_mov_b32 s19, 0
	s_delay_alu instid0(VALU_DEP_3) | instskip(NEXT) | instid1(VALU_DEP_3)
	v_or_b32_e32 v8, 0x8000, v6
	v_add_nc_u32_e32 v10, v6, v3
	s_wait_kmcnt 0x0
	s_ashr_i32 s29, s18, 31
	s_ashr_i32 s21, s20, 31
	s_min_i32 s1, s14, 64
	s_add_co_i32 s3, s3, -1
	s_sub_co_i32 s0, s15, s26
	s_add_co_i32 s23, s1, -1
	v_mad_co_i64_i32 v[1:2], null, s20, v0, 0
	s_cmp_ge_u32 ttmp9, s3
	s_mov_b32 s28, s18
	s_cselect_b32 s3, s0, 64
	s_ashr_i32 s27, s26, 31
	s_cmp_lg_u32 s13, 0x84
	v_cmp_gt_i32_e32 vcc_lo, s3, v0
	s_cselect_b32 s24, -1, 0
	s_cmp_gt_i32 s14, 0
	v_cmp_gt_i32_e64 s0, s1, v0
	s_cselect_b32 s3, -1, 0
	s_cmp_lg_u32 s12, 0x6f
	v_lshlrev_b64_e32 v[0:1], 3, v[1:2]
	s_mul_u64 s[20:21], s[20:21], s[26:27]
	s_cselect_b32 s25, -1, 0
	s_lshl_b32 s27, s1, 9
	s_wait_alu 0xfffe
	s_and_b32 s26, vcc_lo, s3
	s_lshl_b64 s[12:13], s[28:29], 3
	s_addk_co_i32 s27, 0xfe00
	s_lshl_b64 s[14:15], s[16:17], 3
	s_lshl_b64 s[10:11], s[10:11], 3
	s_lshl_b64 s[16:17], s[20:21], 3
	s_branch .LBB107_3
.LBB107_2:                              ;   in Loop: Header=BB107_3 Depth=1
	s_wait_alu 0xfffe
	s_or_b32 exec_lo, exec_lo, s3
	s_add_co_i32 s2, s2, 0x10000
	s_wait_alu 0xfffe
	s_cmp_lt_u32 s2, s22
	s_cbranch_scc0 .LBB107_57
.LBB107_3:                              ; =>This Loop Header: Depth=1
                                        ;     Child Loop BB107_5 Depth 2
                                        ;     Child Loop BB107_11 Depth 2
	;; [unrolled: 1-line block ×3, first 2 shown]
                                        ;       Child Loop BB107_18 Depth 3
                                        ;         Child Loop BB107_19 Depth 4
                                        ;         Child Loop BB107_22 Depth 4
                                        ;           Child Loop BB107_23 Depth 5
                                        ;         Child Loop BB107_27 Depth 4
                                        ;           Child Loop BB107_29 Depth 5
                                        ;     Child Loop BB107_37 Depth 2
                                        ;       Child Loop BB107_40 Depth 3
                                        ;         Child Loop BB107_41 Depth 4
                                        ;         Child Loop BB107_43 Depth 4
                                        ;           Child Loop BB107_44 Depth 5
                                        ;         Child Loop BB107_48 Depth 4
                                        ;           Child Loop BB107_50 Depth 5
                                        ;     Child Loop BB107_56 Depth 2
	s_mov_b32 s3, s19
	s_wait_alu 0xfffe
	s_lshl_b64 s[20:21], s[2:3], 3
	s_wait_alu 0xfffe
	s_add_nc_u64 s[28:29], s[8:9], s[20:21]
	global_load_b64 v[2:3], v7, s[28:29]
	s_and_saveexec_b32 s3, s0
	s_cbranch_execz .LBB107_9
; %bb.4:                                ;   in Loop: Header=BB107_3 Depth=1
	s_add_nc_u64 s[20:21], s[6:7], s[20:21]
	v_mov_b32_e32 v11, v6
	global_load_b64 v[4:5], v7, s[20:21]
	s_mov_b32 s18, s1
	s_wait_loadcnt 0x0
	v_add_co_u32 v4, vcc_lo, v4, s14
	s_wait_alu 0xfffd
	v_add_co_ci_u32_e64 v5, null, s15, v5, vcc_lo
	s_delay_alu instid0(VALU_DEP_2) | instskip(SKIP_1) | instid1(VALU_DEP_2)
	v_add_co_u32 v4, vcc_lo, v4, v9
	s_wait_alu 0xfffd
	v_add_co_ci_u32_e64 v5, null, 0, v5, vcc_lo
.LBB107_5:                              ;   Parent Loop BB107_3 Depth=1
                                        ; =>  This Inner Loop Header: Depth=2
	flat_load_b64 v[12:13], v[4:5]
	v_add_co_u32 v4, vcc_lo, v4, s12
	s_wait_alu 0xfffd
	v_add_co_ci_u32_e64 v5, null, s13, v5, vcc_lo
	s_add_co_i32 s18, s18, -1
	s_delay_alu instid0(SALU_CYCLE_1)
	s_cmp_eq_u32 s18, 0
	s_wait_loadcnt_dscnt 0x0
	ds_store_b64 v11, v[12:13]
	v_add_nc_u32_e32 v11, 0x200, v11
	s_cbranch_scc0 .LBB107_5
; %bb.6:                                ;   in Loop: Header=BB107_3 Depth=1
	v_mov_b32_e32 v4, 0
	v_mov_b32_e32 v5, 0x3ff00000
	s_and_b32 vcc_lo, exec_lo, s24
	s_wait_alu 0xfffe
	s_cbranch_vccz .LBB107_8
; %bb.7:                                ;   in Loop: Header=BB107_3 Depth=1
	ds_load_b64 v[4:5], v10
	s_wait_dscnt 0x0
	v_div_scale_f64 v[11:12], null, v[4:5], v[4:5], 1.0
	s_delay_alu instid0(VALU_DEP_1) | instskip(NEXT) | instid1(TRANS32_DEP_1)
	v_rcp_f64_e32 v[13:14], v[11:12]
	v_fma_f64 v[15:16], -v[11:12], v[13:14], 1.0
	s_delay_alu instid0(VALU_DEP_1) | instskip(NEXT) | instid1(VALU_DEP_1)
	v_fma_f64 v[13:14], v[13:14], v[15:16], v[13:14]
	v_fma_f64 v[15:16], -v[11:12], v[13:14], 1.0
	s_delay_alu instid0(VALU_DEP_1) | instskip(SKIP_1) | instid1(VALU_DEP_1)
	v_fma_f64 v[13:14], v[13:14], v[15:16], v[13:14]
	v_div_scale_f64 v[15:16], vcc_lo, 1.0, v[4:5], 1.0
	v_mul_f64_e32 v[17:18], v[15:16], v[13:14]
	s_delay_alu instid0(VALU_DEP_1) | instskip(SKIP_1) | instid1(VALU_DEP_1)
	v_fma_f64 v[11:12], -v[11:12], v[17:18], v[15:16]
	s_wait_alu 0xfffd
	v_div_fmas_f64 v[11:12], v[11:12], v[13:14], v[17:18]
	s_delay_alu instid0(VALU_DEP_1)
	v_div_fixup_f64 v[4:5], v[11:12], v[4:5], 1.0
.LBB107_8:                              ;   in Loop: Header=BB107_3 Depth=1
	ds_store_b64 v10, v[4:5]
.LBB107_9:                              ;   in Loop: Header=BB107_3 Depth=1
	s_wait_alu 0xfffe
	s_or_b32 exec_lo, exec_lo, s3
	s_wait_loadcnt 0x0
	v_add_co_u32 v2, vcc_lo, v2, s10
	s_wait_alu 0xfffd
	v_add_co_ci_u32_e64 v3, null, s11, v3, vcc_lo
	s_delay_alu instid0(VALU_DEP_2) | instskip(SKIP_1) | instid1(VALU_DEP_2)
	v_add_co_u32 v4, vcc_lo, v2, s16
	s_wait_alu 0xfffd
	v_add_co_ci_u32_e64 v5, null, s17, v3, vcc_lo
	s_and_saveexec_b32 s3, s26
	s_cbranch_execz .LBB107_12
; %bb.10:                               ;   in Loop: Header=BB107_3 Depth=1
	v_add_co_u32 v2, vcc_lo, v4, v0
	s_wait_alu 0xfffd
	v_add_co_ci_u32_e64 v3, null, v5, v1, vcc_lo
	v_mov_b32_e32 v11, v8
	s_mov_b32 s18, s1
.LBB107_11:                             ;   Parent Loop BB107_3 Depth=1
                                        ; =>  This Inner Loop Header: Depth=2
	flat_load_b64 v[12:13], v[2:3]
	v_add_co_u32 v2, vcc_lo, v2, 8
	s_wait_alu 0xfffd
	v_add_co_ci_u32_e64 v3, null, 0, v3, vcc_lo
	s_add_co_i32 s18, s18, -1
	s_delay_alu instid0(SALU_CYCLE_1)
	s_cmp_lg_u32 s18, 0
	s_wait_loadcnt_dscnt 0x0
	v_mul_f64_e32 v[12:13], s[4:5], v[12:13]
	ds_store_b64 v11, v[12:13]
	v_add_nc_u32_e32 v11, 0x200, v11
	s_cbranch_scc1 .LBB107_11
.LBB107_12:                             ;   in Loop: Header=BB107_3 Depth=1
	s_wait_alu 0xfffe
	s_or_b32 exec_lo, exec_lo, s3
	s_delay_alu instid0(SALU_CYCLE_1)
	s_and_not1_b32 vcc_lo, exec_lo, s25
	s_mov_b32 s3, -1
	s_wait_dscnt 0x0
	s_barrier_signal -1
	s_barrier_wait -1
	global_inv scope:SCOPE_SE
	s_wait_alu 0xfffe
	s_cbranch_vccnz .LBB107_34
; %bb.13:                               ;   in Loop: Header=BB107_3 Depth=1
	s_mov_b32 s18, 0
	s_delay_alu instid0(SALU_CYCLE_1)
	s_mov_b32 s3, s18
	s_branch .LBB107_15
.LBB107_14:                             ;   in Loop: Header=BB107_15 Depth=2
	s_cmp_lt_i32 s3, s1
	s_cselect_b32 s20, -1, 0
	s_add_co_i32 s21, s18, 1
	s_cmp_lt_u32 s18, 2
	s_cselect_b32 s18, -1, 0
	s_wait_alu 0xfffe
	s_and_b32 s18, s20, s18
	s_delay_alu instid0(SALU_CYCLE_1)
	s_and_b32 vcc_lo, exec_lo, s18
	s_mov_b32 s18, s21
	s_wait_alu 0xfffe
	s_cbranch_vccz .LBB107_33
.LBB107_15:                             ;   Parent Loop BB107_3 Depth=1
                                        ; =>  This Loop Header: Depth=2
                                        ;       Child Loop BB107_18 Depth 3
                                        ;         Child Loop BB107_19 Depth 4
                                        ;         Child Loop BB107_22 Depth 4
                                        ;           Child Loop BB107_23 Depth 5
                                        ;         Child Loop BB107_27 Depth 4
                                        ;           Child Loop BB107_29 Depth 5
	s_getpc_b64 s[20:21]
	s_wait_alu 0xfffe
	s_sext_i32_i16 s21, s21
	s_add_co_u32 s20, s20, __const._ZL38rocblas_trsm_small_left_device_sharedBILi64ELi32ELb0EddPKPKdPKPdEv13rocblas_fill_18rocblas_operation_17rocblas_diagonal_iiT3_T4_lilT5_lili.step_sizes@rel32@lo+12
	s_wait_alu 0xfffe
	s_add_co_ci_u32 s21, s21, __const._ZL38rocblas_trsm_small_left_device_sharedBILi64ELi32ELb0EddPKPKdPKPdEv13rocblas_fill_18rocblas_operation_17rocblas_diagonal_iiT3_T4_lilT5_lili.step_sizes@rel32@hi+24
	s_lshl_b64 s[28:29], s[18:19], 2
	s_wait_alu 0xfffe
	s_add_nc_u64 s[20:21], s[20:21], s[28:29]
	s_load_b32 s20, s[20:21], 0x0
	s_wait_kmcnt 0x0
	s_add_co_i32 s21, s20, -1
	s_wait_alu 0xfffe
	s_add_co_i32 s28, s21, s3
	s_wait_alu 0xfffe
	s_cmp_ge_i32 s28, s1
	s_cbranch_scc1 .LBB107_14
; %bb.16:                               ;   in Loop: Header=BB107_15 Depth=2
	s_lshl_b32 s28, s3, 9
	s_max_i32 s29, s20, 1
	s_wait_alu 0xfffe
	v_add_nc_u32_e32 v11, s28, v8
	s_lshl_b32 s30, s20, 9
	s_mul_i32 s31, s3, 0x208
	s_mul_i32 s33, s20, 0x208
	s_branch .LBB107_18
.LBB107_17:                             ;   in Loop: Header=BB107_18 Depth=3
	s_add_co_i32 s3, s3, s20
	v_add_nc_u32_e32 v11, s30, v11
	s_wait_alu 0xfffe
	s_add_co_i32 s34, s21, s3
	s_add_co_i32 s28, s28, s30
	s_add_co_i32 s31, s31, s33
	s_wait_alu 0xfffe
	s_cmp_ge_i32 s34, s1
	s_cbranch_scc1 .LBB107_14
.LBB107_18:                             ;   Parent Loop BB107_3 Depth=1
                                        ;     Parent Loop BB107_15 Depth=2
                                        ; =>    This Loop Header: Depth=3
                                        ;         Child Loop BB107_19 Depth 4
                                        ;         Child Loop BB107_22 Depth 4
                                        ;           Child Loop BB107_23 Depth 5
                                        ;         Child Loop BB107_27 Depth 4
                                        ;           Child Loop BB107_29 Depth 5
	v_mov_b32_e32 v2, v11
	s_mov_b32 s34, 0
	s_mov_b32 s35, s29
.LBB107_19:                             ;   Parent Loop BB107_3 Depth=1
                                        ;     Parent Loop BB107_15 Depth=2
                                        ;       Parent Loop BB107_18 Depth=3
                                        ; =>      This Inner Loop Header: Depth=4
	ds_load_b64 v[12:13], v2
	v_add_nc_u32_e32 v2, 0x200, v2
	s_wait_alu 0xfffe
	s_add_co_i32 s35, s35, -1
	s_wait_dscnt 0x0
	scratch_store_b64 off, v[12:13], s34
	s_add_co_i32 s34, s34, 8
	s_wait_alu 0xfffe
	s_cmp_eq_u32 s35, 0
	s_cbranch_scc0 .LBB107_19
; %bb.20:                               ;   in Loop: Header=BB107_18 Depth=3
	s_cmp_lt_i32 s3, 1
	s_cbranch_scc1 .LBB107_25
; %bb.21:                               ;   in Loop: Header=BB107_18 Depth=3
	s_mov_b32 s34, 0
	s_mov_b32 s35, s28
.LBB107_22:                             ;   Parent Loop BB107_3 Depth=1
                                        ;     Parent Loop BB107_15 Depth=2
                                        ;       Parent Loop BB107_18 Depth=3
                                        ; =>      This Loop Header: Depth=4
                                        ;           Child Loop BB107_23 Depth 5
	s_wait_alu 0xfffe
	v_lshl_add_u32 v2, s34, 9, v8
	s_mov_b32 s36, 0
	s_mov_b32 s37, s35
	;; [unrolled: 1-line block ×3, first 2 shown]
	ds_load_b64 v[2:3], v2
.LBB107_23:                             ;   Parent Loop BB107_3 Depth=1
                                        ;     Parent Loop BB107_15 Depth=2
                                        ;       Parent Loop BB107_18 Depth=3
                                        ;         Parent Loop BB107_22 Depth=4
                                        ; =>        This Inner Loop Header: Depth=5
	scratch_load_b64 v[12:13], off, s36
	s_wait_alu 0xfffe
	v_mov_b32_e32 v14, s37
	s_add_co_i32 s38, s38, -1
	s_addk_co_i32 s37, 0x200
	ds_load_b64 v[14:15], v14
	s_wait_loadcnt_dscnt 0x0
	v_fma_f64 v[12:13], -v[2:3], v[14:15], v[12:13]
	scratch_store_b64 off, v[12:13], s36
	s_add_co_i32 s36, s36, 8
	s_wait_alu 0xfffe
	s_cmp_eq_u32 s38, 0
	s_cbranch_scc0 .LBB107_23
; %bb.24:                               ;   in Loop: Header=BB107_22 Depth=4
	s_add_co_i32 s34, s34, 1
	s_add_co_i32 s35, s35, 8
	s_wait_alu 0xfffe
	s_cmp_eq_u32 s34, s3
	s_cbranch_scc0 .LBB107_22
.LBB107_25:                             ;   in Loop: Header=BB107_18 Depth=3
	s_lshl_b32 s34, s3, 9
	s_mov_b32 s35, 0
	s_wait_alu 0xfffe
	s_mov_b32 s36, s31
	s_branch .LBB107_27
.LBB107_26:                             ;   in Loop: Header=BB107_27 Depth=4
	s_wait_alu 0xfffe
	s_mulk_i32 s38, 0x208
	s_addk_co_i32 s36, 0x200
	s_wait_alu 0xfffe
	v_mov_b32_e32 v12, s38
	s_lshl_b32 s38, s35, 3
	s_add_co_i32 s35, s35, 1
	s_wait_alu 0xfffe
	s_cmp_eq_u32 s35, s29
	ds_load_b64 v[12:13], v12
	s_wait_loadcnt_dscnt 0x0
	v_mul_f64_e32 v[2:3], v[12:13], v[2:3]
	v_add_nc_u32_e32 v12, s37, v8
	scratch_store_b64 off, v[2:3], s38
	ds_store_b64 v12, v[2:3]
	s_cbranch_scc1 .LBB107_17
.LBB107_27:                             ;   Parent Loop BB107_3 Depth=1
                                        ;     Parent Loop BB107_15 Depth=2
                                        ;       Parent Loop BB107_18 Depth=3
                                        ; =>      This Loop Header: Depth=4
                                        ;           Child Loop BB107_29 Depth 5
	s_cmp_lg_u32 s35, 0
	s_cbranch_scc0 .LBB107_31
; %bb.28:                               ;   in Loop: Header=BB107_27 Depth=4
	s_lshl_b32 s39, s35, 3
	s_add_co_i32 s38, s35, s3
	scratch_load_b64 v[2:3], off, s39
	s_wait_alu 0xfffe
	s_lshl_b32 s37, s38, 9
	s_mov_b32 s40, 0
	s_mov_b32 s41, s36
	;; [unrolled: 1-line block ×3, first 2 shown]
.LBB107_29:                             ;   Parent Loop BB107_3 Depth=1
                                        ;     Parent Loop BB107_15 Depth=2
                                        ;       Parent Loop BB107_18 Depth=3
                                        ;         Parent Loop BB107_27 Depth=4
                                        ; =>        This Inner Loop Header: Depth=5
	scratch_load_b64 v[12:13], off, s40
	s_wait_alu 0xfffe
	v_mov_b32_e32 v14, s41
	s_add_co_i32 s42, s42, -1
	s_add_co_i32 s40, s40, 8
	s_add_co_i32 s41, s41, 8
	s_cmp_eq_u32 s42, 0
	ds_load_b64 v[14:15], v14
	s_wait_loadcnt_dscnt 0x0
	v_fma_f64 v[2:3], -v[12:13], v[14:15], v[2:3]
	scratch_store_b64 off, v[2:3], s39
	s_cbranch_scc0 .LBB107_29
; %bb.30:                               ;   in Loop: Header=BB107_27 Depth=4
	s_branch .LBB107_26
.LBB107_31:                             ;   in Loop: Header=BB107_27 Depth=4
                                        ; implicit-def: $vgpr2_vgpr3
                                        ; implicit-def: $sgpr38
                                        ; implicit-def: $sgpr37
	s_cbranch_execz .LBB107_26
; %bb.32:                               ;   in Loop: Header=BB107_27 Depth=4
	scratch_load_b64 v[2:3], off, off
	s_mov_b32 s37, s34
	s_mov_b32 s38, s3
	s_branch .LBB107_26
.LBB107_33:                             ;   in Loop: Header=BB107_3 Depth=1
	s_mov_b32 s3, 0
.LBB107_34:                             ;   in Loop: Header=BB107_3 Depth=1
	s_wait_alu 0xfffe
	s_and_b32 vcc_lo, exec_lo, s3
	s_wait_alu 0xfffe
	s_cbranch_vccz .LBB107_54
; %bb.35:                               ;   in Loop: Header=BB107_3 Depth=1
	s_mov_b32 s18, 0
	s_mov_b32 s3, s23
	s_branch .LBB107_37
.LBB107_36:                             ;   in Loop: Header=BB107_37 Depth=2
	s_cmp_gt_i32 s3, -1
	s_cselect_b32 s20, -1, 0
	s_add_co_i32 s21, s18, 1
	s_cmp_lt_u32 s18, 2
	s_cselect_b32 s18, -1, 0
	s_wait_alu 0xfffe
	s_and_b32 s18, s20, s18
	s_delay_alu instid0(SALU_CYCLE_1)
	s_and_not1_b32 vcc_lo, exec_lo, s18
	s_mov_b32 s18, s21
	s_wait_alu 0xfffe
	s_cbranch_vccnz .LBB107_54
.LBB107_37:                             ;   Parent Loop BB107_3 Depth=1
                                        ; =>  This Loop Header: Depth=2
                                        ;       Child Loop BB107_40 Depth 3
                                        ;         Child Loop BB107_41 Depth 4
                                        ;         Child Loop BB107_43 Depth 4
                                        ;           Child Loop BB107_44 Depth 5
                                        ;         Child Loop BB107_48 Depth 4
                                        ;           Child Loop BB107_50 Depth 5
	s_getpc_b64 s[20:21]
	s_wait_alu 0xfffe
	s_sext_i32_i16 s21, s21
	s_add_co_u32 s20, s20, __const._ZL38rocblas_trsm_small_left_device_sharedBILi64ELi32ELb0EddPKPKdPKPdEv13rocblas_fill_18rocblas_operation_17rocblas_diagonal_iiT3_T4_lilT5_lili.step_sizes@rel32@lo+12
	s_wait_alu 0xfffe
	s_add_co_ci_u32 s21, s21, __const._ZL38rocblas_trsm_small_left_device_sharedBILi64ELi32ELb0EddPKPKdPKPdEv13rocblas_fill_18rocblas_operation_17rocblas_diagonal_iiT3_T4_lilT5_lili.step_sizes@rel32@hi+24
	s_lshl_b64 s[28:29], s[18:19], 2
	s_wait_alu 0xfffe
	s_add_nc_u64 s[20:21], s[20:21], s[28:29]
	s_load_b32 s20, s[20:21], 0x0
	s_wait_kmcnt 0x0
	s_add_co_i32 s21, s20, -1
	s_wait_alu 0xfffe
	s_cmp_lt_i32 s3, s21
	s_cbranch_scc1 .LBB107_36
; %bb.38:                               ;   in Loop: Header=BB107_37 Depth=2
	v_lshl_add_u32 v11, s3, 9, v8
	s_lshl_b32 s29, s20, 9
	s_lshl_b32 s30, s3, 3
	;; [unrolled: 1-line block ×3, first 2 shown]
	s_max_i32 s28, s20, 1
	s_wait_alu 0xfffe
	s_sub_co_i32 s29, 0, s29
	s_add_co_i32 s30, s27, s30
	s_sub_co_i32 s31, 0, s31
	s_mul_i32 s33, s3, 0x208
	s_mul_i32 s34, s20, 0xfffffdf8
	s_branch .LBB107_40
.LBB107_39:                             ;   in Loop: Header=BB107_40 Depth=3
	v_add_nc_u32_e32 v11, s29, v11
	s_sub_co_i32 s3, s3, s20
	s_add_co_i32 s30, s30, s31
	s_add_co_i32 s33, s33, s34
	s_wait_alu 0xfffe
	s_cmp_lt_i32 s3, s21
	s_cbranch_scc1 .LBB107_36
.LBB107_40:                             ;   Parent Loop BB107_3 Depth=1
                                        ;     Parent Loop BB107_37 Depth=2
                                        ; =>    This Loop Header: Depth=3
                                        ;         Child Loop BB107_41 Depth 4
                                        ;         Child Loop BB107_43 Depth 4
                                        ;           Child Loop BB107_44 Depth 5
                                        ;         Child Loop BB107_48 Depth 4
                                        ;           Child Loop BB107_50 Depth 5
	v_mov_b32_e32 v2, v11
	s_mov_b32 s35, 0
	s_mov_b32 s36, s28
.LBB107_41:                             ;   Parent Loop BB107_3 Depth=1
                                        ;     Parent Loop BB107_37 Depth=2
                                        ;       Parent Loop BB107_40 Depth=3
                                        ; =>      This Inner Loop Header: Depth=4
	ds_load_b64 v[12:13], v2
	v_add_nc_u32_e32 v2, 0xfffffe00, v2
	s_wait_alu 0xfffe
	s_add_co_i32 s36, s36, -1
	s_wait_dscnt 0x0
	scratch_store_b64 off, v[12:13], s35
	s_add_co_i32 s35, s35, 8
	s_wait_alu 0xfffe
	s_cmp_eq_u32 s36, 0
	s_cbranch_scc0 .LBB107_41
; %bb.42:                               ;   in Loop: Header=BB107_40 Depth=3
	s_cmp_le_i32 s23, s3
	s_mov_b32 s35, s30
	s_mov_b32 s36, s23
	s_cbranch_scc1 .LBB107_46
.LBB107_43:                             ;   Parent Loop BB107_3 Depth=1
                                        ;     Parent Loop BB107_37 Depth=2
                                        ;       Parent Loop BB107_40 Depth=3
                                        ; =>      This Loop Header: Depth=4
                                        ;           Child Loop BB107_44 Depth 5
	s_wait_alu 0xfffe
	v_lshl_add_u32 v2, s36, 9, v8
	s_mov_b32 s37, 0
	s_mov_b32 s38, s35
	;; [unrolled: 1-line block ×3, first 2 shown]
	ds_load_b64 v[2:3], v2
.LBB107_44:                             ;   Parent Loop BB107_3 Depth=1
                                        ;     Parent Loop BB107_37 Depth=2
                                        ;       Parent Loop BB107_40 Depth=3
                                        ;         Parent Loop BB107_43 Depth=4
                                        ; =>        This Inner Loop Header: Depth=5
	scratch_load_b64 v[12:13], off, s37
	s_wait_alu 0xfffe
	v_mov_b32_e32 v14, s38
	s_add_co_i32 s39, s39, -1
	s_add_co_i32 s38, s38, -8
	ds_load_b64 v[14:15], v14
	s_wait_loadcnt_dscnt 0x0
	v_fma_f64 v[12:13], -v[2:3], v[14:15], v[12:13]
	scratch_store_b64 off, v[12:13], s37
	s_add_co_i32 s37, s37, 8
	s_wait_alu 0xfffe
	s_cmp_eq_u32 s39, 0
	s_cbranch_scc0 .LBB107_44
; %bb.45:                               ;   in Loop: Header=BB107_43 Depth=4
	s_add_co_i32 s36, s36, -1
	s_addk_co_i32 s35, 0xfe00
	s_wait_alu 0xfffe
	s_cmp_le_i32 s36, s3
	s_cbranch_scc0 .LBB107_43
.LBB107_46:                             ;   in Loop: Header=BB107_40 Depth=3
	s_mov_b32 s35, 0
	s_mov_b32 s36, s33
	s_branch .LBB107_48
.LBB107_47:                             ;   in Loop: Header=BB107_48 Depth=4
	s_wait_alu 0xfffe
	s_mul_i32 s38, s37, 0x208
	s_add_co_i32 s36, s36, -8
	s_wait_alu 0xfffe
	v_mov_b32_e32 v12, s38
	s_lshl_b32 s38, s35, 3
	s_add_co_i32 s35, s35, 1
	s_wait_alu 0xfffe
	s_cmp_eq_u32 s35, s28
	ds_load_b64 v[12:13], v12
	s_wait_loadcnt_dscnt 0x0
	v_mul_f64_e32 v[2:3], v[12:13], v[2:3]
	v_lshl_add_u32 v12, s37, 9, v8
	scratch_store_b64 off, v[2:3], s38
	ds_store_b64 v12, v[2:3]
	s_cbranch_scc1 .LBB107_39
.LBB107_48:                             ;   Parent Loop BB107_3 Depth=1
                                        ;     Parent Loop BB107_37 Depth=2
                                        ;       Parent Loop BB107_40 Depth=3
                                        ; =>      This Loop Header: Depth=4
                                        ;           Child Loop BB107_50 Depth 5
	s_wait_alu 0xfffe
	s_cmp_lg_u32 s35, 0
	s_cbranch_scc0 .LBB107_52
; %bb.49:                               ;   in Loop: Header=BB107_48 Depth=4
	s_lshl_b32 s38, s35, 3
	s_sub_co_i32 s37, s3, s35
	scratch_load_b64 v[2:3], off, s38
	s_mov_b32 s39, 0
	s_mov_b32 s40, s36
	;; [unrolled: 1-line block ×3, first 2 shown]
.LBB107_50:                             ;   Parent Loop BB107_3 Depth=1
                                        ;     Parent Loop BB107_37 Depth=2
                                        ;       Parent Loop BB107_40 Depth=3
                                        ;         Parent Loop BB107_48 Depth=4
                                        ; =>        This Inner Loop Header: Depth=5
	scratch_load_b64 v[12:13], off, s39
	s_wait_alu 0xfffe
	v_mov_b32_e32 v14, s40
	s_add_co_i32 s41, s41, -1
	s_addk_co_i32 s40, 0xfe00
	s_add_co_i32 s39, s39, 8
	s_wait_alu 0xfffe
	s_cmp_eq_u32 s41, 0
	ds_load_b64 v[14:15], v14
	s_wait_loadcnt_dscnt 0x0
	v_fma_f64 v[2:3], -v[12:13], v[14:15], v[2:3]
	scratch_store_b64 off, v[2:3], s38
	s_cbranch_scc0 .LBB107_50
; %bb.51:                               ;   in Loop: Header=BB107_48 Depth=4
	s_branch .LBB107_47
.LBB107_52:                             ;   in Loop: Header=BB107_48 Depth=4
                                        ; implicit-def: $vgpr2_vgpr3
                                        ; implicit-def: $sgpr37
	s_cbranch_execz .LBB107_47
; %bb.53:                               ;   in Loop: Header=BB107_48 Depth=4
	scratch_load_b64 v[2:3], off, off
	s_mov_b32 s37, s3
	s_branch .LBB107_47
.LBB107_54:                             ;   in Loop: Header=BB107_3 Depth=1
	s_wait_storecnt 0x0
	s_wait_loadcnt_dscnt 0x0
	s_barrier_signal -1
	s_barrier_wait -1
	global_inv scope:SCOPE_SE
	s_and_saveexec_b32 s3, s26
	s_cbranch_execz .LBB107_2
; %bb.55:                               ;   in Loop: Header=BB107_3 Depth=1
	v_add_co_u32 v2, vcc_lo, v4, v0
	s_wait_alu 0xfffd
	v_add_co_ci_u32_e64 v3, null, v5, v1, vcc_lo
	v_mov_b32_e32 v4, v8
	s_mov_b32 s18, s1
.LBB107_56:                             ;   Parent Loop BB107_3 Depth=1
                                        ; =>  This Inner Loop Header: Depth=2
	ds_load_b64 v[11:12], v4
	v_add_nc_u32_e32 v4, 0x200, v4
	s_add_co_i32 s18, s18, -1
	s_delay_alu instid0(SALU_CYCLE_1)
	s_cmp_lg_u32 s18, 0
	s_wait_dscnt 0x0
	flat_store_b64 v[2:3], v[11:12]
	v_add_co_u32 v2, vcc_lo, v2, 8
	s_wait_alu 0xfffd
	v_add_co_ci_u32_e64 v3, null, 0, v3, vcc_lo
	s_cbranch_scc1 .LBB107_56
	s_branch .LBB107_2
.LBB107_57:
	s_endpgm
	.section	.rodata,"a",@progbits
	.p2align	6, 0x0
	.amdhsa_kernel _ZL38rocblas_trsm_small_left_device_sharedBILi64ELi32ELb0EddPKPKdPKPdEv13rocblas_fill_18rocblas_operation_17rocblas_diagonal_iiT3_T4_lilT5_lili
		.amdhsa_group_segment_fixed_size 65536
		.amdhsa_private_segment_fixed_size 272
		.amdhsa_kernarg_size 360
		.amdhsa_user_sgpr_count 2
		.amdhsa_user_sgpr_dispatch_ptr 0
		.amdhsa_user_sgpr_queue_ptr 0
		.amdhsa_user_sgpr_kernarg_segment_ptr 1
		.amdhsa_user_sgpr_dispatch_id 0
		.amdhsa_user_sgpr_private_segment_size 0
		.amdhsa_wavefront_size32 1
		.amdhsa_uses_dynamic_stack 0
		.amdhsa_enable_private_segment 1
		.amdhsa_system_sgpr_workgroup_id_x 1
		.amdhsa_system_sgpr_workgroup_id_y 0
		.amdhsa_system_sgpr_workgroup_id_z 1
		.amdhsa_system_sgpr_workgroup_info 0
		.amdhsa_system_vgpr_workitem_id 0
		.amdhsa_next_free_vgpr 241
		.amdhsa_next_free_sgpr 43
		.amdhsa_reserve_vcc 1
		.amdhsa_float_round_mode_32 0
		.amdhsa_float_round_mode_16_64 0
		.amdhsa_float_denorm_mode_32 3
		.amdhsa_float_denorm_mode_16_64 3
		.amdhsa_fp16_overflow 0
		.amdhsa_workgroup_processor_mode 1
		.amdhsa_memory_ordered 1
		.amdhsa_forward_progress 1
		.amdhsa_inst_pref_size 19
		.amdhsa_round_robin_scheduling 0
		.amdhsa_exception_fp_ieee_invalid_op 0
		.amdhsa_exception_fp_denorm_src 0
		.amdhsa_exception_fp_ieee_div_zero 0
		.amdhsa_exception_fp_ieee_overflow 0
		.amdhsa_exception_fp_ieee_underflow 0
		.amdhsa_exception_fp_ieee_inexact 0
		.amdhsa_exception_int_div_zero 0
	.end_amdhsa_kernel
	.section	.text._ZL38rocblas_trsm_small_left_device_sharedBILi64ELi32ELb0EddPKPKdPKPdEv13rocblas_fill_18rocblas_operation_17rocblas_diagonal_iiT3_T4_lilT5_lili,"axG",@progbits,_ZL38rocblas_trsm_small_left_device_sharedBILi64ELi32ELb0EddPKPKdPKPdEv13rocblas_fill_18rocblas_operation_17rocblas_diagonal_iiT3_T4_lilT5_lili,comdat
.Lfunc_end107:
	.size	_ZL38rocblas_trsm_small_left_device_sharedBILi64ELi32ELb0EddPKPKdPKPdEv13rocblas_fill_18rocblas_operation_17rocblas_diagonal_iiT3_T4_lilT5_lili, .Lfunc_end107-_ZL38rocblas_trsm_small_left_device_sharedBILi64ELi32ELb0EddPKPKdPKPdEv13rocblas_fill_18rocblas_operation_17rocblas_diagonal_iiT3_T4_lilT5_lili
                                        ; -- End function
	.set _ZL38rocblas_trsm_small_left_device_sharedBILi64ELi32ELb0EddPKPKdPKPdEv13rocblas_fill_18rocblas_operation_17rocblas_diagonal_iiT3_T4_lilT5_lili.num_vgpr, 19
	.set _ZL38rocblas_trsm_small_left_device_sharedBILi64ELi32ELb0EddPKPKdPKPdEv13rocblas_fill_18rocblas_operation_17rocblas_diagonal_iiT3_T4_lilT5_lili.num_agpr, 0
	.set _ZL38rocblas_trsm_small_left_device_sharedBILi64ELi32ELb0EddPKPKdPKPdEv13rocblas_fill_18rocblas_operation_17rocblas_diagonal_iiT3_T4_lilT5_lili.numbered_sgpr, 43
	.set _ZL38rocblas_trsm_small_left_device_sharedBILi64ELi32ELb0EddPKPKdPKPdEv13rocblas_fill_18rocblas_operation_17rocblas_diagonal_iiT3_T4_lilT5_lili.num_named_barrier, 0
	.set _ZL38rocblas_trsm_small_left_device_sharedBILi64ELi32ELb0EddPKPKdPKPdEv13rocblas_fill_18rocblas_operation_17rocblas_diagonal_iiT3_T4_lilT5_lili.private_seg_size, 272
	.set _ZL38rocblas_trsm_small_left_device_sharedBILi64ELi32ELb0EddPKPKdPKPdEv13rocblas_fill_18rocblas_operation_17rocblas_diagonal_iiT3_T4_lilT5_lili.uses_vcc, 1
	.set _ZL38rocblas_trsm_small_left_device_sharedBILi64ELi32ELb0EddPKPKdPKPdEv13rocblas_fill_18rocblas_operation_17rocblas_diagonal_iiT3_T4_lilT5_lili.uses_flat_scratch, 0
	.set _ZL38rocblas_trsm_small_left_device_sharedBILi64ELi32ELb0EddPKPKdPKPdEv13rocblas_fill_18rocblas_operation_17rocblas_diagonal_iiT3_T4_lilT5_lili.has_dyn_sized_stack, 0
	.set _ZL38rocblas_trsm_small_left_device_sharedBILi64ELi32ELb0EddPKPKdPKPdEv13rocblas_fill_18rocblas_operation_17rocblas_diagonal_iiT3_T4_lilT5_lili.has_recursion, 0
	.set _ZL38rocblas_trsm_small_left_device_sharedBILi64ELi32ELb0EddPKPKdPKPdEv13rocblas_fill_18rocblas_operation_17rocblas_diagonal_iiT3_T4_lilT5_lili.has_indirect_call, 0
	.section	.AMDGPU.csdata,"",@progbits
; Kernel info:
; codeLenInByte = 2352
; TotalNumSgprs: 45
; NumVgprs: 19
; ScratchSize: 272
; MemoryBound: 0
; FloatMode: 240
; IeeeMode: 1
; LDSByteSize: 65536 bytes/workgroup (compile time only)
; SGPRBlocks: 0
; VGPRBlocks: 30
; NumSGPRsForWavesPerEU: 45
; NumVGPRsForWavesPerEU: 241
; Occupancy: 1
; WaveLimiterHint : 0
; COMPUTE_PGM_RSRC2:SCRATCH_EN: 1
; COMPUTE_PGM_RSRC2:USER_SGPR: 2
; COMPUTE_PGM_RSRC2:TRAP_HANDLER: 0
; COMPUTE_PGM_RSRC2:TGID_X_EN: 1
; COMPUTE_PGM_RSRC2:TGID_Y_EN: 0
; COMPUTE_PGM_RSRC2:TGID_Z_EN: 1
; COMPUTE_PGM_RSRC2:TIDIG_COMP_CNT: 0
	.section	.text._ZL30rocblas_trsm_small_left_deviceILi64ELi32ELb0EddPKPKdPKPdEv13rocblas_fill_18rocblas_operation_17rocblas_diagonal_iiT3_T4_lilT5_lili,"axG",@progbits,_ZL30rocblas_trsm_small_left_deviceILi64ELi32ELb0EddPKPKdPKPdEv13rocblas_fill_18rocblas_operation_17rocblas_diagonal_iiT3_T4_lilT5_lili,comdat
	.globl	_ZL30rocblas_trsm_small_left_deviceILi64ELi32ELb0EddPKPKdPKPdEv13rocblas_fill_18rocblas_operation_17rocblas_diagonal_iiT3_T4_lilT5_lili ; -- Begin function _ZL30rocblas_trsm_small_left_deviceILi64ELi32ELb0EddPKPKdPKPdEv13rocblas_fill_18rocblas_operation_17rocblas_diagonal_iiT3_T4_lilT5_lili
	.p2align	8
	.type	_ZL30rocblas_trsm_small_left_deviceILi64ELi32ELb0EddPKPKdPKPdEv13rocblas_fill_18rocblas_operation_17rocblas_diagonal_iiT3_T4_lilT5_lili,@function
_ZL30rocblas_trsm_small_left_deviceILi64ELi32ELb0EddPKPKdPKPdEv13rocblas_fill_18rocblas_operation_17rocblas_diagonal_iiT3_T4_lilT5_lili: ; @_ZL30rocblas_trsm_small_left_deviceILi64ELi32ELb0EddPKPKdPKPdEv13rocblas_fill_18rocblas_operation_17rocblas_diagonal_iiT3_T4_lilT5_lili
; %bb.0:
	s_load_b32 s28, s[0:1], 0x60
	s_lshr_b32 s2, ttmp7, 16
	s_wait_kmcnt 0x0
	s_cmp_ge_u32 s2, s28
	s_cbranch_scc1 .LBB108_54
; %bb.1:
	s_clause 0x5
	s_load_b96 s[16:18], s[0:1], 0x28
	s_load_b128 s[12:15], s[0:1], 0x4
	s_load_b32 s3, s[0:1], 0x68
	s_load_b32 s20, s[0:1], 0x50
	s_load_b128 s[4:7], s[0:1], 0x18
	s_load_b128 s[8:11], s[0:1], 0x40
	s_lshl_b32 s0, ttmp9, 6
	v_dual_mov_b32 v10, 0 :: v_dual_lshlrev_b32 v9, 3, v0
	v_or_b32_e32 v1, s0, v0
	v_lshlrev_b32_e32 v3, 9, v0
	s_mov_b32 s35, 0
                                        ; implicit-def: $sgpr36
                                        ; implicit-def: $sgpr37
	s_delay_alu instid0(VALU_DEP_1)
	v_add_nc_u32_e32 v13, v9, v3
	s_wait_kmcnt 0x0
	s_ashr_i32 s19, s18, 31
	s_min_i32 s29, s14, 64
	s_add_co_i32 s3, s3, -1
	v_mad_co_i64_i32 v[1:2], null, s20, v1, 0
	s_sub_co_i32 s0, s15, s0
	s_add_co_i32 s30, s29, -1
	s_wait_alu 0xfffe
	s_cmp_ge_u32 ttmp9, s3
	s_mov_b32 s15, 0
	s_cselect_b32 s1, s0, 64
	s_cmp_lg_u32 s13, 0x84
	v_lshlrev_b64_e32 v[1:2], 3, v[1:2]
	s_cselect_b32 s31, -1, 0
	s_cmp_lg_u32 s12, 0x6f
	v_cmp_gt_i32_e64 s0, s29, v0
	s_cselect_b32 s33, -1, 0
	s_lshl_b64 s[10:11], s[10:11], 3
	s_wait_alu 0xfffe
	v_cmp_gt_i32_e64 s1, s1, v0
	v_add_co_u32 v11, vcc_lo, v1, s10
	s_delay_alu instid0(VALU_DEP_1)
	v_add_co_ci_u32_e64 v12, null, s11, v2, vcc_lo
	v_lshlrev_b32_e32 v0, 3, v0
	s_lshl_b32 s34, s29, 9
	s_lshl_b64 s[12:13], s[18:19], 3
	s_addk_co_i32 s34, 0xfe00
	s_lshl_b64 s[16:17], s[16:17], 3
	s_branch .LBB108_4
.LBB108_2:                              ;   in Loop: Header=BB108_4 Depth=1
	s_add_co_i32 s2, s2, 0x10000
	s_delay_alu instid0(SALU_CYCLE_1)
	s_cmp_ge_u32 s2, s28
	s_cselect_b32 s14, -1, 0
	s_and_not1_b32 s37, s37, exec_lo
	s_or_not1_b32 s14, s14, exec_lo
.LBB108_3:                              ;   in Loop: Header=BB108_4 Depth=1
	s_or_b32 exec_lo, exec_lo, s3
	s_delay_alu instid0(SALU_CYCLE_1) | instskip(NEXT) | instid1(SALU_CYCLE_1)
	s_and_b32 s3, exec_lo, s14
	s_or_b32 s35, s3, s35
	s_and_not1_b32 s3, s36, exec_lo
	s_and_b32 s14, s37, exec_lo
	s_delay_alu instid0(SALU_CYCLE_1)
	s_or_b32 s36, s3, s14
	s_and_not1_b32 exec_lo, exec_lo, s35
	s_cbranch_execz .LBB108_53
.LBB108_4:                              ; =>This Loop Header: Depth=1
                                        ;     Child Loop BB108_6 Depth 2
                                        ;     Child Loop BB108_14 Depth 2
                                        ;       Child Loop BB108_17 Depth 3
                                        ;         Child Loop BB108_18 Depth 4
                                        ;         Child Loop BB108_21 Depth 4
                                        ;           Child Loop BB108_22 Depth 5
                                        ;         Child Loop BB108_26 Depth 4
                                        ;           Child Loop BB108_28 Depth 5
                                        ;     Child Loop BB108_36 Depth 2
                                        ;       Child Loop BB108_39 Depth 3
                                        ;         Child Loop BB108_40 Depth 4
                                        ;         Child Loop BB108_42 Depth 4
                                        ;           Child Loop BB108_43 Depth 5
                                        ;         Child Loop BB108_47 Depth 4
                                        ;           Child Loop BB108_49 Depth 5
	s_mov_b32 s3, s15
	s_delay_alu instid0(SALU_CYCLE_1) | instskip(NEXT) | instid1(SALU_CYCLE_1)
	s_lshl_b64 s[18:19], s[2:3], 3
	s_add_nc_u64 s[20:21], s[8:9], s[18:19]
	global_load_b64 v[3:4], v10, s[20:21]
	s_and_saveexec_b32 s3, s0
	s_cbranch_execz .LBB108_10
; %bb.5:                                ;   in Loop: Header=BB108_4 Depth=1
	s_add_nc_u64 s[18:19], s[6:7], s[18:19]
	v_mov_b32_e32 v7, v9
	global_load_b64 v[5:6], v10, s[18:19]
	s_mov_b32 s14, s29
	s_wait_loadcnt 0x0
	v_add_co_u32 v5, vcc_lo, v5, s16
	s_wait_alu 0xfffd
	v_add_co_ci_u32_e64 v6, null, s17, v6, vcc_lo
	s_delay_alu instid0(VALU_DEP_2) | instskip(SKIP_1) | instid1(VALU_DEP_2)
	v_add_co_u32 v5, vcc_lo, v5, v0
	s_wait_alu 0xfffd
	v_add_co_ci_u32_e64 v6, null, 0, v6, vcc_lo
.LBB108_6:                              ;   Parent Loop BB108_4 Depth=1
                                        ; =>  This Inner Loop Header: Depth=2
	flat_load_b64 v[14:15], v[5:6]
	v_add_co_u32 v5, vcc_lo, v5, s12
	s_wait_alu 0xfffd
	v_add_co_ci_u32_e64 v6, null, s13, v6, vcc_lo
	s_add_co_i32 s14, s14, -1
	s_delay_alu instid0(SALU_CYCLE_1)
	s_cmp_eq_u32 s14, 0
	s_wait_loadcnt_dscnt 0x0
	ds_store_b64 v7, v[14:15]
	v_add_nc_u32_e32 v7, 0x200, v7
	s_cbranch_scc0 .LBB108_6
; %bb.7:                                ;   in Loop: Header=BB108_4 Depth=1
	v_mov_b32_e32 v5, 0
	v_mov_b32_e32 v6, 0x3ff00000
	s_and_b32 vcc_lo, exec_lo, s31
	s_wait_alu 0xfffe
	s_cbranch_vccz .LBB108_9
; %bb.8:                                ;   in Loop: Header=BB108_4 Depth=1
	ds_load_b64 v[5:6], v13
	s_wait_dscnt 0x0
	v_div_scale_f64 v[7:8], null, v[5:6], v[5:6], 1.0
	s_delay_alu instid0(VALU_DEP_1) | instskip(NEXT) | instid1(TRANS32_DEP_1)
	v_rcp_f64_e32 v[14:15], v[7:8]
	v_fma_f64 v[16:17], -v[7:8], v[14:15], 1.0
	s_delay_alu instid0(VALU_DEP_1) | instskip(NEXT) | instid1(VALU_DEP_1)
	v_fma_f64 v[14:15], v[14:15], v[16:17], v[14:15]
	v_fma_f64 v[16:17], -v[7:8], v[14:15], 1.0
	s_delay_alu instid0(VALU_DEP_1) | instskip(SKIP_1) | instid1(VALU_DEP_1)
	v_fma_f64 v[14:15], v[14:15], v[16:17], v[14:15]
	v_div_scale_f64 v[16:17], vcc_lo, 1.0, v[5:6], 1.0
	v_mul_f64_e32 v[18:19], v[16:17], v[14:15]
	s_delay_alu instid0(VALU_DEP_1) | instskip(SKIP_1) | instid1(VALU_DEP_1)
	v_fma_f64 v[7:8], -v[7:8], v[18:19], v[16:17]
	s_wait_alu 0xfffd
	v_div_fmas_f64 v[7:8], v[7:8], v[14:15], v[18:19]
	s_delay_alu instid0(VALU_DEP_1)
	v_div_fixup_f64 v[5:6], v[7:8], v[5:6], 1.0
.LBB108_9:                              ;   in Loop: Header=BB108_4 Depth=1
	ds_store_b64 v13, v[5:6]
.LBB108_10:                             ;   in Loop: Header=BB108_4 Depth=1
	s_or_b32 exec_lo, exec_lo, s3
	s_mov_b32 s14, -1
	s_or_b32 s37, s37, exec_lo
	s_wait_loadcnt_dscnt 0x0
	s_barrier_signal -1
	s_barrier_wait -1
	global_inv scope:SCOPE_SE
	s_and_saveexec_b32 s3, s1
	s_cbranch_execz .LBB108_3
; %bb.11:                               ;   in Loop: Header=BB108_4 Depth=1
	v_add_co_u32 v5, vcc_lo, v3, s10
	s_wait_alu 0xfffd
	v_add_co_ci_u32_e64 v6, null, s11, v4, vcc_lo
	s_delay_alu instid0(VALU_DEP_2) | instskip(SKIP_1) | instid1(VALU_DEP_2)
	v_add_co_u32 v14, vcc_lo, v5, v1
	s_wait_alu 0xfffd
	v_add_co_ci_u32_e64 v15, null, v6, v2, vcc_lo
	s_and_not1_b32 vcc_lo, exec_lo, s33
	s_wait_alu 0xfffe
	s_cbranch_vccnz .LBB108_33
; %bb.12:                               ;   in Loop: Header=BB108_4 Depth=1
	v_add_co_u32 v16, vcc_lo, v3, v11
	s_wait_alu 0xfffd
	v_add_co_ci_u32_e64 v17, null, v4, v12, vcc_lo
	s_mov_b32 s20, 0
	s_mov_b32 s18, 0
	s_branch .LBB108_14
.LBB108_13:                             ;   in Loop: Header=BB108_14 Depth=2
	s_cmp_lt_i32 s18, s29
	s_cselect_b32 s14, -1, 0
	s_add_co_i32 s19, s20, 1
	s_cmp_lt_u32 s20, 2
	s_cselect_b32 s20, -1, 0
	s_wait_alu 0xfffe
	s_and_b32 s14, s14, s20
	s_mov_b32 s20, s19
	s_and_b32 vcc_lo, exec_lo, s14
	s_wait_alu 0xfffe
	s_cbranch_vccz .LBB108_32
.LBB108_14:                             ;   Parent Loop BB108_4 Depth=1
                                        ; =>  This Loop Header: Depth=2
                                        ;       Child Loop BB108_17 Depth 3
                                        ;         Child Loop BB108_18 Depth 4
                                        ;         Child Loop BB108_21 Depth 4
                                        ;           Child Loop BB108_22 Depth 5
                                        ;         Child Loop BB108_26 Depth 4
                                        ;           Child Loop BB108_28 Depth 5
	s_mov_b32 s21, s15
	s_getpc_b64 s[22:23]
	s_wait_alu 0xfffe
	s_sext_i32_i16 s23, s23
	s_add_co_u32 s22, s22, __const._ZL30rocblas_trsm_small_left_deviceILi64ELi32ELb0EddPKPKdPKPdEv13rocblas_fill_18rocblas_operation_17rocblas_diagonal_iiT3_T4_lilT5_lili.step_sizes@rel32@lo+12
	s_wait_alu 0xfffe
	s_add_co_ci_u32 s23, s23, __const._ZL30rocblas_trsm_small_left_deviceILi64ELi32ELb0EddPKPKdPKPdEv13rocblas_fill_18rocblas_operation_17rocblas_diagonal_iiT3_T4_lilT5_lili.step_sizes@rel32@hi+24
	s_lshl_b64 s[24:25], s[20:21], 2
	s_wait_alu 0xfffe
	s_add_nc_u64 s[22:23], s[22:23], s[24:25]
	s_load_b32 s22, s[22:23], 0x0
	s_wait_kmcnt 0x0
	s_add_co_i32 s21, s22, -1
	s_wait_alu 0xfffe
	s_add_co_i32 s14, s21, s18
	s_delay_alu instid0(SALU_CYCLE_1)
	s_cmp_ge_i32 s14, s29
	s_cbranch_scc1 .LBB108_13
; %bb.15:                               ;   in Loop: Header=BB108_14 Depth=2
	s_ashr_i32 s19, s18, 31
	s_ashr_i32 s23, s22, 31
	s_lshl_b64 s[24:25], s[18:19], 3
	s_max_i32 s38, s22, 1
	s_wait_alu 0xfffe
	v_add_co_u32 v5, vcc_lo, v16, s24
	s_wait_alu 0xfffd
	v_add_co_ci_u32_e64 v6, null, s25, v17, vcc_lo
	s_lshl_b64 s[24:25], s[22:23], 3
	s_lshl_b32 s19, s18, 9
	s_lshl_b32 s23, s22, 9
	s_mul_i32 s39, s18, 0x208
	s_mul_i32 s40, s22, 0x208
	s_branch .LBB108_17
.LBB108_16:                             ;   in Loop: Header=BB108_17 Depth=3
	v_add_co_u32 v5, vcc_lo, v5, s24
	s_add_co_i32 s18, s18, s22
	s_wait_alu 0xfffd
	v_add_co_ci_u32_e64 v6, null, s25, v6, vcc_lo
	s_add_co_i32 s14, s21, s18
	s_add_co_i32 s19, s19, s23
	s_add_co_i32 s39, s39, s40
	s_cmp_ge_i32 s14, s29
	s_cbranch_scc1 .LBB108_13
.LBB108_17:                             ;   Parent Loop BB108_4 Depth=1
                                        ;     Parent Loop BB108_14 Depth=2
                                        ; =>    This Loop Header: Depth=3
                                        ;         Child Loop BB108_18 Depth 4
                                        ;         Child Loop BB108_21 Depth 4
                                        ;           Child Loop BB108_22 Depth 5
                                        ;         Child Loop BB108_26 Depth 4
                                        ;           Child Loop BB108_28 Depth 5
	v_dual_mov_b32 v8, v6 :: v_dual_mov_b32 v7, v5
	s_mov_b32 s14, 0
	s_mov_b32 s26, s38
.LBB108_18:                             ;   Parent Loop BB108_4 Depth=1
                                        ;     Parent Loop BB108_14 Depth=2
                                        ;       Parent Loop BB108_17 Depth=3
                                        ; =>      This Inner Loop Header: Depth=4
	flat_load_b64 v[18:19], v[7:8]
	v_add_co_u32 v7, vcc_lo, v7, 8
	s_wait_alu 0xfffd
	v_add_co_ci_u32_e64 v8, null, 0, v8, vcc_lo
	s_wait_alu 0xfffe
	s_add_co_i32 s26, s26, -1
	s_wait_loadcnt_dscnt 0x0
	v_mul_f64_e32 v[18:19], s[4:5], v[18:19]
	scratch_store_b64 off, v[18:19], s14
	s_add_co_i32 s14, s14, 8
	s_wait_alu 0xfffe
	s_cmp_eq_u32 s26, 0
	s_cbranch_scc0 .LBB108_18
; %bb.19:                               ;   in Loop: Header=BB108_17 Depth=3
	s_cmp_lt_i32 s18, 1
	s_cbranch_scc1 .LBB108_24
; %bb.20:                               ;   in Loop: Header=BB108_17 Depth=3
	s_mov_b32 s14, 0
	s_mov_b32 s26, s19
.LBB108_21:                             ;   Parent Loop BB108_4 Depth=1
                                        ;     Parent Loop BB108_14 Depth=2
                                        ;       Parent Loop BB108_17 Depth=3
                                        ; =>      This Loop Header: Depth=4
                                        ;           Child Loop BB108_22 Depth 5
	s_lshl_b64 s[42:43], s[14:15], 3
	s_mov_b32 s27, 0
	s_wait_alu 0xfffe
	v_add_co_u32 v7, vcc_lo, v14, s42
	s_wait_alu 0xfffd
	v_add_co_ci_u32_e64 v8, null, s43, v15, vcc_lo
	s_mov_b32 s41, s26
	s_mov_b32 s42, s38
	flat_load_b64 v[7:8], v[7:8]
.LBB108_22:                             ;   Parent Loop BB108_4 Depth=1
                                        ;     Parent Loop BB108_14 Depth=2
                                        ;       Parent Loop BB108_17 Depth=3
                                        ;         Parent Loop BB108_21 Depth=4
                                        ; =>        This Inner Loop Header: Depth=5
	scratch_load_b64 v[18:19], off, s27
	s_wait_alu 0xfffe
	v_mov_b32_e32 v20, s41
	s_add_co_i32 s42, s42, -1
	s_addk_co_i32 s41, 0x200
	ds_load_b64 v[20:21], v20
	s_wait_loadcnt_dscnt 0x0
	v_fma_f64 v[18:19], -v[7:8], v[20:21], v[18:19]
	scratch_store_b64 off, v[18:19], s27
	s_add_co_i32 s27, s27, 8
	s_wait_alu 0xfffe
	s_cmp_eq_u32 s42, 0
	s_cbranch_scc0 .LBB108_22
; %bb.23:                               ;   in Loop: Header=BB108_21 Depth=4
	s_add_co_i32 s14, s14, 1
	s_add_co_i32 s26, s26, 8
	s_cmp_eq_u32 s14, s18
	s_cbranch_scc0 .LBB108_21
.LBB108_24:                             ;   in Loop: Header=BB108_17 Depth=3
	s_mov_b32 s14, 0
	s_mov_b32 s41, s39
	s_branch .LBB108_26
.LBB108_25:                             ;   in Loop: Header=BB108_26 Depth=4
	s_wait_alu 0xfffe
	s_mul_i32 s27, s26, 0x208
	s_lshl_b32 s42, s14, 3
	s_wait_alu 0xfffe
	v_mov_b32_e32 v18, s27
	s_ashr_i32 s27, s26, 31
	s_add_co_i32 s14, s14, 1
	s_wait_alu 0xfffe
	s_lshl_b64 s[26:27], s[26:27], 3
	s_addk_co_i32 s41, 0x200
	ds_load_b64 v[18:19], v18
	s_cmp_eq_u32 s14, s38
	s_wait_loadcnt_dscnt 0x0
	v_mul_f64_e32 v[7:8], v[18:19], v[7:8]
	s_wait_alu 0xfffe
	v_add_co_u32 v18, vcc_lo, v14, s26
	s_wait_alu 0xfffd
	v_add_co_ci_u32_e64 v19, null, s27, v15, vcc_lo
	scratch_store_b64 off, v[7:8], s42
	flat_store_b64 v[18:19], v[7:8]
	s_cbranch_scc1 .LBB108_16
.LBB108_26:                             ;   Parent Loop BB108_4 Depth=1
                                        ;     Parent Loop BB108_14 Depth=2
                                        ;       Parent Loop BB108_17 Depth=3
                                        ; =>      This Loop Header: Depth=4
                                        ;           Child Loop BB108_28 Depth 5
	s_cmp_lg_u32 s14, 0
	s_cbranch_scc0 .LBB108_30
; %bb.27:                               ;   in Loop: Header=BB108_26 Depth=4
	s_lshl_b32 s27, s14, 3
	s_add_co_i32 s26, s14, s18
	scratch_load_b64 v[7:8], off, s27
	s_mov_b32 s42, 0
	s_wait_alu 0xfffe
	s_mov_b32 s43, s41
	s_mov_b32 s44, s14
.LBB108_28:                             ;   Parent Loop BB108_4 Depth=1
                                        ;     Parent Loop BB108_14 Depth=2
                                        ;       Parent Loop BB108_17 Depth=3
                                        ;         Parent Loop BB108_26 Depth=4
                                        ; =>        This Inner Loop Header: Depth=5
	scratch_load_b64 v[18:19], off, s42
	s_wait_alu 0xfffe
	v_mov_b32_e32 v20, s43
	s_add_co_i32 s44, s44, -1
	s_add_co_i32 s42, s42, 8
	s_add_co_i32 s43, s43, 8
	s_cmp_eq_u32 s44, 0
	ds_load_b64 v[20:21], v20
	s_wait_loadcnt_dscnt 0x0
	v_fma_f64 v[7:8], -v[18:19], v[20:21], v[7:8]
	scratch_store_b64 off, v[7:8], s27
	s_cbranch_scc0 .LBB108_28
; %bb.29:                               ;   in Loop: Header=BB108_26 Depth=4
	s_branch .LBB108_25
.LBB108_30:                             ;   in Loop: Header=BB108_26 Depth=4
                                        ; implicit-def: $vgpr7_vgpr8
                                        ; implicit-def: $sgpr26
	s_cbranch_execz .LBB108_25
; %bb.31:                               ;   in Loop: Header=BB108_26 Depth=4
	scratch_load_b64 v[7:8], off, off
	s_mov_b32 s26, s18
	s_branch .LBB108_25
.LBB108_32:                             ;   in Loop: Header=BB108_4 Depth=1
	s_mov_b32 s14, 0
.LBB108_33:                             ;   in Loop: Header=BB108_4 Depth=1
	s_delay_alu instid0(SALU_CYCLE_1)
	s_and_b32 vcc_lo, exec_lo, s14
	s_wait_alu 0xfffe
	s_cbranch_vccz .LBB108_2
; %bb.34:                               ;   in Loop: Header=BB108_4 Depth=1
	v_add_co_u32 v5, vcc_lo, v3, v11
	s_wait_alu 0xfffd
	v_add_co_ci_u32_e64 v6, null, v4, v12, vcc_lo
	s_mov_b32 s14, 0
	s_mov_b32 s18, s30
	s_branch .LBB108_36
.LBB108_35:                             ;   in Loop: Header=BB108_36 Depth=2
	s_cmp_gt_i32 s18, -1
	s_cselect_b32 s19, -1, 0
	s_add_co_i32 s20, s14, 1
	s_cmp_lt_u32 s14, 2
	s_cselect_b32 s14, -1, 0
	s_delay_alu instid0(SALU_CYCLE_1) | instskip(NEXT) | instid1(SALU_CYCLE_1)
	s_and_b32 s14, s19, s14
	s_and_not1_b32 vcc_lo, exec_lo, s14
	s_wait_alu 0xfffe
	s_mov_b32 s14, s20
	s_cbranch_vccnz .LBB108_2
.LBB108_36:                             ;   Parent Loop BB108_4 Depth=1
                                        ; =>  This Loop Header: Depth=2
                                        ;       Child Loop BB108_39 Depth 3
                                        ;         Child Loop BB108_40 Depth 4
                                        ;         Child Loop BB108_42 Depth 4
                                        ;           Child Loop BB108_43 Depth 5
                                        ;         Child Loop BB108_47 Depth 4
                                        ;           Child Loop BB108_49 Depth 5
	s_getpc_b64 s[20:21]
	s_wait_alu 0xfffe
	s_sext_i32_i16 s21, s21
	s_add_co_u32 s20, s20, __const._ZL30rocblas_trsm_small_left_deviceILi64ELi32ELb0EddPKPKdPKPdEv13rocblas_fill_18rocblas_operation_17rocblas_diagonal_iiT3_T4_lilT5_lili.step_sizes@rel32@lo+12
	s_wait_alu 0xfffe
	s_add_co_ci_u32 s21, s21, __const._ZL30rocblas_trsm_small_left_deviceILi64ELi32ELb0EddPKPKdPKPdEv13rocblas_fill_18rocblas_operation_17rocblas_diagonal_iiT3_T4_lilT5_lili.step_sizes@rel32@hi+24
	s_lshl_b64 s[22:23], s[14:15], 2
	s_wait_alu 0xfffe
	s_add_nc_u64 s[20:21], s[20:21], s[22:23]
	s_load_b32 s24, s[20:21], 0x0
	s_wait_kmcnt 0x0
	s_add_co_i32 s25, s24, -1
	s_wait_alu 0xfffe
	s_cmp_lt_i32 s18, s25
	s_cbranch_scc1 .LBB108_35
; %bb.37:                               ;   in Loop: Header=BB108_36 Depth=2
	s_lshl_b32 s19, s18, 3
	s_lshl_b32 s20, s24, 3
	s_max_i32 s26, s24, 1
	s_add_co_i32 s27, s34, s19
	s_wait_alu 0xfffe
	s_sub_co_i32 s38, 0, s20
	s_mul_i32 s39, s18, 0x208
	s_mul_i32 s40, s24, 0xfffffdf8
	s_branch .LBB108_39
.LBB108_38:                             ;   in Loop: Header=BB108_39 Depth=3
	s_sub_co_i32 s18, s18, s24
	s_add_co_i32 s27, s27, s38
	s_add_co_i32 s39, s39, s40
	s_cmp_lt_i32 s18, s25
	s_cbranch_scc1 .LBB108_35
.LBB108_39:                             ;   Parent Loop BB108_4 Depth=1
                                        ;     Parent Loop BB108_36 Depth=2
                                        ; =>    This Loop Header: Depth=3
                                        ;         Child Loop BB108_40 Depth 4
                                        ;         Child Loop BB108_42 Depth 4
                                        ;           Child Loop BB108_43 Depth 5
                                        ;         Child Loop BB108_47 Depth 4
                                        ;           Child Loop BB108_49 Depth 5
	s_ashr_i32 s19, s18, 31
	s_delay_alu instid0(SALU_CYCLE_1)
	s_lshl_b64 s[20:21], s[18:19], 3
	s_wait_alu 0xfffe
	v_add_co_u32 v3, vcc_lo, v5, s20
	s_wait_alu 0xfffd
	v_add_co_ci_u32_e64 v4, null, s21, v6, vcc_lo
	s_mov_b32 s20, 0
	s_mov_b32 s21, s26
.LBB108_40:                             ;   Parent Loop BB108_4 Depth=1
                                        ;     Parent Loop BB108_36 Depth=2
                                        ;       Parent Loop BB108_39 Depth=3
                                        ; =>      This Inner Loop Header: Depth=4
	flat_load_b64 v[7:8], v[3:4]
	v_add_co_u32 v3, vcc_lo, v3, -8
	s_wait_alu 0xfffd
	v_add_co_ci_u32_e64 v4, null, -1, v4, vcc_lo
	s_wait_alu 0xfffe
	s_add_co_i32 s21, s21, -1
	s_wait_loadcnt_dscnt 0x0
	v_mul_f64_e32 v[7:8], s[4:5], v[7:8]
	scratch_store_b64 off, v[7:8], s20
	s_add_co_i32 s20, s20, 8
	s_wait_alu 0xfffe
	s_cmp_eq_u32 s21, 0
	s_cbranch_scc0 .LBB108_40
; %bb.41:                               ;   in Loop: Header=BB108_39 Depth=3
	s_cmp_le_i32 s30, s18
	s_mov_b32 s22, s27
	s_mov_b32 s20, s30
	s_cbranch_scc1 .LBB108_45
.LBB108_42:                             ;   Parent Loop BB108_4 Depth=1
                                        ;     Parent Loop BB108_36 Depth=2
                                        ;       Parent Loop BB108_39 Depth=3
                                        ; =>      This Loop Header: Depth=4
                                        ;           Child Loop BB108_43 Depth 5
	s_wait_alu 0xfffe
	s_ashr_i32 s21, s20, 31
	s_mov_b32 s23, s22
	s_wait_alu 0xfffe
	s_lshl_b64 s[42:43], s[20:21], 3
	s_mov_b32 s21, 0
	s_wait_alu 0xfffe
	v_add_co_u32 v3, vcc_lo, v14, s42
	s_wait_alu 0xfffd
	v_add_co_ci_u32_e64 v4, null, s43, v15, vcc_lo
	s_mov_b32 s41, s26
	flat_load_b64 v[3:4], v[3:4]
.LBB108_43:                             ;   Parent Loop BB108_4 Depth=1
                                        ;     Parent Loop BB108_36 Depth=2
                                        ;       Parent Loop BB108_39 Depth=3
                                        ;         Parent Loop BB108_42 Depth=4
                                        ; =>        This Inner Loop Header: Depth=5
	scratch_load_b64 v[7:8], off, s21
	v_mov_b32_e32 v16, s23
	s_wait_alu 0xfffe
	s_add_co_i32 s41, s41, -1
	s_add_co_i32 s23, s23, -8
	ds_load_b64 v[16:17], v16
	s_wait_loadcnt_dscnt 0x0
	v_fma_f64 v[7:8], -v[3:4], v[16:17], v[7:8]
	scratch_store_b64 off, v[7:8], s21
	s_add_co_i32 s21, s21, 8
	s_wait_alu 0xfffe
	s_cmp_eq_u32 s41, 0
	s_cbranch_scc0 .LBB108_43
; %bb.44:                               ;   in Loop: Header=BB108_42 Depth=4
	s_add_co_i32 s20, s20, -1
	s_addk_co_i32 s22, 0xfe00
	s_wait_alu 0xfffe
	s_cmp_le_i32 s20, s18
	s_cbranch_scc0 .LBB108_42
.LBB108_45:                             ;   in Loop: Header=BB108_39 Depth=3
	s_mov_b32 s41, 0
	s_mov_b32 s42, s39
	s_branch .LBB108_47
.LBB108_46:                             ;   in Loop: Header=BB108_47 Depth=4
	s_wait_alu 0xfffe
	s_mulk_i32 s22, 0x208
	s_lshl_b64 s[20:21], s[20:21], 3
	s_wait_alu 0xfffe
	v_mov_b32_e32 v7, s22
	s_lshl_b32 s22, s41, 3
	s_add_co_i32 s41, s41, 1
	s_add_co_i32 s42, s42, -8
	s_wait_alu 0xfffe
	s_cmp_eq_u32 s41, s26
	ds_load_b64 v[7:8], v7
	s_wait_loadcnt_dscnt 0x0
	v_mul_f64_e32 v[3:4], v[7:8], v[3:4]
	v_add_co_u32 v7, vcc_lo, v14, s20
	s_wait_alu 0xfffd
	v_add_co_ci_u32_e64 v8, null, s21, v15, vcc_lo
	scratch_store_b64 off, v[3:4], s22
	flat_store_b64 v[7:8], v[3:4]
	s_cbranch_scc1 .LBB108_38
.LBB108_47:                             ;   Parent Loop BB108_4 Depth=1
                                        ;     Parent Loop BB108_36 Depth=2
                                        ;       Parent Loop BB108_39 Depth=3
                                        ; =>      This Loop Header: Depth=4
                                        ;           Child Loop BB108_49 Depth 5
	s_wait_alu 0xfffe
	s_cmp_lg_u32 s41, 0
	s_cbranch_scc0 .LBB108_51
; %bb.48:                               ;   in Loop: Header=BB108_47 Depth=4
	s_lshl_b32 s20, s41, 3
	s_mov_b32 s21, 0
	scratch_load_b64 v[3:4], off, s20
	s_mov_b32 s22, s42
	s_mov_b32 s23, s41
.LBB108_49:                             ;   Parent Loop BB108_4 Depth=1
                                        ;     Parent Loop BB108_36 Depth=2
                                        ;       Parent Loop BB108_39 Depth=3
                                        ;         Parent Loop BB108_47 Depth=4
                                        ; =>        This Inner Loop Header: Depth=5
	scratch_load_b64 v[7:8], off, s21
	s_wait_alu 0xfffe
	v_mov_b32_e32 v16, s22
	s_add_co_i32 s23, s23, -1
	s_addk_co_i32 s22, 0xfe00
	s_add_co_i32 s21, s21, 8
	s_wait_alu 0xfffe
	s_cmp_eq_u32 s23, 0
	ds_load_b64 v[16:17], v16
	s_wait_loadcnt_dscnt 0x0
	v_fma_f64 v[3:4], -v[7:8], v[16:17], v[3:4]
	scratch_store_b64 off, v[3:4], s20
	s_cbranch_scc0 .LBB108_49
; %bb.50:                               ;   in Loop: Header=BB108_47 Depth=4
	s_sub_co_i32 s22, s18, s41
	s_wait_alu 0xfffe
	s_ashr_i32 s23, s22, 31
	s_wait_alu 0xfffe
	s_mov_b64 s[20:21], s[22:23]
	s_branch .LBB108_46
.LBB108_51:                             ;   in Loop: Header=BB108_47 Depth=4
                                        ; implicit-def: $vgpr3_vgpr4
                                        ; implicit-def: $sgpr22
                                        ; implicit-def: $sgpr20_sgpr21
	s_cbranch_execz .LBB108_46
; %bb.52:                               ;   in Loop: Header=BB108_47 Depth=4
	scratch_load_b64 v[3:4], off, off
	s_mov_b64 s[20:21], s[18:19]
	s_mov_b32 s22, s18
	s_branch .LBB108_46
.LBB108_53:
	s_or_b32 exec_lo, exec_lo, s35
	s_and_saveexec_b32 s0, s36
	s_wait_alu 0xfffe
	s_xor_b32 s0, exec_lo, s0
.LBB108_54:
	s_endpgm
	.section	.rodata,"a",@progbits
	.p2align	6, 0x0
	.amdhsa_kernel _ZL30rocblas_trsm_small_left_deviceILi64ELi32ELb0EddPKPKdPKPdEv13rocblas_fill_18rocblas_operation_17rocblas_diagonal_iiT3_T4_lilT5_lili
		.amdhsa_group_segment_fixed_size 32768
		.amdhsa_private_segment_fixed_size 272
		.amdhsa_kernarg_size 360
		.amdhsa_user_sgpr_count 2
		.amdhsa_user_sgpr_dispatch_ptr 0
		.amdhsa_user_sgpr_queue_ptr 0
		.amdhsa_user_sgpr_kernarg_segment_ptr 1
		.amdhsa_user_sgpr_dispatch_id 0
		.amdhsa_user_sgpr_private_segment_size 0
		.amdhsa_wavefront_size32 1
		.amdhsa_uses_dynamic_stack 0
		.amdhsa_enable_private_segment 1
		.amdhsa_system_sgpr_workgroup_id_x 1
		.amdhsa_system_sgpr_workgroup_id_y 0
		.amdhsa_system_sgpr_workgroup_id_z 1
		.amdhsa_system_sgpr_workgroup_info 0
		.amdhsa_system_vgpr_workitem_id 0
		.amdhsa_next_free_vgpr 241
		.amdhsa_next_free_sgpr 45
		.amdhsa_reserve_vcc 1
		.amdhsa_float_round_mode_32 0
		.amdhsa_float_round_mode_16_64 0
		.amdhsa_float_denorm_mode_32 3
		.amdhsa_float_denorm_mode_16_64 3
		.amdhsa_fp16_overflow 0
		.amdhsa_workgroup_processor_mode 1
		.amdhsa_memory_ordered 1
		.amdhsa_forward_progress 1
		.amdhsa_inst_pref_size 19
		.amdhsa_round_robin_scheduling 0
		.amdhsa_exception_fp_ieee_invalid_op 0
		.amdhsa_exception_fp_denorm_src 0
		.amdhsa_exception_fp_ieee_div_zero 0
		.amdhsa_exception_fp_ieee_overflow 0
		.amdhsa_exception_fp_ieee_underflow 0
		.amdhsa_exception_fp_ieee_inexact 0
		.amdhsa_exception_int_div_zero 0
	.end_amdhsa_kernel
	.section	.text._ZL30rocblas_trsm_small_left_deviceILi64ELi32ELb0EddPKPKdPKPdEv13rocblas_fill_18rocblas_operation_17rocblas_diagonal_iiT3_T4_lilT5_lili,"axG",@progbits,_ZL30rocblas_trsm_small_left_deviceILi64ELi32ELb0EddPKPKdPKPdEv13rocblas_fill_18rocblas_operation_17rocblas_diagonal_iiT3_T4_lilT5_lili,comdat
.Lfunc_end108:
	.size	_ZL30rocblas_trsm_small_left_deviceILi64ELi32ELb0EddPKPKdPKPdEv13rocblas_fill_18rocblas_operation_17rocblas_diagonal_iiT3_T4_lilT5_lili, .Lfunc_end108-_ZL30rocblas_trsm_small_left_deviceILi64ELi32ELb0EddPKPKdPKPdEv13rocblas_fill_18rocblas_operation_17rocblas_diagonal_iiT3_T4_lilT5_lili
                                        ; -- End function
	.set _ZL30rocblas_trsm_small_left_deviceILi64ELi32ELb0EddPKPKdPKPdEv13rocblas_fill_18rocblas_operation_17rocblas_diagonal_iiT3_T4_lilT5_lili.num_vgpr, 22
	.set _ZL30rocblas_trsm_small_left_deviceILi64ELi32ELb0EddPKPKdPKPdEv13rocblas_fill_18rocblas_operation_17rocblas_diagonal_iiT3_T4_lilT5_lili.num_agpr, 0
	.set _ZL30rocblas_trsm_small_left_deviceILi64ELi32ELb0EddPKPKdPKPdEv13rocblas_fill_18rocblas_operation_17rocblas_diagonal_iiT3_T4_lilT5_lili.numbered_sgpr, 45
	.set _ZL30rocblas_trsm_small_left_deviceILi64ELi32ELb0EddPKPKdPKPdEv13rocblas_fill_18rocblas_operation_17rocblas_diagonal_iiT3_T4_lilT5_lili.num_named_barrier, 0
	.set _ZL30rocblas_trsm_small_left_deviceILi64ELi32ELb0EddPKPKdPKPdEv13rocblas_fill_18rocblas_operation_17rocblas_diagonal_iiT3_T4_lilT5_lili.private_seg_size, 272
	.set _ZL30rocblas_trsm_small_left_deviceILi64ELi32ELb0EddPKPKdPKPdEv13rocblas_fill_18rocblas_operation_17rocblas_diagonal_iiT3_T4_lilT5_lili.uses_vcc, 1
	.set _ZL30rocblas_trsm_small_left_deviceILi64ELi32ELb0EddPKPKdPKPdEv13rocblas_fill_18rocblas_operation_17rocblas_diagonal_iiT3_T4_lilT5_lili.uses_flat_scratch, 0
	.set _ZL30rocblas_trsm_small_left_deviceILi64ELi32ELb0EddPKPKdPKPdEv13rocblas_fill_18rocblas_operation_17rocblas_diagonal_iiT3_T4_lilT5_lili.has_dyn_sized_stack, 0
	.set _ZL30rocblas_trsm_small_left_deviceILi64ELi32ELb0EddPKPKdPKPdEv13rocblas_fill_18rocblas_operation_17rocblas_diagonal_iiT3_T4_lilT5_lili.has_recursion, 0
	.set _ZL30rocblas_trsm_small_left_deviceILi64ELi32ELb0EddPKPKdPKPdEv13rocblas_fill_18rocblas_operation_17rocblas_diagonal_iiT3_T4_lilT5_lili.has_indirect_call, 0
	.section	.AMDGPU.csdata,"",@progbits
; Kernel info:
; codeLenInByte = 2376
; TotalNumSgprs: 47
; NumVgprs: 22
; ScratchSize: 272
; MemoryBound: 0
; FloatMode: 240
; IeeeMode: 1
; LDSByteSize: 32768 bytes/workgroup (compile time only)
; SGPRBlocks: 0
; VGPRBlocks: 30
; NumSGPRsForWavesPerEU: 47
; NumVGPRsForWavesPerEU: 241
; Occupancy: 2
; WaveLimiterHint : 1
; COMPUTE_PGM_RSRC2:SCRATCH_EN: 1
; COMPUTE_PGM_RSRC2:USER_SGPR: 2
; COMPUTE_PGM_RSRC2:TRAP_HANDLER: 0
; COMPUTE_PGM_RSRC2:TGID_X_EN: 1
; COMPUTE_PGM_RSRC2:TGID_Y_EN: 0
; COMPUTE_PGM_RSRC2:TGID_Z_EN: 1
; COMPUTE_PGM_RSRC2:TIDIG_COMP_CNT: 0
	.section	.text._ZL38rocblas_trsm_small_left_device_sharedBILi64ELi32ELb1EddPKPKdPKPdEv13rocblas_fill_18rocblas_operation_17rocblas_diagonal_iiT3_T4_lilT5_lili,"axG",@progbits,_ZL38rocblas_trsm_small_left_device_sharedBILi64ELi32ELb1EddPKPKdPKPdEv13rocblas_fill_18rocblas_operation_17rocblas_diagonal_iiT3_T4_lilT5_lili,comdat
	.globl	_ZL38rocblas_trsm_small_left_device_sharedBILi64ELi32ELb1EddPKPKdPKPdEv13rocblas_fill_18rocblas_operation_17rocblas_diagonal_iiT3_T4_lilT5_lili ; -- Begin function _ZL38rocblas_trsm_small_left_device_sharedBILi64ELi32ELb1EddPKPKdPKPdEv13rocblas_fill_18rocblas_operation_17rocblas_diagonal_iiT3_T4_lilT5_lili
	.p2align	8
	.type	_ZL38rocblas_trsm_small_left_device_sharedBILi64ELi32ELb1EddPKPKdPKPdEv13rocblas_fill_18rocblas_operation_17rocblas_diagonal_iiT3_T4_lilT5_lili,@function
_ZL38rocblas_trsm_small_left_device_sharedBILi64ELi32ELb1EddPKPKdPKPdEv13rocblas_fill_18rocblas_operation_17rocblas_diagonal_iiT3_T4_lilT5_lili: ; @_ZL38rocblas_trsm_small_left_device_sharedBILi64ELi32ELb1EddPKPKdPKPdEv13rocblas_fill_18rocblas_operation_17rocblas_diagonal_iiT3_T4_lilT5_lili
; %bb.0:
	s_load_b32 s22, s[0:1], 0x60
	s_lshr_b32 s2, ttmp7, 16
	s_wait_kmcnt 0x0
	s_cmp_ge_u32 s2, s22
	s_cbranch_scc1 .LBB109_57
; %bb.1:
	s_clause 0x5
	s_load_b96 s[16:18], s[0:1], 0x28
	s_load_b32 s20, s[0:1], 0x50
	s_load_b128 s[12:15], s[0:1], 0x4
	s_load_b32 s3, s[0:1], 0x68
	s_load_b128 s[4:7], s[0:1], 0x18
	s_load_b128 s[8:11], s[0:1], 0x40
	s_lshl_b32 s26, ttmp9, 6
	v_dual_mov_b32 v7, 0 :: v_dual_lshlrev_b32 v6, 3, v0
	v_lshlrev_b32_e32 v3, 9, v0
	v_lshlrev_b32_e32 v9, 3, v0
	s_mov_b32 s19, 0
	s_delay_alu instid0(VALU_DEP_3) | instskip(NEXT) | instid1(VALU_DEP_3)
	v_or_b32_e32 v8, 0x8000, v6
	v_add_nc_u32_e32 v10, v6, v3
	s_wait_kmcnt 0x0
	s_ashr_i32 s29, s18, 31
	s_ashr_i32 s21, s20, 31
	s_min_i32 s1, s14, 64
	s_add_co_i32 s3, s3, -1
	s_sub_co_i32 s0, s15, s26
	s_add_co_i32 s23, s1, -1
	v_mad_co_i64_i32 v[1:2], null, s20, v0, 0
	s_cmp_ge_u32 ttmp9, s3
	s_mov_b32 s28, s18
	s_cselect_b32 s3, s0, 64
	s_ashr_i32 s27, s26, 31
	s_cmp_lg_u32 s13, 0x84
	v_cmp_gt_i32_e32 vcc_lo, s3, v0
	s_cselect_b32 s24, -1, 0
	s_cmp_gt_i32 s14, 0
	v_cmp_gt_i32_e64 s0, s1, v0
	s_cselect_b32 s3, -1, 0
	s_cmp_lg_u32 s12, 0x6f
	v_lshlrev_b64_e32 v[0:1], 3, v[1:2]
	s_mul_u64 s[20:21], s[20:21], s[26:27]
	s_cselect_b32 s25, -1, 0
	s_lshl_b32 s27, s1, 3
	s_wait_alu 0xfffe
	s_and_b32 s26, vcc_lo, s3
	s_lshl_b64 s[12:13], s[28:29], 3
	s_add_co_i32 s27, s27, -8
	s_lshl_b64 s[14:15], s[16:17], 3
	s_lshl_b64 s[10:11], s[10:11], 3
	;; [unrolled: 1-line block ×3, first 2 shown]
	s_branch .LBB109_3
.LBB109_2:                              ;   in Loop: Header=BB109_3 Depth=1
	s_wait_alu 0xfffe
	s_or_b32 exec_lo, exec_lo, s3
	s_add_co_i32 s2, s2, 0x10000
	s_wait_alu 0xfffe
	s_cmp_lt_u32 s2, s22
	s_cbranch_scc0 .LBB109_57
.LBB109_3:                              ; =>This Loop Header: Depth=1
                                        ;     Child Loop BB109_5 Depth 2
                                        ;     Child Loop BB109_11 Depth 2
	;; [unrolled: 1-line block ×3, first 2 shown]
                                        ;       Child Loop BB109_18 Depth 3
                                        ;         Child Loop BB109_19 Depth 4
                                        ;         Child Loop BB109_21 Depth 4
                                        ;           Child Loop BB109_22 Depth 5
                                        ;         Child Loop BB109_26 Depth 4
                                        ;           Child Loop BB109_28 Depth 5
                                        ;     Child Loop BB109_36 Depth 2
                                        ;       Child Loop BB109_39 Depth 3
                                        ;         Child Loop BB109_40 Depth 4
                                        ;         Child Loop BB109_43 Depth 4
                                        ;           Child Loop BB109_44 Depth 5
                                        ;         Child Loop BB109_48 Depth 4
                                        ;           Child Loop BB109_50 Depth 5
                                        ;     Child Loop BB109_56 Depth 2
	s_mov_b32 s3, s19
	s_wait_alu 0xfffe
	s_lshl_b64 s[20:21], s[2:3], 3
	s_wait_alu 0xfffe
	s_add_nc_u64 s[28:29], s[8:9], s[20:21]
	global_load_b64 v[2:3], v7, s[28:29]
	s_and_saveexec_b32 s3, s0
	s_cbranch_execz .LBB109_9
; %bb.4:                                ;   in Loop: Header=BB109_3 Depth=1
	s_add_nc_u64 s[20:21], s[6:7], s[20:21]
	v_mov_b32_e32 v11, v6
	global_load_b64 v[4:5], v7, s[20:21]
	s_mov_b32 s18, s1
	s_wait_loadcnt 0x0
	v_add_co_u32 v4, vcc_lo, v4, s14
	s_wait_alu 0xfffd
	v_add_co_ci_u32_e64 v5, null, s15, v5, vcc_lo
	s_delay_alu instid0(VALU_DEP_2) | instskip(SKIP_1) | instid1(VALU_DEP_2)
	v_add_co_u32 v4, vcc_lo, v4, v9
	s_wait_alu 0xfffd
	v_add_co_ci_u32_e64 v5, null, 0, v5, vcc_lo
.LBB109_5:                              ;   Parent Loop BB109_3 Depth=1
                                        ; =>  This Inner Loop Header: Depth=2
	flat_load_b64 v[12:13], v[4:5]
	v_add_co_u32 v4, vcc_lo, v4, s12
	s_wait_alu 0xfffd
	v_add_co_ci_u32_e64 v5, null, s13, v5, vcc_lo
	s_add_co_i32 s18, s18, -1
	s_delay_alu instid0(SALU_CYCLE_1)
	s_cmp_eq_u32 s18, 0
	s_wait_loadcnt_dscnt 0x0
	ds_store_b64 v11, v[12:13]
	v_add_nc_u32_e32 v11, 0x200, v11
	s_cbranch_scc0 .LBB109_5
; %bb.6:                                ;   in Loop: Header=BB109_3 Depth=1
	v_mov_b32_e32 v4, 0
	v_mov_b32_e32 v5, 0x3ff00000
	s_and_b32 vcc_lo, exec_lo, s24
	s_wait_alu 0xfffe
	s_cbranch_vccz .LBB109_8
; %bb.7:                                ;   in Loop: Header=BB109_3 Depth=1
	ds_load_b64 v[4:5], v10
	s_wait_dscnt 0x0
	v_div_scale_f64 v[11:12], null, v[4:5], v[4:5], 1.0
	s_delay_alu instid0(VALU_DEP_1) | instskip(NEXT) | instid1(TRANS32_DEP_1)
	v_rcp_f64_e32 v[13:14], v[11:12]
	v_fma_f64 v[15:16], -v[11:12], v[13:14], 1.0
	s_delay_alu instid0(VALU_DEP_1) | instskip(NEXT) | instid1(VALU_DEP_1)
	v_fma_f64 v[13:14], v[13:14], v[15:16], v[13:14]
	v_fma_f64 v[15:16], -v[11:12], v[13:14], 1.0
	s_delay_alu instid0(VALU_DEP_1) | instskip(SKIP_1) | instid1(VALU_DEP_1)
	v_fma_f64 v[13:14], v[13:14], v[15:16], v[13:14]
	v_div_scale_f64 v[15:16], vcc_lo, 1.0, v[4:5], 1.0
	v_mul_f64_e32 v[17:18], v[15:16], v[13:14]
	s_delay_alu instid0(VALU_DEP_1) | instskip(SKIP_1) | instid1(VALU_DEP_1)
	v_fma_f64 v[11:12], -v[11:12], v[17:18], v[15:16]
	s_wait_alu 0xfffd
	v_div_fmas_f64 v[11:12], v[11:12], v[13:14], v[17:18]
	s_delay_alu instid0(VALU_DEP_1)
	v_div_fixup_f64 v[4:5], v[11:12], v[4:5], 1.0
.LBB109_8:                              ;   in Loop: Header=BB109_3 Depth=1
	ds_store_b64 v10, v[4:5]
.LBB109_9:                              ;   in Loop: Header=BB109_3 Depth=1
	s_wait_alu 0xfffe
	s_or_b32 exec_lo, exec_lo, s3
	s_wait_loadcnt 0x0
	v_add_co_u32 v2, vcc_lo, v2, s10
	s_wait_alu 0xfffd
	v_add_co_ci_u32_e64 v3, null, s11, v3, vcc_lo
	s_delay_alu instid0(VALU_DEP_2) | instskip(SKIP_1) | instid1(VALU_DEP_2)
	v_add_co_u32 v4, vcc_lo, v2, s16
	s_wait_alu 0xfffd
	v_add_co_ci_u32_e64 v5, null, s17, v3, vcc_lo
	s_and_saveexec_b32 s3, s26
	s_cbranch_execz .LBB109_12
; %bb.10:                               ;   in Loop: Header=BB109_3 Depth=1
	v_add_co_u32 v2, vcc_lo, v4, v0
	s_wait_alu 0xfffd
	v_add_co_ci_u32_e64 v3, null, v5, v1, vcc_lo
	v_mov_b32_e32 v11, v8
	s_mov_b32 s18, s1
.LBB109_11:                             ;   Parent Loop BB109_3 Depth=1
                                        ; =>  This Inner Loop Header: Depth=2
	flat_load_b64 v[12:13], v[2:3]
	v_add_co_u32 v2, vcc_lo, v2, 8
	s_wait_alu 0xfffd
	v_add_co_ci_u32_e64 v3, null, 0, v3, vcc_lo
	s_add_co_i32 s18, s18, -1
	s_delay_alu instid0(SALU_CYCLE_1)
	s_cmp_lg_u32 s18, 0
	s_wait_loadcnt_dscnt 0x0
	v_mul_f64_e32 v[12:13], s[4:5], v[12:13]
	ds_store_b64 v11, v[12:13]
	v_add_nc_u32_e32 v11, 0x200, v11
	s_cbranch_scc1 .LBB109_11
.LBB109_12:                             ;   in Loop: Header=BB109_3 Depth=1
	s_wait_alu 0xfffe
	s_or_b32 exec_lo, exec_lo, s3
	s_delay_alu instid0(SALU_CYCLE_1)
	s_and_not1_b32 vcc_lo, exec_lo, s25
	s_mov_b32 s3, -1
	s_wait_dscnt 0x0
	s_barrier_signal -1
	s_barrier_wait -1
	global_inv scope:SCOPE_SE
	s_wait_alu 0xfffe
	s_cbranch_vccnz .LBB109_33
; %bb.13:                               ;   in Loop: Header=BB109_3 Depth=1
	s_mov_b32 s18, 0
	s_mov_b32 s3, s23
	s_branch .LBB109_15
.LBB109_14:                             ;   in Loop: Header=BB109_15 Depth=2
	s_cmp_gt_i32 s3, -1
	s_cselect_b32 s20, -1, 0
	s_add_co_i32 s21, s18, 1
	s_cmp_lt_u32 s18, 2
	s_cselect_b32 s18, -1, 0
	s_wait_alu 0xfffe
	s_and_b32 s18, s20, s18
	s_delay_alu instid0(SALU_CYCLE_1)
	s_and_b32 vcc_lo, exec_lo, s18
	s_mov_b32 s18, s21
	s_wait_alu 0xfffe
	s_cbranch_vccz .LBB109_32
.LBB109_15:                             ;   Parent Loop BB109_3 Depth=1
                                        ; =>  This Loop Header: Depth=2
                                        ;       Child Loop BB109_18 Depth 3
                                        ;         Child Loop BB109_19 Depth 4
                                        ;         Child Loop BB109_21 Depth 4
                                        ;           Child Loop BB109_22 Depth 5
                                        ;         Child Loop BB109_26 Depth 4
                                        ;           Child Loop BB109_28 Depth 5
	s_getpc_b64 s[20:21]
	s_wait_alu 0xfffe
	s_sext_i32_i16 s21, s21
	s_add_co_u32 s20, s20, __const._ZL38rocblas_trsm_small_left_device_sharedBILi64ELi32ELb1EddPKPKdPKPdEv13rocblas_fill_18rocblas_operation_17rocblas_diagonal_iiT3_T4_lilT5_lili.step_sizes@rel32@lo+12
	s_wait_alu 0xfffe
	s_add_co_ci_u32 s21, s21, __const._ZL38rocblas_trsm_small_left_device_sharedBILi64ELi32ELb1EddPKPKdPKPdEv13rocblas_fill_18rocblas_operation_17rocblas_diagonal_iiT3_T4_lilT5_lili.step_sizes@rel32@hi+24
	s_lshl_b64 s[28:29], s[18:19], 2
	s_wait_alu 0xfffe
	s_add_nc_u64 s[20:21], s[20:21], s[28:29]
	s_load_b32 s20, s[20:21], 0x0
	s_wait_kmcnt 0x0
	s_add_co_i32 s21, s20, -1
	s_wait_alu 0xfffe
	s_cmp_lt_i32 s3, s21
	s_cbranch_scc1 .LBB109_14
; %bb.16:                               ;   in Loop: Header=BB109_15 Depth=2
	s_lshl_b32 s30, s3, 9
	s_lshl_b32 s29, s20, 9
	s_wait_alu 0xfffe
	v_add_nc_u32_e32 v11, s30, v8
	s_max_i32 s28, s20, 1
	s_sub_co_i32 s29, 0, s29
	s_add_co_i32 s30, s27, s30
	s_mul_i32 s31, s3, 0x208
	s_mul_i32 s33, s20, 0xfffffdf8
	s_branch .LBB109_18
.LBB109_17:                             ;   in Loop: Header=BB109_18 Depth=3
	v_add_nc_u32_e32 v11, s29, v11
	s_sub_co_i32 s3, s3, s20
	s_add_co_i32 s30, s30, s29
	s_add_co_i32 s31, s31, s33
	s_wait_alu 0xfffe
	s_cmp_lt_i32 s3, s21
	s_cbranch_scc1 .LBB109_14
.LBB109_18:                             ;   Parent Loop BB109_3 Depth=1
                                        ;     Parent Loop BB109_15 Depth=2
                                        ; =>    This Loop Header: Depth=3
                                        ;         Child Loop BB109_19 Depth 4
                                        ;         Child Loop BB109_21 Depth 4
                                        ;           Child Loop BB109_22 Depth 5
                                        ;         Child Loop BB109_26 Depth 4
                                        ;           Child Loop BB109_28 Depth 5
	v_mov_b32_e32 v2, v11
	s_mov_b32 s34, 0
	s_wait_alu 0xfffe
	s_mov_b32 s35, s28
.LBB109_19:                             ;   Parent Loop BB109_3 Depth=1
                                        ;     Parent Loop BB109_15 Depth=2
                                        ;       Parent Loop BB109_18 Depth=3
                                        ; =>      This Inner Loop Header: Depth=4
	ds_load_b64 v[12:13], v2
	v_add_nc_u32_e32 v2, 0xfffffe00, v2
	s_wait_alu 0xfffe
	s_add_co_i32 s35, s35, -1
	s_wait_dscnt 0x0
	scratch_store_b64 off, v[12:13], s34
	s_add_co_i32 s34, s34, 8
	s_wait_alu 0xfffe
	s_cmp_eq_u32 s35, 0
	s_cbranch_scc0 .LBB109_19
; %bb.20:                               ;   in Loop: Header=BB109_18 Depth=3
	s_cmp_le_i32 s23, s3
	s_mov_b32 s34, s30
	s_mov_b32 s35, s23
	s_cbranch_scc1 .LBB109_24
.LBB109_21:                             ;   Parent Loop BB109_3 Depth=1
                                        ;     Parent Loop BB109_15 Depth=2
                                        ;       Parent Loop BB109_18 Depth=3
                                        ; =>      This Loop Header: Depth=4
                                        ;           Child Loop BB109_22 Depth 5
	s_wait_alu 0xfffe
	v_lshl_add_u32 v2, s35, 9, v8
	s_mov_b32 s36, 0
	s_mov_b32 s37, s34
	;; [unrolled: 1-line block ×3, first 2 shown]
	ds_load_b64 v[2:3], v2
.LBB109_22:                             ;   Parent Loop BB109_3 Depth=1
                                        ;     Parent Loop BB109_15 Depth=2
                                        ;       Parent Loop BB109_18 Depth=3
                                        ;         Parent Loop BB109_21 Depth=4
                                        ; =>        This Inner Loop Header: Depth=5
	scratch_load_b64 v[12:13], off, s36
	s_wait_alu 0xfffe
	v_mov_b32_e32 v14, s37
	s_add_co_i32 s38, s38, -1
	s_addk_co_i32 s37, 0xfe00
	ds_load_b64 v[14:15], v14
	s_wait_loadcnt_dscnt 0x0
	v_fma_f64 v[12:13], -v[2:3], v[14:15], v[12:13]
	scratch_store_b64 off, v[12:13], s36
	s_add_co_i32 s36, s36, 8
	s_wait_alu 0xfffe
	s_cmp_eq_u32 s38, 0
	s_cbranch_scc0 .LBB109_22
; %bb.23:                               ;   in Loop: Header=BB109_21 Depth=4
	s_add_co_i32 s35, s35, -1
	s_add_co_i32 s34, s34, -8
	s_wait_alu 0xfffe
	s_cmp_le_i32 s35, s3
	s_cbranch_scc0 .LBB109_21
.LBB109_24:                             ;   in Loop: Header=BB109_18 Depth=3
	s_lshl_b32 s34, s3, 9
	s_mov_b32 s35, 0
	s_mov_b32 s36, s31
	s_branch .LBB109_26
.LBB109_25:                             ;   in Loop: Header=BB109_26 Depth=4
	s_wait_alu 0xfffe
	s_mulk_i32 s38, 0x208
	s_addk_co_i32 s36, 0xfe00
	s_wait_alu 0xfffe
	v_mov_b32_e32 v12, s38
	s_lshl_b32 s38, s35, 3
	s_add_co_i32 s35, s35, 1
	s_wait_alu 0xfffe
	s_cmp_eq_u32 s35, s28
	ds_load_b64 v[12:13], v12
	s_wait_loadcnt_dscnt 0x0
	v_mul_f64_e32 v[2:3], v[12:13], v[2:3]
	v_add_nc_u32_e32 v12, s37, v8
	scratch_store_b64 off, v[2:3], s38
	ds_store_b64 v12, v[2:3]
	s_cbranch_scc1 .LBB109_17
.LBB109_26:                             ;   Parent Loop BB109_3 Depth=1
                                        ;     Parent Loop BB109_15 Depth=2
                                        ;       Parent Loop BB109_18 Depth=3
                                        ; =>      This Loop Header: Depth=4
                                        ;           Child Loop BB109_28 Depth 5
	s_wait_alu 0xfffe
	s_cmp_lg_u32 s35, 0
	s_cbranch_scc0 .LBB109_30
; %bb.27:                               ;   in Loop: Header=BB109_26 Depth=4
	s_lshl_b32 s39, s35, 3
	s_sub_co_i32 s38, s3, s35
	scratch_load_b64 v[2:3], off, s39
	s_wait_alu 0xfffe
	s_lshl_b32 s37, s38, 9
	s_mov_b32 s40, 0
	s_mov_b32 s41, s36
	s_mov_b32 s42, s35
.LBB109_28:                             ;   Parent Loop BB109_3 Depth=1
                                        ;     Parent Loop BB109_15 Depth=2
                                        ;       Parent Loop BB109_18 Depth=3
                                        ;         Parent Loop BB109_26 Depth=4
                                        ; =>        This Inner Loop Header: Depth=5
	scratch_load_b64 v[12:13], off, s40
	s_wait_alu 0xfffe
	v_mov_b32_e32 v14, s41
	s_add_co_i32 s42, s42, -1
	s_add_co_i32 s41, s41, -8
	s_add_co_i32 s40, s40, 8
	s_cmp_eq_u32 s42, 0
	ds_load_b64 v[14:15], v14
	s_wait_loadcnt_dscnt 0x0
	v_fma_f64 v[2:3], -v[12:13], v[14:15], v[2:3]
	scratch_store_b64 off, v[2:3], s39
	s_cbranch_scc0 .LBB109_28
; %bb.29:                               ;   in Loop: Header=BB109_26 Depth=4
	s_branch .LBB109_25
.LBB109_30:                             ;   in Loop: Header=BB109_26 Depth=4
                                        ; implicit-def: $vgpr2_vgpr3
                                        ; implicit-def: $sgpr38
                                        ; implicit-def: $sgpr37
	s_cbranch_execz .LBB109_25
; %bb.31:                               ;   in Loop: Header=BB109_26 Depth=4
	scratch_load_b64 v[2:3], off, off
	s_mov_b32 s37, s34
	s_mov_b32 s38, s3
	s_branch .LBB109_25
.LBB109_32:                             ;   in Loop: Header=BB109_3 Depth=1
	s_mov_b32 s3, 0
.LBB109_33:                             ;   in Loop: Header=BB109_3 Depth=1
	s_wait_alu 0xfffe
	s_and_b32 vcc_lo, exec_lo, s3
	s_wait_alu 0xfffe
	s_cbranch_vccz .LBB109_54
; %bb.34:                               ;   in Loop: Header=BB109_3 Depth=1
	s_mov_b32 s3, 0
	s_wait_alu 0xfffe
	s_mov_b32 s18, s3
	s_branch .LBB109_36
.LBB109_35:                             ;   in Loop: Header=BB109_36 Depth=2
	s_cmp_lt_i32 s3, s1
	s_cselect_b32 s20, -1, 0
	s_add_co_i32 s21, s18, 1
	s_cmp_lt_u32 s18, 2
	s_cselect_b32 s18, -1, 0
	s_wait_alu 0xfffe
	s_and_b32 s18, s20, s18
	s_delay_alu instid0(SALU_CYCLE_1)
	s_and_not1_b32 vcc_lo, exec_lo, s18
	s_mov_b32 s18, s21
	s_wait_alu 0xfffe
	s_cbranch_vccnz .LBB109_54
.LBB109_36:                             ;   Parent Loop BB109_3 Depth=1
                                        ; =>  This Loop Header: Depth=2
                                        ;       Child Loop BB109_39 Depth 3
                                        ;         Child Loop BB109_40 Depth 4
                                        ;         Child Loop BB109_43 Depth 4
                                        ;           Child Loop BB109_44 Depth 5
                                        ;         Child Loop BB109_48 Depth 4
                                        ;           Child Loop BB109_50 Depth 5
	s_getpc_b64 s[20:21]
	s_wait_alu 0xfffe
	s_sext_i32_i16 s21, s21
	s_add_co_u32 s20, s20, __const._ZL38rocblas_trsm_small_left_device_sharedBILi64ELi32ELb1EddPKPKdPKPdEv13rocblas_fill_18rocblas_operation_17rocblas_diagonal_iiT3_T4_lilT5_lili.step_sizes@rel32@lo+12
	s_wait_alu 0xfffe
	s_add_co_ci_u32 s21, s21, __const._ZL38rocblas_trsm_small_left_device_sharedBILi64ELi32ELb1EddPKPKdPKPdEv13rocblas_fill_18rocblas_operation_17rocblas_diagonal_iiT3_T4_lilT5_lili.step_sizes@rel32@hi+24
	s_lshl_b64 s[28:29], s[18:19], 2
	s_wait_alu 0xfffe
	s_add_nc_u64 s[20:21], s[20:21], s[28:29]
	s_load_b32 s20, s[20:21], 0x0
	s_wait_kmcnt 0x0
	s_add_co_i32 s21, s20, -1
	s_wait_alu 0xfffe
	s_add_co_i32 s28, s21, s3
	s_wait_alu 0xfffe
	s_cmp_ge_i32 s28, s1
	s_cbranch_scc1 .LBB109_35
; %bb.37:                               ;   in Loop: Header=BB109_36 Depth=2
	v_lshl_add_u32 v11, s3, 9, v8
	s_max_i32 s28, s20, 1
	s_lshl_b32 s29, s20, 9
	s_lshl_b32 s30, s3, 3
	s_lshl_b32 s31, s20, 3
	s_mul_i32 s33, s3, 0x208
	s_mul_i32 s34, s20, 0x208
	s_branch .LBB109_39
.LBB109_38:                             ;   in Loop: Header=BB109_39 Depth=3
	s_add_co_i32 s3, s3, s20
	v_add_nc_u32_e32 v11, s29, v11
	s_wait_alu 0xfffe
	s_add_co_i32 s35, s21, s3
	s_add_co_i32 s30, s30, s31
	;; [unrolled: 1-line block ×3, first 2 shown]
	s_wait_alu 0xfffe
	s_cmp_ge_i32 s35, s1
	s_cbranch_scc1 .LBB109_35
.LBB109_39:                             ;   Parent Loop BB109_3 Depth=1
                                        ;     Parent Loop BB109_36 Depth=2
                                        ; =>    This Loop Header: Depth=3
                                        ;         Child Loop BB109_40 Depth 4
                                        ;         Child Loop BB109_43 Depth 4
                                        ;           Child Loop BB109_44 Depth 5
                                        ;         Child Loop BB109_48 Depth 4
                                        ;           Child Loop BB109_50 Depth 5
	v_mov_b32_e32 v2, v11
	s_mov_b32 s35, 0
	s_wait_alu 0xfffe
	s_mov_b32 s36, s28
.LBB109_40:                             ;   Parent Loop BB109_3 Depth=1
                                        ;     Parent Loop BB109_36 Depth=2
                                        ;       Parent Loop BB109_39 Depth=3
                                        ; =>      This Inner Loop Header: Depth=4
	ds_load_b64 v[12:13], v2
	v_add_nc_u32_e32 v2, 0x200, v2
	s_wait_alu 0xfffe
	s_add_co_i32 s36, s36, -1
	s_wait_dscnt 0x0
	scratch_store_b64 off, v[12:13], s35
	s_add_co_i32 s35, s35, 8
	s_wait_alu 0xfffe
	s_cmp_eq_u32 s36, 0
	s_cbranch_scc0 .LBB109_40
; %bb.41:                               ;   in Loop: Header=BB109_39 Depth=3
	s_cmp_lt_i32 s3, 1
	s_cbranch_scc1 .LBB109_46
; %bb.42:                               ;   in Loop: Header=BB109_39 Depth=3
	s_mov_b32 s35, 0
	s_mov_b32 s36, s30
.LBB109_43:                             ;   Parent Loop BB109_3 Depth=1
                                        ;     Parent Loop BB109_36 Depth=2
                                        ;       Parent Loop BB109_39 Depth=3
                                        ; =>      This Loop Header: Depth=4
                                        ;           Child Loop BB109_44 Depth 5
	s_wait_alu 0xfffe
	v_lshl_add_u32 v2, s35, 9, v8
	s_mov_b32 s37, 0
	s_mov_b32 s38, s36
	;; [unrolled: 1-line block ×3, first 2 shown]
	ds_load_b64 v[2:3], v2
.LBB109_44:                             ;   Parent Loop BB109_3 Depth=1
                                        ;     Parent Loop BB109_36 Depth=2
                                        ;       Parent Loop BB109_39 Depth=3
                                        ;         Parent Loop BB109_43 Depth=4
                                        ; =>        This Inner Loop Header: Depth=5
	scratch_load_b64 v[12:13], off, s37
	s_wait_alu 0xfffe
	v_mov_b32_e32 v14, s38
	s_add_co_i32 s39, s39, -1
	s_add_co_i32 s38, s38, 8
	ds_load_b64 v[14:15], v14
	s_wait_loadcnt_dscnt 0x0
	v_fma_f64 v[12:13], -v[2:3], v[14:15], v[12:13]
	scratch_store_b64 off, v[12:13], s37
	s_add_co_i32 s37, s37, 8
	s_wait_alu 0xfffe
	s_cmp_eq_u32 s39, 0
	s_cbranch_scc0 .LBB109_44
; %bb.45:                               ;   in Loop: Header=BB109_43 Depth=4
	s_add_co_i32 s35, s35, 1
	s_addk_co_i32 s36, 0x200
	s_wait_alu 0xfffe
	s_cmp_eq_u32 s35, s3
	s_cbranch_scc0 .LBB109_43
.LBB109_46:                             ;   in Loop: Header=BB109_39 Depth=3
	s_mov_b32 s35, 0
	s_mov_b32 s36, s33
	s_branch .LBB109_48
.LBB109_47:                             ;   in Loop: Header=BB109_48 Depth=4
	s_add_co_i32 s37, s35, s3
	s_add_co_i32 s36, s36, 8
	s_wait_alu 0xfffe
	s_mul_i32 s38, s37, 0x208
	s_wait_alu 0xfffe
	v_mov_b32_e32 v12, s38
	s_lshl_b32 s38, s35, 3
	s_add_co_i32 s35, s35, 1
	s_wait_alu 0xfffe
	s_cmp_eq_u32 s35, s28
	ds_load_b64 v[12:13], v12
	s_wait_loadcnt_dscnt 0x0
	v_mul_f64_e32 v[2:3], v[12:13], v[2:3]
	v_lshl_add_u32 v12, s37, 9, v8
	scratch_store_b64 off, v[2:3], s38
	ds_store_b64 v12, v[2:3]
	s_cbranch_scc1 .LBB109_38
.LBB109_48:                             ;   Parent Loop BB109_3 Depth=1
                                        ;     Parent Loop BB109_36 Depth=2
                                        ;       Parent Loop BB109_39 Depth=3
                                        ; =>      This Loop Header: Depth=4
                                        ;           Child Loop BB109_50 Depth 5
	s_wait_alu 0xfffe
	s_cmp_lg_u32 s35, 0
	s_cbranch_scc0 .LBB109_52
; %bb.49:                               ;   in Loop: Header=BB109_48 Depth=4
	s_lshl_b32 s37, s35, 3
	s_mov_b32 s38, 0
	scratch_load_b64 v[2:3], off, s37
	s_mov_b32 s39, s36
	s_mov_b32 s40, s35
.LBB109_50:                             ;   Parent Loop BB109_3 Depth=1
                                        ;     Parent Loop BB109_36 Depth=2
                                        ;       Parent Loop BB109_39 Depth=3
                                        ;         Parent Loop BB109_48 Depth=4
                                        ; =>        This Inner Loop Header: Depth=5
	scratch_load_b64 v[12:13], off, s38
	s_wait_alu 0xfffe
	v_mov_b32_e32 v14, s39
	s_add_co_i32 s40, s40, -1
	s_addk_co_i32 s39, 0x200
	s_add_co_i32 s38, s38, 8
	s_wait_alu 0xfffe
	s_cmp_eq_u32 s40, 0
	ds_load_b64 v[14:15], v14
	s_wait_loadcnt_dscnt 0x0
	v_fma_f64 v[2:3], -v[12:13], v[14:15], v[2:3]
	scratch_store_b64 off, v[2:3], s37
	s_cbranch_scc0 .LBB109_50
; %bb.51:                               ;   in Loop: Header=BB109_48 Depth=4
	s_branch .LBB109_47
.LBB109_52:                             ;   in Loop: Header=BB109_48 Depth=4
                                        ; implicit-def: $vgpr2_vgpr3
	s_cbranch_execz .LBB109_47
; %bb.53:                               ;   in Loop: Header=BB109_48 Depth=4
	scratch_load_b64 v[2:3], off, off
	s_branch .LBB109_47
.LBB109_54:                             ;   in Loop: Header=BB109_3 Depth=1
	s_wait_storecnt 0x0
	s_wait_loadcnt_dscnt 0x0
	s_barrier_signal -1
	s_barrier_wait -1
	global_inv scope:SCOPE_SE
	s_and_saveexec_b32 s3, s26
	s_cbranch_execz .LBB109_2
; %bb.55:                               ;   in Loop: Header=BB109_3 Depth=1
	v_add_co_u32 v2, vcc_lo, v4, v0
	s_wait_alu 0xfffd
	v_add_co_ci_u32_e64 v3, null, v5, v1, vcc_lo
	v_mov_b32_e32 v4, v8
	s_mov_b32 s18, s1
.LBB109_56:                             ;   Parent Loop BB109_3 Depth=1
                                        ; =>  This Inner Loop Header: Depth=2
	ds_load_b64 v[11:12], v4
	v_add_nc_u32_e32 v4, 0x200, v4
	s_add_co_i32 s18, s18, -1
	s_delay_alu instid0(SALU_CYCLE_1)
	s_cmp_lg_u32 s18, 0
	s_wait_dscnt 0x0
	flat_store_b64 v[2:3], v[11:12]
	v_add_co_u32 v2, vcc_lo, v2, 8
	s_wait_alu 0xfffd
	v_add_co_ci_u32_e64 v3, null, 0, v3, vcc_lo
	s_cbranch_scc1 .LBB109_56
	s_branch .LBB109_2
.LBB109_57:
	s_endpgm
	.section	.rodata,"a",@progbits
	.p2align	6, 0x0
	.amdhsa_kernel _ZL38rocblas_trsm_small_left_device_sharedBILi64ELi32ELb1EddPKPKdPKPdEv13rocblas_fill_18rocblas_operation_17rocblas_diagonal_iiT3_T4_lilT5_lili
		.amdhsa_group_segment_fixed_size 65536
		.amdhsa_private_segment_fixed_size 272
		.amdhsa_kernarg_size 360
		.amdhsa_user_sgpr_count 2
		.amdhsa_user_sgpr_dispatch_ptr 0
		.amdhsa_user_sgpr_queue_ptr 0
		.amdhsa_user_sgpr_kernarg_segment_ptr 1
		.amdhsa_user_sgpr_dispatch_id 0
		.amdhsa_user_sgpr_private_segment_size 0
		.amdhsa_wavefront_size32 1
		.amdhsa_uses_dynamic_stack 0
		.amdhsa_enable_private_segment 1
		.amdhsa_system_sgpr_workgroup_id_x 1
		.amdhsa_system_sgpr_workgroup_id_y 0
		.amdhsa_system_sgpr_workgroup_id_z 1
		.amdhsa_system_sgpr_workgroup_info 0
		.amdhsa_system_vgpr_workitem_id 0
		.amdhsa_next_free_vgpr 241
		.amdhsa_next_free_sgpr 43
		.amdhsa_reserve_vcc 1
		.amdhsa_float_round_mode_32 0
		.amdhsa_float_round_mode_16_64 0
		.amdhsa_float_denorm_mode_32 3
		.amdhsa_float_denorm_mode_16_64 3
		.amdhsa_fp16_overflow 0
		.amdhsa_workgroup_processor_mode 1
		.amdhsa_memory_ordered 1
		.amdhsa_forward_progress 1
		.amdhsa_inst_pref_size 19
		.amdhsa_round_robin_scheduling 0
		.amdhsa_exception_fp_ieee_invalid_op 0
		.amdhsa_exception_fp_denorm_src 0
		.amdhsa_exception_fp_ieee_div_zero 0
		.amdhsa_exception_fp_ieee_overflow 0
		.amdhsa_exception_fp_ieee_underflow 0
		.amdhsa_exception_fp_ieee_inexact 0
		.amdhsa_exception_int_div_zero 0
	.end_amdhsa_kernel
	.section	.text._ZL38rocblas_trsm_small_left_device_sharedBILi64ELi32ELb1EddPKPKdPKPdEv13rocblas_fill_18rocblas_operation_17rocblas_diagonal_iiT3_T4_lilT5_lili,"axG",@progbits,_ZL38rocblas_trsm_small_left_device_sharedBILi64ELi32ELb1EddPKPKdPKPdEv13rocblas_fill_18rocblas_operation_17rocblas_diagonal_iiT3_T4_lilT5_lili,comdat
.Lfunc_end109:
	.size	_ZL38rocblas_trsm_small_left_device_sharedBILi64ELi32ELb1EddPKPKdPKPdEv13rocblas_fill_18rocblas_operation_17rocblas_diagonal_iiT3_T4_lilT5_lili, .Lfunc_end109-_ZL38rocblas_trsm_small_left_device_sharedBILi64ELi32ELb1EddPKPKdPKPdEv13rocblas_fill_18rocblas_operation_17rocblas_diagonal_iiT3_T4_lilT5_lili
                                        ; -- End function
	.set _ZL38rocblas_trsm_small_left_device_sharedBILi64ELi32ELb1EddPKPKdPKPdEv13rocblas_fill_18rocblas_operation_17rocblas_diagonal_iiT3_T4_lilT5_lili.num_vgpr, 19
	.set _ZL38rocblas_trsm_small_left_device_sharedBILi64ELi32ELb1EddPKPKdPKPdEv13rocblas_fill_18rocblas_operation_17rocblas_diagonal_iiT3_T4_lilT5_lili.num_agpr, 0
	.set _ZL38rocblas_trsm_small_left_device_sharedBILi64ELi32ELb1EddPKPKdPKPdEv13rocblas_fill_18rocblas_operation_17rocblas_diagonal_iiT3_T4_lilT5_lili.numbered_sgpr, 43
	.set _ZL38rocblas_trsm_small_left_device_sharedBILi64ELi32ELb1EddPKPKdPKPdEv13rocblas_fill_18rocblas_operation_17rocblas_diagonal_iiT3_T4_lilT5_lili.num_named_barrier, 0
	.set _ZL38rocblas_trsm_small_left_device_sharedBILi64ELi32ELb1EddPKPKdPKPdEv13rocblas_fill_18rocblas_operation_17rocblas_diagonal_iiT3_T4_lilT5_lili.private_seg_size, 272
	.set _ZL38rocblas_trsm_small_left_device_sharedBILi64ELi32ELb1EddPKPKdPKPdEv13rocblas_fill_18rocblas_operation_17rocblas_diagonal_iiT3_T4_lilT5_lili.uses_vcc, 1
	.set _ZL38rocblas_trsm_small_left_device_sharedBILi64ELi32ELb1EddPKPKdPKPdEv13rocblas_fill_18rocblas_operation_17rocblas_diagonal_iiT3_T4_lilT5_lili.uses_flat_scratch, 0
	.set _ZL38rocblas_trsm_small_left_device_sharedBILi64ELi32ELb1EddPKPKdPKPdEv13rocblas_fill_18rocblas_operation_17rocblas_diagonal_iiT3_T4_lilT5_lili.has_dyn_sized_stack, 0
	.set _ZL38rocblas_trsm_small_left_device_sharedBILi64ELi32ELb1EddPKPKdPKPdEv13rocblas_fill_18rocblas_operation_17rocblas_diagonal_iiT3_T4_lilT5_lili.has_recursion, 0
	.set _ZL38rocblas_trsm_small_left_device_sharedBILi64ELi32ELb1EddPKPKdPKPdEv13rocblas_fill_18rocblas_operation_17rocblas_diagonal_iiT3_T4_lilT5_lili.has_indirect_call, 0
	.section	.AMDGPU.csdata,"",@progbits
; Kernel info:
; codeLenInByte = 2348
; TotalNumSgprs: 45
; NumVgprs: 19
; ScratchSize: 272
; MemoryBound: 0
; FloatMode: 240
; IeeeMode: 1
; LDSByteSize: 65536 bytes/workgroup (compile time only)
; SGPRBlocks: 0
; VGPRBlocks: 30
; NumSGPRsForWavesPerEU: 45
; NumVGPRsForWavesPerEU: 241
; Occupancy: 1
; WaveLimiterHint : 0
; COMPUTE_PGM_RSRC2:SCRATCH_EN: 1
; COMPUTE_PGM_RSRC2:USER_SGPR: 2
; COMPUTE_PGM_RSRC2:TRAP_HANDLER: 0
; COMPUTE_PGM_RSRC2:TGID_X_EN: 1
; COMPUTE_PGM_RSRC2:TGID_Y_EN: 0
; COMPUTE_PGM_RSRC2:TGID_Z_EN: 1
; COMPUTE_PGM_RSRC2:TIDIG_COMP_CNT: 0
	.section	.text._ZL30rocblas_trsm_small_left_deviceILi64ELi32ELb1EddPKPKdPKPdEv13rocblas_fill_18rocblas_operation_17rocblas_diagonal_iiT3_T4_lilT5_lili,"axG",@progbits,_ZL30rocblas_trsm_small_left_deviceILi64ELi32ELb1EddPKPKdPKPdEv13rocblas_fill_18rocblas_operation_17rocblas_diagonal_iiT3_T4_lilT5_lili,comdat
	.globl	_ZL30rocblas_trsm_small_left_deviceILi64ELi32ELb1EddPKPKdPKPdEv13rocblas_fill_18rocblas_operation_17rocblas_diagonal_iiT3_T4_lilT5_lili ; -- Begin function _ZL30rocblas_trsm_small_left_deviceILi64ELi32ELb1EddPKPKdPKPdEv13rocblas_fill_18rocblas_operation_17rocblas_diagonal_iiT3_T4_lilT5_lili
	.p2align	8
	.type	_ZL30rocblas_trsm_small_left_deviceILi64ELi32ELb1EddPKPKdPKPdEv13rocblas_fill_18rocblas_operation_17rocblas_diagonal_iiT3_T4_lilT5_lili,@function
_ZL30rocblas_trsm_small_left_deviceILi64ELi32ELb1EddPKPKdPKPdEv13rocblas_fill_18rocblas_operation_17rocblas_diagonal_iiT3_T4_lilT5_lili: ; @_ZL30rocblas_trsm_small_left_deviceILi64ELi32ELb1EddPKPKdPKPdEv13rocblas_fill_18rocblas_operation_17rocblas_diagonal_iiT3_T4_lilT5_lili
; %bb.0:
	s_load_b32 s26, s[0:1], 0x60
	s_lshr_b32 s2, ttmp7, 16
	s_wait_kmcnt 0x0
	s_cmp_ge_u32 s2, s26
	s_cbranch_scc1 .LBB110_54
; %bb.1:
	s_clause 0x5
	s_load_b96 s[16:18], s[0:1], 0x28
	s_load_b128 s[12:15], s[0:1], 0x4
	s_load_b32 s3, s[0:1], 0x68
	s_load_b32 s20, s[0:1], 0x50
	s_load_b128 s[4:7], s[0:1], 0x18
	s_load_b128 s[8:11], s[0:1], 0x40
	s_lshl_b32 s0, ttmp9, 6
	v_dual_mov_b32 v8, 0 :: v_dual_lshlrev_b32 v7, 3, v0
	v_or_b32_e32 v1, s0, v0
	v_lshlrev_b32_e32 v3, 9, v0
	s_mov_b32 s33, 0
                                        ; implicit-def: $sgpr34
                                        ; implicit-def: $sgpr35
	s_delay_alu instid0(VALU_DEP_1)
	v_add_nc_u32_e32 v11, v7, v3
	s_wait_kmcnt 0x0
	s_ashr_i32 s19, s18, 31
	s_min_i32 s27, s14, 64
	s_add_co_i32 s3, s3, -1
	v_mad_co_i64_i32 v[1:2], null, s20, v1, 0
	s_sub_co_i32 s0, s15, s0
	s_add_co_i32 s28, s27, -1
	s_wait_alu 0xfffe
	s_cmp_ge_u32 ttmp9, s3
	s_mov_b32 s15, 0
	s_cselect_b32 s1, s0, 64
	s_cmp_lg_u32 s13, 0x84
	v_lshlrev_b64_e32 v[1:2], 3, v[1:2]
	s_cselect_b32 s29, -1, 0
	s_cmp_lg_u32 s12, 0x6f
	v_cmp_gt_i32_e64 s0, s27, v0
	s_cselect_b32 s30, -1, 0
	s_lshl_b64 s[10:11], s[10:11], 3
	s_wait_alu 0xfffe
	v_cmp_gt_i32_e64 s1, s1, v0
	v_add_co_u32 v9, vcc_lo, v1, s10
	s_delay_alu instid0(VALU_DEP_1)
	v_add_co_ci_u32_e64 v10, null, s11, v2, vcc_lo
	v_lshlrev_b32_e32 v0, 3, v0
	s_lshl_b32 s31, s27, 3
	s_lshl_b64 s[12:13], s[18:19], 3
	s_add_co_i32 s31, s31, -8
	s_lshl_b64 s[16:17], s[16:17], 3
	s_branch .LBB110_4
.LBB110_2:                              ;   in Loop: Header=BB110_4 Depth=1
	s_add_co_i32 s2, s2, 0x10000
	s_delay_alu instid0(SALU_CYCLE_1)
	s_cmp_ge_u32 s2, s26
	s_cselect_b32 s14, -1, 0
	s_and_not1_b32 s35, s35, exec_lo
	s_or_not1_b32 s14, s14, exec_lo
.LBB110_3:                              ;   in Loop: Header=BB110_4 Depth=1
	s_or_b32 exec_lo, exec_lo, s3
	s_delay_alu instid0(SALU_CYCLE_1) | instskip(NEXT) | instid1(SALU_CYCLE_1)
	s_and_b32 s3, exec_lo, s14
	s_or_b32 s33, s3, s33
	s_and_not1_b32 s3, s34, exec_lo
	s_and_b32 s14, s35, exec_lo
	s_delay_alu instid0(SALU_CYCLE_1)
	s_or_b32 s34, s3, s14
	s_and_not1_b32 exec_lo, exec_lo, s33
	s_cbranch_execz .LBB110_53
.LBB110_4:                              ; =>This Loop Header: Depth=1
                                        ;     Child Loop BB110_6 Depth 2
                                        ;     Child Loop BB110_14 Depth 2
                                        ;       Child Loop BB110_17 Depth 3
                                        ;         Child Loop BB110_18 Depth 4
                                        ;         Child Loop BB110_20 Depth 4
                                        ;           Child Loop BB110_21 Depth 5
                                        ;         Child Loop BB110_25 Depth 4
                                        ;           Child Loop BB110_27 Depth 5
                                        ;     Child Loop BB110_35 Depth 2
                                        ;       Child Loop BB110_38 Depth 3
                                        ;         Child Loop BB110_39 Depth 4
                                        ;         Child Loop BB110_42 Depth 4
                                        ;           Child Loop BB110_43 Depth 5
                                        ;         Child Loop BB110_47 Depth 4
                                        ;           Child Loop BB110_49 Depth 5
	s_mov_b32 s3, s15
	s_delay_alu instid0(SALU_CYCLE_1) | instskip(NEXT) | instid1(SALU_CYCLE_1)
	s_lshl_b64 s[18:19], s[2:3], 3
	s_add_nc_u64 s[20:21], s[8:9], s[18:19]
	global_load_b64 v[3:4], v8, s[20:21]
	s_and_saveexec_b32 s3, s0
	s_cbranch_execz .LBB110_10
; %bb.5:                                ;   in Loop: Header=BB110_4 Depth=1
	s_add_nc_u64 s[18:19], s[6:7], s[18:19]
	v_mov_b32_e32 v12, v7
	global_load_b64 v[5:6], v8, s[18:19]
	s_mov_b32 s14, s27
	s_wait_loadcnt 0x0
	v_add_co_u32 v5, vcc_lo, v5, s16
	s_wait_alu 0xfffd
	v_add_co_ci_u32_e64 v6, null, s17, v6, vcc_lo
	s_delay_alu instid0(VALU_DEP_2) | instskip(SKIP_1) | instid1(VALU_DEP_2)
	v_add_co_u32 v5, vcc_lo, v5, v0
	s_wait_alu 0xfffd
	v_add_co_ci_u32_e64 v6, null, 0, v6, vcc_lo
.LBB110_6:                              ;   Parent Loop BB110_4 Depth=1
                                        ; =>  This Inner Loop Header: Depth=2
	flat_load_b64 v[13:14], v[5:6]
	v_add_co_u32 v5, vcc_lo, v5, s12
	s_wait_alu 0xfffd
	v_add_co_ci_u32_e64 v6, null, s13, v6, vcc_lo
	s_add_co_i32 s14, s14, -1
	s_delay_alu instid0(SALU_CYCLE_1)
	s_cmp_eq_u32 s14, 0
	s_wait_loadcnt_dscnt 0x0
	ds_store_b64 v12, v[13:14]
	v_add_nc_u32_e32 v12, 0x200, v12
	s_cbranch_scc0 .LBB110_6
; %bb.7:                                ;   in Loop: Header=BB110_4 Depth=1
	v_mov_b32_e32 v5, 0
	v_mov_b32_e32 v6, 0x3ff00000
	s_and_b32 vcc_lo, exec_lo, s29
	s_wait_alu 0xfffe
	s_cbranch_vccz .LBB110_9
; %bb.8:                                ;   in Loop: Header=BB110_4 Depth=1
	ds_load_b64 v[5:6], v11
	s_wait_dscnt 0x0
	v_div_scale_f64 v[12:13], null, v[5:6], v[5:6], 1.0
	s_delay_alu instid0(VALU_DEP_1) | instskip(NEXT) | instid1(TRANS32_DEP_1)
	v_rcp_f64_e32 v[14:15], v[12:13]
	v_fma_f64 v[16:17], -v[12:13], v[14:15], 1.0
	s_delay_alu instid0(VALU_DEP_1) | instskip(NEXT) | instid1(VALU_DEP_1)
	v_fma_f64 v[14:15], v[14:15], v[16:17], v[14:15]
	v_fma_f64 v[16:17], -v[12:13], v[14:15], 1.0
	s_delay_alu instid0(VALU_DEP_1) | instskip(SKIP_1) | instid1(VALU_DEP_1)
	v_fma_f64 v[14:15], v[14:15], v[16:17], v[14:15]
	v_div_scale_f64 v[16:17], vcc_lo, 1.0, v[5:6], 1.0
	v_mul_f64_e32 v[18:19], v[16:17], v[14:15]
	s_delay_alu instid0(VALU_DEP_1) | instskip(SKIP_1) | instid1(VALU_DEP_1)
	v_fma_f64 v[12:13], -v[12:13], v[18:19], v[16:17]
	s_wait_alu 0xfffd
	v_div_fmas_f64 v[12:13], v[12:13], v[14:15], v[18:19]
	s_delay_alu instid0(VALU_DEP_1)
	v_div_fixup_f64 v[5:6], v[12:13], v[5:6], 1.0
.LBB110_9:                              ;   in Loop: Header=BB110_4 Depth=1
	ds_store_b64 v11, v[5:6]
.LBB110_10:                             ;   in Loop: Header=BB110_4 Depth=1
	s_or_b32 exec_lo, exec_lo, s3
	s_mov_b32 s14, -1
	s_or_b32 s35, s35, exec_lo
	s_wait_loadcnt_dscnt 0x0
	s_barrier_signal -1
	s_barrier_wait -1
	global_inv scope:SCOPE_SE
	s_and_saveexec_b32 s3, s1
	s_cbranch_execz .LBB110_3
; %bb.11:                               ;   in Loop: Header=BB110_4 Depth=1
	v_add_co_u32 v5, vcc_lo, v3, s10
	s_wait_alu 0xfffd
	v_add_co_ci_u32_e64 v6, null, s11, v4, vcc_lo
	s_delay_alu instid0(VALU_DEP_2) | instskip(SKIP_1) | instid1(VALU_DEP_2)
	v_add_co_u32 v12, vcc_lo, v5, v1
	s_wait_alu 0xfffd
	v_add_co_ci_u32_e64 v13, null, v6, v2, vcc_lo
	s_and_not1_b32 vcc_lo, exec_lo, s30
	s_wait_alu 0xfffe
	s_cbranch_vccnz .LBB110_32
; %bb.12:                               ;   in Loop: Header=BB110_4 Depth=1
	v_add_co_u32 v14, vcc_lo, v3, v9
	s_wait_alu 0xfffd
	v_add_co_ci_u32_e64 v15, null, v4, v10, vcc_lo
	s_mov_b32 s14, 0
	s_mov_b32 s18, s28
	s_branch .LBB110_14
.LBB110_13:                             ;   in Loop: Header=BB110_14 Depth=2
	s_cmp_gt_i32 s18, -1
	s_cselect_b32 s19, -1, 0
	s_add_co_i32 s20, s14, 1
	s_cmp_lt_u32 s14, 2
	s_cselect_b32 s14, -1, 0
	s_delay_alu instid0(SALU_CYCLE_1) | instskip(NEXT) | instid1(SALU_CYCLE_1)
	s_and_b32 s14, s19, s14
	s_and_b32 vcc_lo, exec_lo, s14
	s_wait_alu 0xfffe
	s_mov_b32 s14, s20
	s_cbranch_vccz .LBB110_31
.LBB110_14:                             ;   Parent Loop BB110_4 Depth=1
                                        ; =>  This Loop Header: Depth=2
                                        ;       Child Loop BB110_17 Depth 3
                                        ;         Child Loop BB110_18 Depth 4
                                        ;         Child Loop BB110_20 Depth 4
                                        ;           Child Loop BB110_21 Depth 5
                                        ;         Child Loop BB110_25 Depth 4
                                        ;           Child Loop BB110_27 Depth 5
	s_getpc_b64 s[20:21]
	s_wait_alu 0xfffe
	s_sext_i32_i16 s21, s21
	s_add_co_u32 s20, s20, __const._ZL30rocblas_trsm_small_left_deviceILi64ELi32ELb1EddPKPKdPKPdEv13rocblas_fill_18rocblas_operation_17rocblas_diagonal_iiT3_T4_lilT5_lili.step_sizes@rel32@lo+12
	s_wait_alu 0xfffe
	s_add_co_ci_u32 s21, s21, __const._ZL30rocblas_trsm_small_left_deviceILi64ELi32ELb1EddPKPKdPKPdEv13rocblas_fill_18rocblas_operation_17rocblas_diagonal_iiT3_T4_lilT5_lili.step_sizes@rel32@hi+24
	s_lshl_b64 s[22:23], s[14:15], 2
	s_wait_alu 0xfffe
	s_add_nc_u64 s[20:21], s[20:21], s[22:23]
	s_load_b32 s24, s[20:21], 0x0
	s_wait_kmcnt 0x0
	s_add_co_i32 s25, s24, -1
	s_wait_alu 0xfffe
	s_cmp_lt_i32 s18, s25
	s_cbranch_scc1 .LBB110_13
; %bb.15:                               ;   in Loop: Header=BB110_14 Depth=2
	s_lshl_b32 s19, s18, 9
	s_lshl_b32 s20, s24, 9
	s_max_i32 s36, s24, 1
	s_add_co_i32 s37, s31, s19
	s_wait_alu 0xfffe
	s_sub_co_i32 s38, 0, s20
	s_mul_i32 s39, s18, 0x208
	s_mul_i32 s40, s24, 0xfffffdf8
	s_branch .LBB110_17
.LBB110_16:                             ;   in Loop: Header=BB110_17 Depth=3
	s_sub_co_i32 s18, s18, s24
	s_add_co_i32 s37, s37, s38
	s_add_co_i32 s39, s39, s40
	s_cmp_lt_i32 s18, s25
	s_cbranch_scc1 .LBB110_13
.LBB110_17:                             ;   Parent Loop BB110_4 Depth=1
                                        ;     Parent Loop BB110_14 Depth=2
                                        ; =>    This Loop Header: Depth=3
                                        ;         Child Loop BB110_18 Depth 4
                                        ;         Child Loop BB110_20 Depth 4
                                        ;           Child Loop BB110_21 Depth 5
                                        ;         Child Loop BB110_25 Depth 4
                                        ;           Child Loop BB110_27 Depth 5
	s_ashr_i32 s19, s18, 31
	s_delay_alu instid0(SALU_CYCLE_1)
	s_lshl_b64 s[20:21], s[18:19], 3
	s_wait_alu 0xfffe
	v_add_co_u32 v5, vcc_lo, v14, s20
	s_wait_alu 0xfffd
	v_add_co_ci_u32_e64 v6, null, s21, v15, vcc_lo
	s_mov_b32 s20, 0
	s_mov_b32 s21, s36
.LBB110_18:                             ;   Parent Loop BB110_4 Depth=1
                                        ;     Parent Loop BB110_14 Depth=2
                                        ;       Parent Loop BB110_17 Depth=3
                                        ; =>      This Inner Loop Header: Depth=4
	flat_load_b64 v[16:17], v[5:6]
	v_add_co_u32 v5, vcc_lo, v5, -8
	s_wait_alu 0xfffd
	v_add_co_ci_u32_e64 v6, null, -1, v6, vcc_lo
	s_wait_alu 0xfffe
	s_add_co_i32 s21, s21, -1
	s_wait_loadcnt_dscnt 0x0
	v_mul_f64_e32 v[16:17], s[4:5], v[16:17]
	scratch_store_b64 off, v[16:17], s20
	s_add_co_i32 s20, s20, 8
	s_wait_alu 0xfffe
	s_cmp_eq_u32 s21, 0
	s_cbranch_scc0 .LBB110_18
; %bb.19:                               ;   in Loop: Header=BB110_17 Depth=3
	s_cmp_le_i32 s28, s18
	s_mov_b32 s22, s37
	s_mov_b32 s20, s28
	s_cbranch_scc1 .LBB110_23
.LBB110_20:                             ;   Parent Loop BB110_4 Depth=1
                                        ;     Parent Loop BB110_14 Depth=2
                                        ;       Parent Loop BB110_17 Depth=3
                                        ; =>      This Loop Header: Depth=4
                                        ;           Child Loop BB110_21 Depth 5
	s_wait_alu 0xfffe
	s_ashr_i32 s21, s20, 31
	s_mov_b32 s23, s22
	s_wait_alu 0xfffe
	s_lshl_b64 s[42:43], s[20:21], 3
	s_mov_b32 s21, 0
	s_wait_alu 0xfffe
	v_add_co_u32 v5, vcc_lo, v12, s42
	s_wait_alu 0xfffd
	v_add_co_ci_u32_e64 v6, null, s43, v13, vcc_lo
	s_mov_b32 s41, s36
	flat_load_b64 v[5:6], v[5:6]
.LBB110_21:                             ;   Parent Loop BB110_4 Depth=1
                                        ;     Parent Loop BB110_14 Depth=2
                                        ;       Parent Loop BB110_17 Depth=3
                                        ;         Parent Loop BB110_20 Depth=4
                                        ; =>        This Inner Loop Header: Depth=5
	scratch_load_b64 v[16:17], off, s21
	v_mov_b32_e32 v18, s23
	s_wait_alu 0xfffe
	s_add_co_i32 s41, s41, -1
	s_addk_co_i32 s23, 0xfe00
	ds_load_b64 v[18:19], v18
	s_wait_loadcnt_dscnt 0x0
	v_fma_f64 v[16:17], -v[5:6], v[18:19], v[16:17]
	scratch_store_b64 off, v[16:17], s21
	s_add_co_i32 s21, s21, 8
	s_wait_alu 0xfffe
	s_cmp_eq_u32 s41, 0
	s_cbranch_scc0 .LBB110_21
; %bb.22:                               ;   in Loop: Header=BB110_20 Depth=4
	s_add_co_i32 s20, s20, -1
	s_add_co_i32 s22, s22, -8
	s_wait_alu 0xfffe
	s_cmp_le_i32 s20, s18
	s_cbranch_scc0 .LBB110_20
.LBB110_23:                             ;   in Loop: Header=BB110_17 Depth=3
	s_mov_b32 s41, 0
	s_mov_b32 s42, s39
	s_branch .LBB110_25
.LBB110_24:                             ;   in Loop: Header=BB110_25 Depth=4
	s_wait_alu 0xfffe
	s_mulk_i32 s22, 0x208
	s_lshl_b64 s[20:21], s[20:21], 3
	s_wait_alu 0xfffe
	v_mov_b32_e32 v16, s22
	s_lshl_b32 s22, s41, 3
	s_add_co_i32 s41, s41, 1
	s_addk_co_i32 s42, 0xfe00
	s_wait_alu 0xfffe
	s_cmp_eq_u32 s41, s36
	ds_load_b64 v[16:17], v16
	s_wait_loadcnt_dscnt 0x0
	v_mul_f64_e32 v[5:6], v[16:17], v[5:6]
	v_add_co_u32 v16, vcc_lo, v12, s20
	s_wait_alu 0xfffd
	v_add_co_ci_u32_e64 v17, null, s21, v13, vcc_lo
	scratch_store_b64 off, v[5:6], s22
	flat_store_b64 v[16:17], v[5:6]
	s_cbranch_scc1 .LBB110_16
.LBB110_25:                             ;   Parent Loop BB110_4 Depth=1
                                        ;     Parent Loop BB110_14 Depth=2
                                        ;       Parent Loop BB110_17 Depth=3
                                        ; =>      This Loop Header: Depth=4
                                        ;           Child Loop BB110_27 Depth 5
	s_wait_alu 0xfffe
	s_cmp_lg_u32 s41, 0
	s_cbranch_scc0 .LBB110_29
; %bb.26:                               ;   in Loop: Header=BB110_25 Depth=4
	s_lshl_b32 s20, s41, 3
	s_mov_b32 s21, 0
	scratch_load_b64 v[5:6], off, s20
	s_mov_b32 s22, s42
	s_mov_b32 s23, s41
.LBB110_27:                             ;   Parent Loop BB110_4 Depth=1
                                        ;     Parent Loop BB110_14 Depth=2
                                        ;       Parent Loop BB110_17 Depth=3
                                        ;         Parent Loop BB110_25 Depth=4
                                        ; =>        This Inner Loop Header: Depth=5
	scratch_load_b64 v[16:17], off, s21
	s_wait_alu 0xfffe
	v_mov_b32_e32 v18, s22
	s_add_co_i32 s23, s23, -1
	s_add_co_i32 s22, s22, -8
	s_add_co_i32 s21, s21, 8
	s_wait_alu 0xfffe
	s_cmp_eq_u32 s23, 0
	ds_load_b64 v[18:19], v18
	s_wait_loadcnt_dscnt 0x0
	v_fma_f64 v[5:6], -v[16:17], v[18:19], v[5:6]
	scratch_store_b64 off, v[5:6], s20
	s_cbranch_scc0 .LBB110_27
; %bb.28:                               ;   in Loop: Header=BB110_25 Depth=4
	s_sub_co_i32 s22, s18, s41
	s_wait_alu 0xfffe
	s_ashr_i32 s23, s22, 31
	s_wait_alu 0xfffe
	s_mov_b64 s[20:21], s[22:23]
	s_branch .LBB110_24
.LBB110_29:                             ;   in Loop: Header=BB110_25 Depth=4
                                        ; implicit-def: $vgpr5_vgpr6
                                        ; implicit-def: $sgpr22
                                        ; implicit-def: $sgpr20_sgpr21
	s_cbranch_execz .LBB110_24
; %bb.30:                               ;   in Loop: Header=BB110_25 Depth=4
	scratch_load_b64 v[5:6], off, off
	s_mov_b64 s[20:21], s[18:19]
	s_mov_b32 s22, s18
	s_branch .LBB110_24
.LBB110_31:                             ;   in Loop: Header=BB110_4 Depth=1
	s_mov_b32 s14, 0
.LBB110_32:                             ;   in Loop: Header=BB110_4 Depth=1
	s_delay_alu instid0(SALU_CYCLE_1)
	s_and_b32 vcc_lo, exec_lo, s14
	s_wait_alu 0xfffe
	s_cbranch_vccz .LBB110_2
; %bb.33:                               ;   in Loop: Header=BB110_4 Depth=1
	v_add_co_u32 v14, vcc_lo, v3, v9
	s_wait_alu 0xfffd
	v_add_co_ci_u32_e64 v15, null, v4, v10, vcc_lo
	s_mov_b32 s18, 0
	s_mov_b32 s20, 0
	s_branch .LBB110_35
.LBB110_34:                             ;   in Loop: Header=BB110_35 Depth=2
	s_cmp_lt_i32 s18, s27
	s_cselect_b32 s14, -1, 0
	s_add_co_i32 s19, s20, 1
	s_cmp_lt_u32 s20, 2
	s_cselect_b32 s20, -1, 0
	s_wait_alu 0xfffe
	s_and_b32 s14, s14, s20
	s_mov_b32 s20, s19
	s_and_not1_b32 vcc_lo, exec_lo, s14
	s_wait_alu 0xfffe
	s_cbranch_vccnz .LBB110_2
.LBB110_35:                             ;   Parent Loop BB110_4 Depth=1
                                        ; =>  This Loop Header: Depth=2
                                        ;       Child Loop BB110_38 Depth 3
                                        ;         Child Loop BB110_39 Depth 4
                                        ;         Child Loop BB110_42 Depth 4
                                        ;           Child Loop BB110_43 Depth 5
                                        ;         Child Loop BB110_47 Depth 4
                                        ;           Child Loop BB110_49 Depth 5
	s_mov_b32 s21, s15
	s_getpc_b64 s[22:23]
	s_wait_alu 0xfffe
	s_sext_i32_i16 s23, s23
	s_add_co_u32 s22, s22, __const._ZL30rocblas_trsm_small_left_deviceILi64ELi32ELb1EddPKPKdPKPdEv13rocblas_fill_18rocblas_operation_17rocblas_diagonal_iiT3_T4_lilT5_lili.step_sizes@rel32@lo+12
	s_wait_alu 0xfffe
	s_add_co_ci_u32 s23, s23, __const._ZL30rocblas_trsm_small_left_deviceILi64ELi32ELb1EddPKPKdPKPdEv13rocblas_fill_18rocblas_operation_17rocblas_diagonal_iiT3_T4_lilT5_lili.step_sizes@rel32@hi+24
	s_lshl_b64 s[24:25], s[20:21], 2
	s_wait_alu 0xfffe
	s_add_nc_u64 s[22:23], s[22:23], s[24:25]
	s_load_b32 s22, s[22:23], 0x0
	s_wait_kmcnt 0x0
	s_add_co_i32 s21, s22, -1
	s_wait_alu 0xfffe
	s_add_co_i32 s14, s21, s18
	s_delay_alu instid0(SALU_CYCLE_1)
	s_cmp_ge_i32 s14, s27
	s_cbranch_scc1 .LBB110_34
; %bb.36:                               ;   in Loop: Header=BB110_35 Depth=2
	s_ashr_i32 s19, s18, 31
	s_ashr_i32 s23, s22, 31
	s_lshl_b64 s[24:25], s[18:19], 3
	s_max_i32 s36, s22, 1
	s_wait_alu 0xfffe
	v_add_co_u32 v3, vcc_lo, v14, s24
	s_wait_alu 0xfffd
	v_add_co_ci_u32_e64 v4, null, s25, v15, vcc_lo
	s_lshl_b64 s[24:25], s[22:23], 3
	s_lshl_b32 s19, s18, 3
	s_lshl_b32 s23, s22, 3
	s_mul_i32 s37, s18, 0x208
	s_mul_i32 s38, s22, 0x208
	s_branch .LBB110_38
.LBB110_37:                             ;   in Loop: Header=BB110_38 Depth=3
	v_add_co_u32 v3, vcc_lo, v3, s24
	s_add_co_i32 s18, s18, s22
	s_wait_alu 0xfffd
	v_add_co_ci_u32_e64 v4, null, s25, v4, vcc_lo
	s_add_co_i32 s14, s21, s18
	s_add_co_i32 s19, s19, s23
	;; [unrolled: 1-line block ×3, first 2 shown]
	s_cmp_ge_i32 s14, s27
	s_cbranch_scc1 .LBB110_34
.LBB110_38:                             ;   Parent Loop BB110_4 Depth=1
                                        ;     Parent Loop BB110_35 Depth=2
                                        ; =>    This Loop Header: Depth=3
                                        ;         Child Loop BB110_39 Depth 4
                                        ;         Child Loop BB110_42 Depth 4
                                        ;           Child Loop BB110_43 Depth 5
                                        ;         Child Loop BB110_47 Depth 4
                                        ;           Child Loop BB110_49 Depth 5
	v_dual_mov_b32 v6, v4 :: v_dual_mov_b32 v5, v3
	s_mov_b32 s14, 0
	s_mov_b32 s39, s36
.LBB110_39:                             ;   Parent Loop BB110_4 Depth=1
                                        ;     Parent Loop BB110_35 Depth=2
                                        ;       Parent Loop BB110_38 Depth=3
                                        ; =>      This Inner Loop Header: Depth=4
	flat_load_b64 v[16:17], v[5:6]
	v_add_co_u32 v5, vcc_lo, v5, 8
	s_wait_alu 0xfffd
	v_add_co_ci_u32_e64 v6, null, 0, v6, vcc_lo
	s_add_co_i32 s39, s39, -1
	s_wait_loadcnt_dscnt 0x0
	v_mul_f64_e32 v[16:17], s[4:5], v[16:17]
	scratch_store_b64 off, v[16:17], s14
	s_add_co_i32 s14, s14, 8
	s_cmp_eq_u32 s39, 0
	s_cbranch_scc0 .LBB110_39
; %bb.40:                               ;   in Loop: Header=BB110_38 Depth=3
	s_cmp_lt_i32 s18, 1
	s_cbranch_scc1 .LBB110_45
; %bb.41:                               ;   in Loop: Header=BB110_38 Depth=3
	s_mov_b32 s14, 0
	s_mov_b32 s39, s19
.LBB110_42:                             ;   Parent Loop BB110_4 Depth=1
                                        ;     Parent Loop BB110_35 Depth=2
                                        ;       Parent Loop BB110_38 Depth=3
                                        ; =>      This Loop Header: Depth=4
                                        ;           Child Loop BB110_43 Depth 5
	s_lshl_b64 s[40:41], s[14:15], 3
	s_mov_b32 s42, s36
	s_wait_alu 0xfffe
	v_add_co_u32 v5, vcc_lo, v12, s40
	s_wait_alu 0xfffd
	v_add_co_ci_u32_e64 v6, null, s41, v13, vcc_lo
	s_mov_b32 s40, 0
	s_mov_b32 s41, s39
	flat_load_b64 v[5:6], v[5:6]
.LBB110_43:                             ;   Parent Loop BB110_4 Depth=1
                                        ;     Parent Loop BB110_35 Depth=2
                                        ;       Parent Loop BB110_38 Depth=3
                                        ;         Parent Loop BB110_42 Depth=4
                                        ; =>        This Inner Loop Header: Depth=5
	scratch_load_b64 v[16:17], off, s40
	s_wait_alu 0xfffe
	v_mov_b32_e32 v18, s41
	s_add_co_i32 s42, s42, -1
	s_add_co_i32 s41, s41, 8
	ds_load_b64 v[18:19], v18
	s_wait_loadcnt_dscnt 0x0
	v_fma_f64 v[16:17], -v[5:6], v[18:19], v[16:17]
	scratch_store_b64 off, v[16:17], s40
	s_add_co_i32 s40, s40, 8
	s_wait_alu 0xfffe
	s_cmp_eq_u32 s42, 0
	s_cbranch_scc0 .LBB110_43
; %bb.44:                               ;   in Loop: Header=BB110_42 Depth=4
	s_add_co_i32 s14, s14, 1
	s_addk_co_i32 s39, 0x200
	s_cmp_eq_u32 s14, s18
	s_cbranch_scc0 .LBB110_42
.LBB110_45:                             ;   in Loop: Header=BB110_38 Depth=3
	s_mov_b32 s14, 0
	s_mov_b32 s39, s37
	s_branch .LBB110_47
.LBB110_46:                             ;   in Loop: Header=BB110_47 Depth=4
	s_add_co_i32 s40, s14, s18
	s_lshl_b32 s42, s14, 3
	s_wait_alu 0xfffe
	s_mul_i32 s41, s40, 0x208
	s_add_co_i32 s14, s14, 1
	s_wait_alu 0xfffe
	v_mov_b32_e32 v16, s41
	s_ashr_i32 s41, s40, 31
	s_add_co_i32 s39, s39, 8
	s_wait_alu 0xfffe
	s_lshl_b64 s[40:41], s[40:41], 3
	s_cmp_eq_u32 s14, s36
	ds_load_b64 v[16:17], v16
	s_wait_loadcnt_dscnt 0x0
	v_mul_f64_e32 v[5:6], v[16:17], v[5:6]
	s_wait_alu 0xfffe
	v_add_co_u32 v16, vcc_lo, v12, s40
	s_wait_alu 0xfffd
	v_add_co_ci_u32_e64 v17, null, s41, v13, vcc_lo
	scratch_store_b64 off, v[5:6], s42
	flat_store_b64 v[16:17], v[5:6]
	s_cbranch_scc1 .LBB110_37
.LBB110_47:                             ;   Parent Loop BB110_4 Depth=1
                                        ;     Parent Loop BB110_35 Depth=2
                                        ;       Parent Loop BB110_38 Depth=3
                                        ; =>      This Loop Header: Depth=4
                                        ;           Child Loop BB110_49 Depth 5
	s_cmp_lg_u32 s14, 0
	s_cbranch_scc0 .LBB110_51
; %bb.48:                               ;   in Loop: Header=BB110_47 Depth=4
	s_lshl_b32 s40, s14, 3
	s_mov_b32 s41, 0
	scratch_load_b64 v[5:6], off, s40
	s_mov_b32 s42, s39
	s_mov_b32 s43, s14
.LBB110_49:                             ;   Parent Loop BB110_4 Depth=1
                                        ;     Parent Loop BB110_35 Depth=2
                                        ;       Parent Loop BB110_38 Depth=3
                                        ;         Parent Loop BB110_47 Depth=4
                                        ; =>        This Inner Loop Header: Depth=5
	scratch_load_b64 v[16:17], off, s41
	s_wait_alu 0xfffe
	v_mov_b32_e32 v18, s42
	s_add_co_i32 s43, s43, -1
	s_addk_co_i32 s42, 0x200
	s_add_co_i32 s41, s41, 8
	s_wait_alu 0xfffe
	s_cmp_eq_u32 s43, 0
	ds_load_b64 v[18:19], v18
	s_wait_loadcnt_dscnt 0x0
	v_fma_f64 v[5:6], -v[16:17], v[18:19], v[5:6]
	scratch_store_b64 off, v[5:6], s40
	s_cbranch_scc0 .LBB110_49
; %bb.50:                               ;   in Loop: Header=BB110_47 Depth=4
	s_branch .LBB110_46
.LBB110_51:                             ;   in Loop: Header=BB110_47 Depth=4
                                        ; implicit-def: $vgpr5_vgpr6
	s_cbranch_execz .LBB110_46
; %bb.52:                               ;   in Loop: Header=BB110_47 Depth=4
	scratch_load_b64 v[5:6], off, off
	s_branch .LBB110_46
.LBB110_53:
	s_or_b32 exec_lo, exec_lo, s33
	s_and_saveexec_b32 s0, s34
	s_wait_alu 0xfffe
	s_xor_b32 s0, exec_lo, s0
.LBB110_54:
	s_endpgm
	.section	.rodata,"a",@progbits
	.p2align	6, 0x0
	.amdhsa_kernel _ZL30rocblas_trsm_small_left_deviceILi64ELi32ELb1EddPKPKdPKPdEv13rocblas_fill_18rocblas_operation_17rocblas_diagonal_iiT3_T4_lilT5_lili
		.amdhsa_group_segment_fixed_size 32768
		.amdhsa_private_segment_fixed_size 272
		.amdhsa_kernarg_size 360
		.amdhsa_user_sgpr_count 2
		.amdhsa_user_sgpr_dispatch_ptr 0
		.amdhsa_user_sgpr_queue_ptr 0
		.amdhsa_user_sgpr_kernarg_segment_ptr 1
		.amdhsa_user_sgpr_dispatch_id 0
		.amdhsa_user_sgpr_private_segment_size 0
		.amdhsa_wavefront_size32 1
		.amdhsa_uses_dynamic_stack 0
		.amdhsa_enable_private_segment 1
		.amdhsa_system_sgpr_workgroup_id_x 1
		.amdhsa_system_sgpr_workgroup_id_y 0
		.amdhsa_system_sgpr_workgroup_id_z 1
		.amdhsa_system_sgpr_workgroup_info 0
		.amdhsa_system_vgpr_workitem_id 0
		.amdhsa_next_free_vgpr 241
		.amdhsa_next_free_sgpr 44
		.amdhsa_reserve_vcc 1
		.amdhsa_float_round_mode_32 0
		.amdhsa_float_round_mode_16_64 0
		.amdhsa_float_denorm_mode_32 3
		.amdhsa_float_denorm_mode_16_64 3
		.amdhsa_fp16_overflow 0
		.amdhsa_workgroup_processor_mode 1
		.amdhsa_memory_ordered 1
		.amdhsa_forward_progress 1
		.amdhsa_inst_pref_size 19
		.amdhsa_round_robin_scheduling 0
		.amdhsa_exception_fp_ieee_invalid_op 0
		.amdhsa_exception_fp_denorm_src 0
		.amdhsa_exception_fp_ieee_div_zero 0
		.amdhsa_exception_fp_ieee_overflow 0
		.amdhsa_exception_fp_ieee_underflow 0
		.amdhsa_exception_fp_ieee_inexact 0
		.amdhsa_exception_int_div_zero 0
	.end_amdhsa_kernel
	.section	.text._ZL30rocblas_trsm_small_left_deviceILi64ELi32ELb1EddPKPKdPKPdEv13rocblas_fill_18rocblas_operation_17rocblas_diagonal_iiT3_T4_lilT5_lili,"axG",@progbits,_ZL30rocblas_trsm_small_left_deviceILi64ELi32ELb1EddPKPKdPKPdEv13rocblas_fill_18rocblas_operation_17rocblas_diagonal_iiT3_T4_lilT5_lili,comdat
.Lfunc_end110:
	.size	_ZL30rocblas_trsm_small_left_deviceILi64ELi32ELb1EddPKPKdPKPdEv13rocblas_fill_18rocblas_operation_17rocblas_diagonal_iiT3_T4_lilT5_lili, .Lfunc_end110-_ZL30rocblas_trsm_small_left_deviceILi64ELi32ELb1EddPKPKdPKPdEv13rocblas_fill_18rocblas_operation_17rocblas_diagonal_iiT3_T4_lilT5_lili
                                        ; -- End function
	.set _ZL30rocblas_trsm_small_left_deviceILi64ELi32ELb1EddPKPKdPKPdEv13rocblas_fill_18rocblas_operation_17rocblas_diagonal_iiT3_T4_lilT5_lili.num_vgpr, 20
	.set _ZL30rocblas_trsm_small_left_deviceILi64ELi32ELb1EddPKPKdPKPdEv13rocblas_fill_18rocblas_operation_17rocblas_diagonal_iiT3_T4_lilT5_lili.num_agpr, 0
	.set _ZL30rocblas_trsm_small_left_deviceILi64ELi32ELb1EddPKPKdPKPdEv13rocblas_fill_18rocblas_operation_17rocblas_diagonal_iiT3_T4_lilT5_lili.numbered_sgpr, 44
	.set _ZL30rocblas_trsm_small_left_deviceILi64ELi32ELb1EddPKPKdPKPdEv13rocblas_fill_18rocblas_operation_17rocblas_diagonal_iiT3_T4_lilT5_lili.num_named_barrier, 0
	.set _ZL30rocblas_trsm_small_left_deviceILi64ELi32ELb1EddPKPKdPKPdEv13rocblas_fill_18rocblas_operation_17rocblas_diagonal_iiT3_T4_lilT5_lili.private_seg_size, 272
	.set _ZL30rocblas_trsm_small_left_deviceILi64ELi32ELb1EddPKPKdPKPdEv13rocblas_fill_18rocblas_operation_17rocblas_diagonal_iiT3_T4_lilT5_lili.uses_vcc, 1
	.set _ZL30rocblas_trsm_small_left_deviceILi64ELi32ELb1EddPKPKdPKPdEv13rocblas_fill_18rocblas_operation_17rocblas_diagonal_iiT3_T4_lilT5_lili.uses_flat_scratch, 0
	.set _ZL30rocblas_trsm_small_left_deviceILi64ELi32ELb1EddPKPKdPKPdEv13rocblas_fill_18rocblas_operation_17rocblas_diagonal_iiT3_T4_lilT5_lili.has_dyn_sized_stack, 0
	.set _ZL30rocblas_trsm_small_left_deviceILi64ELi32ELb1EddPKPKdPKPdEv13rocblas_fill_18rocblas_operation_17rocblas_diagonal_iiT3_T4_lilT5_lili.has_recursion, 0
	.set _ZL30rocblas_trsm_small_left_deviceILi64ELi32ELb1EddPKPKdPKPdEv13rocblas_fill_18rocblas_operation_17rocblas_diagonal_iiT3_T4_lilT5_lili.has_indirect_call, 0
	.section	.AMDGPU.csdata,"",@progbits
; Kernel info:
; codeLenInByte = 2364
; TotalNumSgprs: 46
; NumVgprs: 20
; ScratchSize: 272
; MemoryBound: 0
; FloatMode: 240
; IeeeMode: 1
; LDSByteSize: 32768 bytes/workgroup (compile time only)
; SGPRBlocks: 0
; VGPRBlocks: 30
; NumSGPRsForWavesPerEU: 46
; NumVGPRsForWavesPerEU: 241
; Occupancy: 2
; WaveLimiterHint : 1
; COMPUTE_PGM_RSRC2:SCRATCH_EN: 1
; COMPUTE_PGM_RSRC2:USER_SGPR: 2
; COMPUTE_PGM_RSRC2:TRAP_HANDLER: 0
; COMPUTE_PGM_RSRC2:TGID_X_EN: 1
; COMPUTE_PGM_RSRC2:TGID_Y_EN: 0
; COMPUTE_PGM_RSRC2:TGID_Z_EN: 1
; COMPUTE_PGM_RSRC2:TIDIG_COMP_CNT: 0
	.section	.text._ZL31rocblas_trsm_small_right_deviceIddPKPKdPKPdLi64EEv13rocblas_fill_18rocblas_operation_17rocblas_diagonal_iiT0_T1_lilT2_lili,"axG",@progbits,_ZL31rocblas_trsm_small_right_deviceIddPKPKdPKPdLi64EEv13rocblas_fill_18rocblas_operation_17rocblas_diagonal_iiT0_T1_lilT2_lili,comdat
	.globl	_ZL31rocblas_trsm_small_right_deviceIddPKPKdPKPdLi64EEv13rocblas_fill_18rocblas_operation_17rocblas_diagonal_iiT0_T1_lilT2_lili ; -- Begin function _ZL31rocblas_trsm_small_right_deviceIddPKPKdPKPdLi64EEv13rocblas_fill_18rocblas_operation_17rocblas_diagonal_iiT0_T1_lilT2_lili
	.p2align	8
	.type	_ZL31rocblas_trsm_small_right_deviceIddPKPKdPKPdLi64EEv13rocblas_fill_18rocblas_operation_17rocblas_diagonal_iiT0_T1_lilT2_lili,@function
_ZL31rocblas_trsm_small_right_deviceIddPKPKdPKPdLi64EEv13rocblas_fill_18rocblas_operation_17rocblas_diagonal_iiT0_T1_lilT2_lili: ; @_ZL31rocblas_trsm_small_right_deviceIddPKPKdPKPdLi64EEv13rocblas_fill_18rocblas_operation_17rocblas_diagonal_iiT0_T1_lilT2_lili
; %bb.0:
	s_load_b32 s22, s[0:1], 0x60
	s_lshr_b32 s2, ttmp7, 16
	s_wait_kmcnt 0x0
	s_cmp_ge_u32 s2, s22
	s_cbranch_scc1 .LBB111_82
; %bb.1:
	s_clause 0x6
	s_load_b96 s[16:18], s[0:1], 0x28
	s_load_b32 s30, s[0:1], 0x50
	s_load_b128 s[12:15], s[0:1], 0x0
	s_load_b32 s23, s[0:1], 0x10
	s_load_b32 s3, s[0:1], 0x68
	s_load_b128 s[4:7], s[0:1], 0x18
	s_load_b128 s[8:11], s[0:1], 0x40
	s_mov_b32 s20, ttmp9
	v_dual_mov_b32 v5, 0x3ff00000 :: v_dual_lshlrev_b32 v10, 3, v0
	v_dual_mov_b32 v4, 0 :: v_dual_lshlrev_b32 v1, 9, v0
	v_lshlrev_b32_e32 v15, 3, v0
	s_delay_alu instid0(VALU_DEP_3) | instskip(NEXT) | instid1(VALU_DEP_3)
	v_or_b32_e32 v11, 0x8000, v10
	v_add_nc_u32_e32 v14, v10, v1
	s_wait_kmcnt 0x0
	s_ashr_i32 s19, s18, 31
	s_ashr_i32 s31, s30, 31
	s_cmp_lg_u32 s12, 0x7a
	s_cselect_b32 s26, -1, 0
	s_min_i32 s1, s23, 64
	s_lshl_b32 s0, ttmp9, 6
	s_add_co_i32 s3, s3, -1
	s_add_co_i32 s24, s1, -1
	s_sub_co_i32 s0, s15, s0
	s_cmp_ge_u32 ttmp9, s3
	s_mul_i32 s34, s1, 0x208
	s_cselect_b32 s15, s0, 64
	s_ashr_i32 s21, ttmp9, 31
	v_cmp_gt_i32_e32 vcc_lo, s15, v0
	s_lshl_b64 s[20:21], s[20:21], 9
	s_cmp_eq_u32 s14, 0x84
	v_cmp_gt_i32_e64 s0, s1, v0
	s_cselect_b32 s25, -1, 0
	s_cmp_gt_i32 s23, 0
	s_mov_b32 s3, 0
	s_cselect_b32 s14, -1, 0
	s_cmp_lg_u32 s13, 0x6f
	s_cselect_b32 s13, -1, 0
	s_cmp_lg_u32 s12, 0x79
	s_cselect_b32 s12, -1, 0
	s_or_b32 s26, s26, s13
	s_or_b32 s27, s12, s13
	s_cmp_gt_i32 s23, 3
	v_cndmask_b32_e64 v12, 0, 1, s12
	s_cselect_b32 s28, -1, 0
	s_lshl_b32 s33, s1, 9
	s_lshl_b32 s36, s1, 3
	v_or_b32_e32 v2, s33, v10
	s_wait_alu 0xfffe
	s_and_b32 s29, vcc_lo, s14
	s_lshl_b64 s[12:13], s[18:19], 3
	s_lshl_b64 s[14:15], s[30:31], 3
	s_add_co_i32 s30, s34, 0xfffffde0
	v_add_nc_u32_e32 v13, 0x7e00, v2
	s_add_co_i32 s31, s33, 0xfffffe00
	s_addk_co_i32 s33, 0xfdf8
	s_addk_co_i32 s34, 0xf7f8
	s_add_co_i32 s35, s36, -8
	s_addk_co_i32 s36, 0xfdf8
	s_lshl_b64 s[16:17], s[16:17], 3
	s_lshl_b64 s[10:11], s[10:11], 3
	s_branch .LBB111_3
.LBB111_2:                              ;   in Loop: Header=BB111_3 Depth=1
	s_wait_alu 0xfffe
	s_or_b32 exec_lo, exec_lo, s18
	s_add_co_i32 s2, s2, 0x10000
	s_delay_alu instid0(SALU_CYCLE_1)
	s_cmp_lt_u32 s2, s22
	s_cbranch_scc0 .LBB111_82
.LBB111_3:                              ; =>This Loop Header: Depth=1
                                        ;     Child Loop BB111_5 Depth 2
                                        ;     Child Loop BB111_10 Depth 2
	;; [unrolled: 1-line block ×3, first 2 shown]
                                        ;       Child Loop BB111_17 Depth 3
                                        ;     Child Loop BB111_23 Depth 2
                                        ;       Child Loop BB111_24 Depth 3
                                        ;     Child Loop BB111_28 Depth 2
	;; [unrolled: 2-line block ×3, first 2 shown]
                                        ;     Child Loop BB111_41 Depth 2
                                        ;       Child Loop BB111_42 Depth 3
                                        ;       Child Loop BB111_44 Depth 3
                                        ;     Child Loop BB111_48 Depth 2
                                        ;       Child Loop BB111_49 Depth 3
                                        ;     Child Loop BB111_57 Depth 2
                                        ;     Child Loop BB111_62 Depth 2
                                        ;       Child Loop BB111_63 Depth 3
                                        ;       Child Loop BB111_65 Depth 3
                                        ;     Child Loop BB111_70 Depth 2
                                        ;       Child Loop BB111_71 Depth 3
                                        ;     Child Loop BB111_77 Depth 2
	;; [unrolled: 2-line block ×3, first 2 shown]
	s_lshl_b64 s[18:19], s[2:3], 3
	s_wait_alu 0xfffe
	s_add_nc_u64 s[38:39], s[8:9], s[18:19]
	global_load_b64 v[0:1], v4, s[38:39]
	s_and_saveexec_b32 s37, s0
	s_cbranch_execz .LBB111_8
; %bb.4:                                ;   in Loop: Header=BB111_3 Depth=1
	s_add_nc_u64 s[18:19], s[6:7], s[18:19]
	v_mov_b32_e32 v6, v10
	global_load_b64 v[2:3], v4, s[18:19]
	s_mov_b32 s18, s1
	s_wait_loadcnt 0x0
	v_add_co_u32 v2, vcc_lo, v2, s16
	s_wait_alu 0xfffd
	v_add_co_ci_u32_e64 v3, null, s17, v3, vcc_lo
	s_delay_alu instid0(VALU_DEP_2) | instskip(SKIP_1) | instid1(VALU_DEP_2)
	v_add_co_u32 v2, vcc_lo, v2, v15
	s_wait_alu 0xfffd
	v_add_co_ci_u32_e64 v3, null, 0, v3, vcc_lo
.LBB111_5:                              ;   Parent Loop BB111_3 Depth=1
                                        ; =>  This Inner Loop Header: Depth=2
	flat_load_b64 v[7:8], v[2:3]
	s_wait_alu 0xfffe
	v_add_co_u32 v2, vcc_lo, v2, s12
	s_wait_alu 0xfffd
	v_add_co_ci_u32_e64 v3, null, s13, v3, vcc_lo
	s_add_co_i32 s18, s18, -1
	s_wait_alu 0xfffe
	s_cmp_eq_u32 s18, 0
	s_wait_loadcnt_dscnt 0x0
	ds_store_b64 v6, v[7:8]
	v_add_nc_u32_e32 v6, 0x200, v6
	s_cbranch_scc0 .LBB111_5
; %bb.6:                                ;   in Loop: Header=BB111_3 Depth=1
	s_and_b32 vcc_lo, exec_lo, s25
	s_wait_alu 0xfffe
	s_cbranch_vccz .LBB111_8
; %bb.7:                                ;   in Loop: Header=BB111_3 Depth=1
	ds_store_b64 v14, v[4:5]
.LBB111_8:                              ;   in Loop: Header=BB111_3 Depth=1
	s_wait_alu 0xfffe
	s_or_b32 exec_lo, exec_lo, s37
	s_wait_loadcnt 0x0
	v_add_co_u32 v0, vcc_lo, v0, s10
	s_wait_alu 0xfffd
	v_add_co_ci_u32_e64 v1, null, s11, v1, vcc_lo
	s_delay_alu instid0(VALU_DEP_2) | instskip(SKIP_1) | instid1(VALU_DEP_2)
	v_add_co_u32 v16, vcc_lo, v0, s20
	s_wait_alu 0xfffd
	v_add_co_ci_u32_e64 v17, null, s21, v1, vcc_lo
	s_and_saveexec_b32 s18, s29
	s_cbranch_execz .LBB111_11
; %bb.9:                                ;   in Loop: Header=BB111_3 Depth=1
	v_add_co_u32 v0, vcc_lo, v16, v15
	s_wait_alu 0xfffd
	v_add_co_ci_u32_e64 v1, null, 0, v17, vcc_lo
	v_mov_b32_e32 v2, v11
	s_mov_b32 s19, s23
.LBB111_10:                             ;   Parent Loop BB111_3 Depth=1
                                        ; =>  This Inner Loop Header: Depth=2
	flat_load_b64 v[6:7], v[0:1]
	s_wait_alu 0xfffe
	v_add_co_u32 v0, vcc_lo, v0, s14
	s_wait_alu 0xfffd
	v_add_co_ci_u32_e64 v1, null, s15, v1, vcc_lo
	s_add_co_i32 s19, s19, -1
	s_wait_alu 0xfffe
	s_cmp_lg_u32 s19, 0
	s_wait_loadcnt_dscnt 0x0
	v_mul_f64_e32 v[6:7], s[4:5], v[6:7]
	ds_store_b64 v2, v[6:7]
	v_add_nc_u32_e32 v2, 0x200, v2
	s_cbranch_scc1 .LBB111_10
.LBB111_11:                             ;   in Loop: Header=BB111_3 Depth=1
	s_wait_alu 0xfffe
	s_or_b32 exec_lo, exec_lo, s18
	s_delay_alu instid0(SALU_CYCLE_1)
	s_and_b32 vcc_lo, exec_lo, s27
	s_mov_b32 s18, -1
	s_wait_dscnt 0x0
	s_barrier_signal -1
	s_barrier_wait -1
	global_inv scope:SCOPE_SE
	s_wait_alu 0xfffe
	s_cbranch_vccz .LBB111_67
; %bb.12:                               ;   in Loop: Header=BB111_3 Depth=1
	s_and_b32 vcc_lo, exec_lo, s26
	s_wait_alu 0xfffe
	s_cbranch_vccz .LBB111_46
; %bb.13:                               ;   in Loop: Header=BB111_3 Depth=1
	v_cmp_ne_u32_e32 vcc_lo, 1, v12
	s_cbranch_vccnz .LBB111_26
; %bb.14:                               ;   in Loop: Header=BB111_3 Depth=1
	s_and_not1_b32 vcc_lo, exec_lo, s28
	s_mov_b32 s37, 0
	s_wait_alu 0xfffe
	s_cbranch_vccnz .LBB111_20
; %bb.15:                               ;   in Loop: Header=BB111_3 Depth=1
	s_mov_b32 s18, 0
	s_mov_b32 s19, 0
.LBB111_16:                             ;   Parent Loop BB111_3 Depth=1
                                        ; =>  This Loop Header: Depth=2
                                        ;       Child Loop BB111_17 Depth 3
	s_wait_alu 0xfffe
	s_lshl_b32 s38, s19, 9
	s_or_b32 s37, s19, 1
	s_wait_alu 0xfffe
	v_dual_mov_b32 v21, v11 :: v_dual_add_nc_u32 v18, s38, v11
	s_or_b32 s39, s38, 0x600
	v_lshl_add_u32 v20, s37, 9, v11
	s_wait_alu 0xfffe
	v_add_nc_u32_e32 v19, s39, v11
	ds_load_2addr_stride64_b64 v[0:3], v18 offset1:2
	ds_load_b64 v[8:9], v20
	ds_load_b64 v[6:7], v19
	s_cmp_eq_u32 s19, 0
	s_mov_b32 s39, s18
	s_mov_b32 s40, s19
	s_cbranch_scc1 .LBB111_18
.LBB111_17:                             ;   Parent Loop BB111_3 Depth=1
                                        ;     Parent Loop BB111_16 Depth=2
                                        ; =>    This Inner Loop Header: Depth=3
	s_wait_alu 0xfffe
	v_mov_b32_e32 v26, s39
	s_add_co_i32 s40, s40, -1
	s_addk_co_i32 s39, 0x200
	s_wait_alu 0xfffe
	s_cmp_eq_u32 s40, 0
	ds_load_b64 v[30:31], v21
	ds_load_b128 v[22:25], v26
	ds_load_b128 v[26:29], v26 offset:16
	v_add_nc_u32_e32 v21, 0x200, v21
	s_wait_dscnt 0x1
	v_fma_f64 v[0:1], -v[30:31], v[22:23], v[0:1]
	v_fma_f64 v[8:9], -v[30:31], v[24:25], v[8:9]
	s_wait_dscnt 0x0
	v_fma_f64 v[2:3], -v[30:31], v[26:27], v[2:3]
	v_fma_f64 v[6:7], -v[30:31], v[28:29], v[6:7]
	s_cbranch_scc0 .LBB111_17
.LBB111_18:                             ;   in Loop: Header=BB111_16 Depth=2
	s_lshl_b32 s39, s19, 3
	s_lshl_b32 s37, s37, 3
	s_wait_alu 0xfffe
	s_add_co_i32 s38, s39, s38
	s_wait_alu 0xfffe
	v_dual_mov_b32 v42, s38 :: v_dual_add_nc_u32 v21, 0x400, v18
	s_addk_co_i32 s38, 0x208
	s_add_co_i32 s18, s18, 32
	s_wait_alu 0xfffe
	s_sub_co_i32 s37, s38, s37
	ds_load_b128 v[22:25], v42
	ds_load_b128 v[26:29], v42 offset:16
	s_wait_alu 0xfffe
	s_add_co_i32 s37, s37, s39
	s_wait_dscnt 0x1
	v_div_scale_f64 v[30:31], null, v[22:23], v[22:23], v[0:1]
	v_div_scale_f64 v[36:37], vcc_lo, v[0:1], v[22:23], v[0:1]
	s_delay_alu instid0(VALU_DEP_2) | instskip(NEXT) | instid1(TRANS32_DEP_1)
	v_rcp_f64_e32 v[32:33], v[30:31]
	v_fma_f64 v[34:35], -v[30:31], v[32:33], 1.0
	s_delay_alu instid0(VALU_DEP_1) | instskip(NEXT) | instid1(VALU_DEP_1)
	v_fma_f64 v[32:33], v[32:33], v[34:35], v[32:33]
	v_fma_f64 v[34:35], -v[30:31], v[32:33], 1.0
	s_delay_alu instid0(VALU_DEP_1) | instskip(NEXT) | instid1(VALU_DEP_1)
	v_fma_f64 v[32:33], v[32:33], v[34:35], v[32:33]
	v_mul_f64_e32 v[34:35], v[36:37], v[32:33]
	s_delay_alu instid0(VALU_DEP_1) | instskip(SKIP_1) | instid1(VALU_DEP_1)
	v_fma_f64 v[30:31], -v[30:31], v[34:35], v[36:37]
	s_wait_alu 0xfffd
	v_div_fmas_f64 v[30:31], v[30:31], v[32:33], v[34:35]
	s_delay_alu instid0(VALU_DEP_1) | instskip(NEXT) | instid1(VALU_DEP_1)
	v_div_fixup_f64 v[0:1], v[30:31], v[22:23], v[0:1]
	v_fma_f64 v[8:9], -v[0:1], v[24:25], v[8:9]
	ds_load_2addr_b64 v[22:25], v42 offset0:65 offset1:66
	ds_load_b128 v[30:33], v42 offset:1040
	s_wait_dscnt 0x2
	v_fma_f64 v[2:3], -v[0:1], v[26:27], v[2:3]
	v_fma_f64 v[6:7], -v[0:1], v[28:29], v[6:7]
	s_wait_dscnt 0x1
	v_div_scale_f64 v[34:35], null, v[22:23], v[22:23], v[8:9]
	v_div_scale_f64 v[40:41], vcc_lo, v[8:9], v[22:23], v[8:9]
	s_delay_alu instid0(VALU_DEP_2) | instskip(NEXT) | instid1(TRANS32_DEP_1)
	v_rcp_f64_e32 v[36:37], v[34:35]
	v_fma_f64 v[38:39], -v[34:35], v[36:37], 1.0
	s_delay_alu instid0(VALU_DEP_1) | instskip(NEXT) | instid1(VALU_DEP_1)
	v_fma_f64 v[36:37], v[36:37], v[38:39], v[36:37]
	v_fma_f64 v[38:39], -v[34:35], v[36:37], 1.0
	s_delay_alu instid0(VALU_DEP_1) | instskip(NEXT) | instid1(VALU_DEP_1)
	v_fma_f64 v[36:37], v[36:37], v[38:39], v[36:37]
	v_mul_f64_e32 v[38:39], v[40:41], v[36:37]
	s_delay_alu instid0(VALU_DEP_1) | instskip(SKIP_1) | instid1(VALU_DEP_1)
	v_fma_f64 v[34:35], -v[34:35], v[38:39], v[40:41]
	s_wait_alu 0xfffd
	v_div_fmas_f64 v[34:35], v[34:35], v[36:37], v[38:39]
	s_delay_alu instid0(VALU_DEP_1) | instskip(NEXT) | instid1(VALU_DEP_1)
	v_div_fixup_f64 v[8:9], v[34:35], v[22:23], v[8:9]
	v_fma_f64 v[2:3], -v[8:9], v[24:25], v[2:3]
	s_wait_dscnt 0x0
	s_delay_alu instid0(VALU_DEP_1) | instskip(SKIP_1) | instid1(VALU_DEP_2)
	v_div_scale_f64 v[22:23], null, v[30:31], v[30:31], v[2:3]
	v_div_scale_f64 v[34:35], vcc_lo, v[2:3], v[30:31], v[2:3]
	v_rcp_f64_e32 v[24:25], v[22:23]
	s_delay_alu instid0(TRANS32_DEP_1) | instskip(NEXT) | instid1(VALU_DEP_1)
	v_fma_f64 v[26:27], -v[22:23], v[24:25], 1.0
	v_fma_f64 v[24:25], v[24:25], v[26:27], v[24:25]
	s_delay_alu instid0(VALU_DEP_1) | instskip(NEXT) | instid1(VALU_DEP_1)
	v_fma_f64 v[26:27], -v[22:23], v[24:25], 1.0
	v_fma_f64 v[24:25], v[24:25], v[26:27], v[24:25]
	s_delay_alu instid0(VALU_DEP_1) | instskip(NEXT) | instid1(VALU_DEP_1)
	v_mul_f64_e32 v[26:27], v[34:35], v[24:25]
	v_fma_f64 v[22:23], -v[22:23], v[26:27], v[34:35]
	s_wait_alu 0xfffd
	s_delay_alu instid0(VALU_DEP_1)
	v_div_fmas_f64 v[22:23], v[22:23], v[24:25], v[26:27]
	s_wait_alu 0xfffe
	v_mov_b32_e32 v24, s37
	s_add_co_i32 s37, s19, 4
	s_add_co_i32 s19, s19, 7
	ds_load_b64 v[24:25], v24 offset:24
	ds_load_b64 v[26:27], v42 offset:1560
	s_wait_alu 0xfffe
	s_cmp_ge_i32 s19, s1
	s_wait_dscnt 0x1
	v_fma_f64 v[6:7], -v[8:9], v[24:25], v[6:7]
	v_div_fixup_f64 v[2:3], v[22:23], v[30:31], v[2:3]
	s_delay_alu instid0(VALU_DEP_1) | instskip(SKIP_1) | instid1(VALU_DEP_1)
	v_fma_f64 v[6:7], -v[2:3], v[32:33], v[6:7]
	s_wait_dscnt 0x0
	v_div_scale_f64 v[22:23], null, v[26:27], v[26:27], v[6:7]
	s_delay_alu instid0(VALU_DEP_1) | instskip(NEXT) | instid1(TRANS32_DEP_1)
	v_rcp_f64_e32 v[24:25], v[22:23]
	v_fma_f64 v[28:29], -v[22:23], v[24:25], 1.0
	s_delay_alu instid0(VALU_DEP_1) | instskip(NEXT) | instid1(VALU_DEP_1)
	v_fma_f64 v[24:25], v[24:25], v[28:29], v[24:25]
	v_fma_f64 v[28:29], -v[22:23], v[24:25], 1.0
	s_delay_alu instid0(VALU_DEP_1) | instskip(SKIP_1) | instid1(VALU_DEP_1)
	v_fma_f64 v[24:25], v[24:25], v[28:29], v[24:25]
	v_div_scale_f64 v[28:29], vcc_lo, v[6:7], v[26:27], v[6:7]
	v_mul_f64_e32 v[30:31], v[28:29], v[24:25]
	s_delay_alu instid0(VALU_DEP_1) | instskip(SKIP_1) | instid1(VALU_DEP_1)
	v_fma_f64 v[22:23], -v[22:23], v[30:31], v[28:29]
	s_wait_alu 0xfffd
	v_div_fmas_f64 v[22:23], v[22:23], v[24:25], v[30:31]
	s_delay_alu instid0(VALU_DEP_1)
	v_div_fixup_f64 v[6:7], v[22:23], v[26:27], v[6:7]
	ds_store_b64 v18, v[0:1]
	ds_store_b64 v20, v[8:9]
	;; [unrolled: 1-line block ×4, first 2 shown]
	s_cbranch_scc1 .LBB111_20
; %bb.19:                               ;   in Loop: Header=BB111_16 Depth=2
	s_mov_b32 s19, s37
	s_branch .LBB111_16
.LBB111_20:                             ;   in Loop: Header=BB111_3 Depth=1
	s_wait_alu 0xfffe
	s_cmp_ge_i32 s37, s1
	s_cbranch_scc1 .LBB111_25
; %bb.21:                               ;   in Loop: Header=BB111_3 Depth=1
	s_lshl_b32 s18, s37, 3
	s_branch .LBB111_23
.LBB111_22:                             ;   in Loop: Header=BB111_23 Depth=2
	s_lshl_b32 s38, s37, 3
	s_add_co_i32 s37, s37, 1
	s_wait_alu 0xfffe
	s_add_co_i32 s19, s38, s19
	s_add_co_i32 s18, s18, 8
	s_wait_alu 0xfffe
	v_mov_b32_e32 v3, s19
	s_cmp_ge_i32 s37, s1
	ds_load_b64 v[6:7], v3
	s_wait_dscnt 0x0
	v_div_scale_f64 v[8:9], null, v[6:7], v[6:7], v[0:1]
	s_delay_alu instid0(VALU_DEP_1) | instskip(NEXT) | instid1(TRANS32_DEP_1)
	v_rcp_f64_e32 v[18:19], v[8:9]
	v_fma_f64 v[20:21], -v[8:9], v[18:19], 1.0
	s_delay_alu instid0(VALU_DEP_1) | instskip(NEXT) | instid1(VALU_DEP_1)
	v_fma_f64 v[18:19], v[18:19], v[20:21], v[18:19]
	v_fma_f64 v[20:21], -v[8:9], v[18:19], 1.0
	s_delay_alu instid0(VALU_DEP_1) | instskip(SKIP_1) | instid1(VALU_DEP_1)
	v_fma_f64 v[18:19], v[18:19], v[20:21], v[18:19]
	v_div_scale_f64 v[20:21], vcc_lo, v[0:1], v[6:7], v[0:1]
	v_mul_f64_e32 v[22:23], v[20:21], v[18:19]
	s_delay_alu instid0(VALU_DEP_1) | instskip(SKIP_1) | instid1(VALU_DEP_1)
	v_fma_f64 v[8:9], -v[8:9], v[22:23], v[20:21]
	s_wait_alu 0xfffd
	v_div_fmas_f64 v[8:9], v[8:9], v[18:19], v[22:23]
	s_delay_alu instid0(VALU_DEP_1)
	v_div_fixup_f64 v[0:1], v[8:9], v[6:7], v[0:1]
	ds_store_b64 v2, v[0:1]
	s_cbranch_scc1 .LBB111_25
.LBB111_23:                             ;   Parent Loop BB111_3 Depth=1
                                        ; =>  This Loop Header: Depth=2
                                        ;       Child Loop BB111_24 Depth 3
	s_lshl_b32 s19, s37, 9
	s_cmp_eq_u32 s37, 0
	s_wait_alu 0xfffe
	v_dual_mov_b32 v3, v11 :: v_dual_add_nc_u32 v2, s19, v11
	s_mov_b32 s38, s18
	s_mov_b32 s39, s37
	ds_load_b64 v[0:1], v2
	s_cbranch_scc1 .LBB111_22
.LBB111_24:                             ;   Parent Loop BB111_3 Depth=1
                                        ;     Parent Loop BB111_23 Depth=2
                                        ; =>    This Inner Loop Header: Depth=3
	s_wait_alu 0xfffe
	v_mov_b32_e32 v8, s38
	s_add_co_i32 s39, s39, -1
	s_addk_co_i32 s38, 0x200
	s_wait_alu 0xfffe
	s_cmp_eq_u32 s39, 0
	ds_load_b64 v[6:7], v3
	ds_load_b64 v[8:9], v8
	v_add_nc_u32_e32 v3, 0x200, v3
	s_wait_dscnt 0x0
	v_fma_f64 v[0:1], -v[6:7], v[8:9], v[0:1]
	s_cbranch_scc0 .LBB111_24
	s_branch .LBB111_22
.LBB111_25:                             ;   in Loop: Header=BB111_3 Depth=1
	s_mov_b32 s18, 0
.LBB111_26:                             ;   in Loop: Header=BB111_3 Depth=1
	s_wait_alu 0xfffe
	s_and_b32 vcc_lo, exec_lo, s18
	s_wait_alu 0xfffe
	s_cbranch_vccz .LBB111_45
; %bb.27:                               ;   in Loop: Header=BB111_3 Depth=1
	s_mov_b32 s37, s24
	s_and_not1_b32 vcc_lo, exec_lo, s28
	s_mov_b32 s18, s30
	s_mov_b32 s19, s24
	s_wait_alu 0xfffe
	s_cbranch_vccnz .LBB111_32
.LBB111_28:                             ;   Parent Loop BB111_3 Depth=1
                                        ; =>  This Loop Header: Depth=2
                                        ;       Child Loop BB111_29 Depth 3
	s_wait_alu 0xfffe
	s_add_co_i32 s39, s19, -1
	s_add_co_i32 s40, s19, -3
	v_lshl_add_u32 v18, s19, 9, v11
	s_add_co_i32 s38, s19, -2
	s_wait_alu 0xfffe
	v_lshl_add_u32 v19, s39, 9, v11
	s_lshl_b32 s37, s40, 9
	v_lshl_add_u32 v20, s38, 9, v11
	s_wait_alu 0xfffe
	v_dual_mov_b32 v22, v13 :: v_dual_add_nc_u32 v21, s37, v11
	ds_load_b64 v[8:9], v18
	ds_load_b64 v[6:7], v19
	;; [unrolled: 1-line block ×4, first 2 shown]
	s_cmp_le_i32 s24, s19
	s_mov_b32 s41, s18
	s_mov_b32 s42, s24
	s_cbranch_scc1 .LBB111_30
.LBB111_29:                             ;   Parent Loop BB111_3 Depth=1
                                        ;     Parent Loop BB111_28 Depth=2
                                        ; =>    This Inner Loop Header: Depth=3
	s_wait_alu 0xfffe
	v_mov_b32_e32 v27, s41
	s_add_co_i32 s42, s42, -1
	s_addk_co_i32 s41, 0xfe00
	s_wait_alu 0xfffe
	s_cmp_le_i32 s42, s19
	ds_load_b64 v[31:32], v22
	ds_load_2addr_b64 v[23:26], v27 offset0:2 offset1:3
	ds_load_2addr_b64 v[27:30], v27 offset1:1
	v_add_nc_u32_e32 v22, 0xfffffe00, v22
	s_wait_dscnt 0x1
	v_fma_f64 v[8:9], -v[31:32], v[25:26], v[8:9]
	v_fma_f64 v[6:7], -v[31:32], v[23:24], v[6:7]
	s_wait_dscnt 0x0
	v_fma_f64 v[2:3], -v[31:32], v[29:30], v[2:3]
	v_fma_f64 v[0:1], -v[31:32], v[27:28], v[0:1]
	s_cbranch_scc0 .LBB111_29
.LBB111_30:                             ;   in Loop: Header=BB111_28 Depth=2
	s_lshl_b32 s41, s19, 3
	s_lshl_b32 s42, s19, 9
	;; [unrolled: 1-line block ×3, first 2 shown]
	s_wait_alu 0xfffe
	s_add_co_i32 s42, s41, s42
	s_sub_co_i32 s18, s18, 32
	s_wait_alu 0xfffe
	s_add_co_i32 s43, s42, -8
	s_sub_co_i32 s42, s42, 24
	s_wait_alu 0xfffe
	v_mov_b32_e32 v22, s43
	s_lshl_b32 s43, s39, 9
	s_lshl_b32 s39, s39, 3
	s_wait_alu 0xfffe
	s_add_co_i32 s43, s41, s43
	ds_load_2addr_b64 v[22:25], v22 offset1:1
	s_wait_alu 0xfffe
	s_add_co_i32 s43, s43, -8
	s_wait_alu 0xfffe
	v_mov_b32_e32 v26, s43
	s_sub_co_i32 s39, s43, s39
	s_wait_alu 0xfffe
	s_add_co_i32 s39, s39, s40
	ds_load_b64 v[26:27], v26
	s_wait_dscnt 0x1
	v_div_scale_f64 v[28:29], null, v[24:25], v[24:25], v[8:9]
	v_div_scale_f64 v[34:35], vcc_lo, v[8:9], v[24:25], v[8:9]
	s_delay_alu instid0(VALU_DEP_2) | instskip(NEXT) | instid1(TRANS32_DEP_1)
	v_rcp_f64_e32 v[30:31], v[28:29]
	v_fma_f64 v[32:33], -v[28:29], v[30:31], 1.0
	s_delay_alu instid0(VALU_DEP_1) | instskip(NEXT) | instid1(VALU_DEP_1)
	v_fma_f64 v[30:31], v[30:31], v[32:33], v[30:31]
	v_fma_f64 v[32:33], -v[28:29], v[30:31], 1.0
	s_delay_alu instid0(VALU_DEP_1) | instskip(NEXT) | instid1(VALU_DEP_1)
	v_fma_f64 v[30:31], v[30:31], v[32:33], v[30:31]
	v_mul_f64_e32 v[32:33], v[34:35], v[30:31]
	s_delay_alu instid0(VALU_DEP_1) | instskip(SKIP_1) | instid1(VALU_DEP_1)
	v_fma_f64 v[28:29], -v[28:29], v[32:33], v[34:35]
	s_wait_alu 0xfffd
	v_div_fmas_f64 v[28:29], v[28:29], v[30:31], v[32:33]
	s_delay_alu instid0(VALU_DEP_1) | instskip(NEXT) | instid1(VALU_DEP_1)
	v_div_fixup_f64 v[28:29], v[28:29], v[24:25], v[8:9]
	v_fma_f64 v[30:31], -v[28:29], v[22:23], v[6:7]
	s_wait_dscnt 0x0
	s_delay_alu instid0(VALU_DEP_1) | instskip(SKIP_1) | instid1(VALU_DEP_2)
	v_div_scale_f64 v[6:7], null, v[26:27], v[26:27], v[30:31]
	v_div_scale_f64 v[24:25], vcc_lo, v[30:31], v[26:27], v[30:31]
	v_rcp_f64_e32 v[8:9], v[6:7]
	s_delay_alu instid0(TRANS32_DEP_1) | instskip(NEXT) | instid1(VALU_DEP_1)
	v_fma_f64 v[22:23], -v[6:7], v[8:9], 1.0
	v_fma_f64 v[8:9], v[8:9], v[22:23], v[8:9]
	s_delay_alu instid0(VALU_DEP_1) | instskip(NEXT) | instid1(VALU_DEP_1)
	v_fma_f64 v[22:23], -v[6:7], v[8:9], 1.0
	v_fma_f64 v[8:9], v[8:9], v[22:23], v[8:9]
	s_delay_alu instid0(VALU_DEP_1) | instskip(NEXT) | instid1(VALU_DEP_1)
	v_mul_f64_e32 v[22:23], v[24:25], v[8:9]
	v_fma_f64 v[6:7], -v[6:7], v[22:23], v[24:25]
	s_wait_alu 0xfffd
	s_delay_alu instid0(VALU_DEP_1)
	v_div_fmas_f64 v[32:33], v[6:7], v[8:9], v[22:23]
	v_mov_b32_e32 v6, s42
	s_wait_alu 0xfffe
	v_mov_b32_e32 v22, s39
	s_lshl_b32 s39, s38, 9
	s_lshl_b32 s38, s38, 3
	s_wait_alu 0xfffe
	s_add_co_i32 s39, s41, s39
	ds_load_2addr_b64 v[6:9], v6 offset1:1
	ds_load_2addr_b64 v[22:25], v22 offset1:1
	s_wait_alu 0xfffe
	s_sub_co_i32 s38, s39, s38
	s_add_co_i32 s41, s41, s37
	s_wait_alu 0xfffe
	s_add_co_i32 s38, s38, s40
	s_sub_co_i32 s37, s41, 24
	s_wait_alu 0xfffe
	s_add_co_i32 s38, s38, -16
	s_wait_dscnt 0x1
	v_fma_f64 v[2:3], -v[28:29], v[8:9], v[2:3]
	v_fma_f64 v[0:1], -v[28:29], v[6:7], v[0:1]
	v_div_fixup_f64 v[8:9], v[32:33], v[26:27], v[30:31]
	v_mov_b32_e32 v30, s37
	s_add_co_i32 s37, s19, -4
	s_cmp_lt_i32 s19, 7
	ds_load_b64 v[30:31], v30
	s_wait_dscnt 0x1
	v_fma_f64 v[2:3], -v[8:9], v[24:25], v[2:3]
	s_wait_alu 0xfffe
	v_mov_b32_e32 v24, s38
	v_fma_f64 v[0:1], -v[8:9], v[22:23], v[0:1]
	ds_load_2addr_b64 v[24:27], v24 offset1:1
	s_wait_dscnt 0x0
	v_div_scale_f64 v[32:33], null, v[26:27], v[26:27], v[2:3]
	v_div_scale_f64 v[38:39], vcc_lo, v[2:3], v[26:27], v[2:3]
	s_delay_alu instid0(VALU_DEP_2) | instskip(NEXT) | instid1(TRANS32_DEP_1)
	v_rcp_f64_e32 v[34:35], v[32:33]
	v_fma_f64 v[36:37], -v[32:33], v[34:35], 1.0
	s_delay_alu instid0(VALU_DEP_1) | instskip(NEXT) | instid1(VALU_DEP_1)
	v_fma_f64 v[34:35], v[34:35], v[36:37], v[34:35]
	v_fma_f64 v[36:37], -v[32:33], v[34:35], 1.0
	s_delay_alu instid0(VALU_DEP_1) | instskip(NEXT) | instid1(VALU_DEP_1)
	v_fma_f64 v[34:35], v[34:35], v[36:37], v[34:35]
	v_mul_f64_e32 v[36:37], v[38:39], v[34:35]
	s_delay_alu instid0(VALU_DEP_1) | instskip(SKIP_1) | instid1(VALU_DEP_1)
	v_fma_f64 v[32:33], -v[32:33], v[36:37], v[38:39]
	s_wait_alu 0xfffd
	v_div_fmas_f64 v[6:7], v[32:33], v[34:35], v[36:37]
	s_delay_alu instid0(VALU_DEP_1) | instskip(NEXT) | instid1(VALU_DEP_1)
	v_div_fixup_f64 v[2:3], v[6:7], v[26:27], v[2:3]
	v_fma_f64 v[0:1], -v[2:3], v[24:25], v[0:1]
	s_delay_alu instid0(VALU_DEP_1) | instskip(NEXT) | instid1(VALU_DEP_1)
	v_div_scale_f64 v[6:7], null, v[30:31], v[30:31], v[0:1]
	v_rcp_f64_e32 v[22:23], v[6:7]
	s_delay_alu instid0(TRANS32_DEP_1) | instskip(NEXT) | instid1(VALU_DEP_1)
	v_fma_f64 v[24:25], -v[6:7], v[22:23], 1.0
	v_fma_f64 v[22:23], v[22:23], v[24:25], v[22:23]
	s_delay_alu instid0(VALU_DEP_1) | instskip(NEXT) | instid1(VALU_DEP_1)
	v_fma_f64 v[24:25], -v[6:7], v[22:23], 1.0
	v_fma_f64 v[22:23], v[22:23], v[24:25], v[22:23]
	v_div_scale_f64 v[24:25], vcc_lo, v[0:1], v[30:31], v[0:1]
	s_delay_alu instid0(VALU_DEP_1) | instskip(NEXT) | instid1(VALU_DEP_1)
	v_mul_f64_e32 v[26:27], v[24:25], v[22:23]
	v_fma_f64 v[6:7], -v[6:7], v[26:27], v[24:25]
	s_wait_alu 0xfffd
	s_delay_alu instid0(VALU_DEP_1) | instskip(NEXT) | instid1(VALU_DEP_1)
	v_div_fmas_f64 v[6:7], v[6:7], v[22:23], v[26:27]
	v_div_fixup_f64 v[0:1], v[6:7], v[30:31], v[0:1]
	ds_store_b64 v18, v[28:29]
	ds_store_b64 v19, v[8:9]
	;; [unrolled: 1-line block ×4, first 2 shown]
	s_cbranch_scc1 .LBB111_32
; %bb.31:                               ;   in Loop: Header=BB111_28 Depth=2
	s_mov_b32 s19, s37
	s_branch .LBB111_28
.LBB111_32:                             ;   in Loop: Header=BB111_3 Depth=1
	s_cmp_lt_i32 s37, 0
	s_cbranch_scc1 .LBB111_45
; %bb.33:                               ;   in Loop: Header=BB111_3 Depth=1
	s_bitcmp1_b32 s37, 0
	s_cselect_b32 s18, -1, 0
	s_wait_alu 0xfffe
	s_and_b32 vcc_lo, exec_lo, s18
	s_mov_b32 s18, s37
	s_wait_alu 0xfffe
	s_cbranch_vccnz .LBB111_38
; %bb.34:                               ;   in Loop: Header=BB111_3 Depth=1
	s_lshl_b32 s18, s37, 9
	s_cmp_le_i32 s24, s37
	s_wait_alu 0xfffe
	v_add_nc_u32_e32 v2, s18, v11
	ds_load_b64 v[0:1], v2
	s_cbranch_scc1 .LBB111_37
; %bb.35:                               ;   in Loop: Header=BB111_3 Depth=1
	v_mov_b32_e32 v3, v13
	s_lshl_b32 s19, s37, 3
	s_mov_b32 s38, s24
	s_wait_alu 0xfffe
	s_add_co_i32 s19, s31, s19
.LBB111_36:                             ;   Parent Loop BB111_3 Depth=1
                                        ; =>  This Inner Loop Header: Depth=2
	s_wait_alu 0xfffe
	v_mov_b32_e32 v8, s19
	s_add_co_i32 s38, s38, -1
	s_addk_co_i32 s19, 0xfe00
	s_wait_alu 0xfffe
	s_cmp_gt_i32 s38, s37
	ds_load_b64 v[6:7], v3
	ds_load_b64 v[8:9], v8
	v_add_nc_u32_e32 v3, 0xfffffe00, v3
	s_wait_dscnt 0x0
	v_fma_f64 v[0:1], -v[6:7], v[8:9], v[0:1]
	s_cbranch_scc1 .LBB111_36
.LBB111_37:                             ;   in Loop: Header=BB111_3 Depth=1
	s_lshl_b32 s19, s37, 3
	s_wait_alu 0xfffe
	s_add_co_i32 s18, s19, s18
	s_wait_alu 0xfffe
	v_mov_b32_e32 v3, s18
	s_add_co_i32 s18, s37, -1
	ds_load_b64 v[6:7], v3
	s_wait_dscnt 0x0
	v_div_scale_f64 v[8:9], null, v[6:7], v[6:7], v[0:1]
	s_delay_alu instid0(VALU_DEP_1) | instskip(NEXT) | instid1(TRANS32_DEP_1)
	v_rcp_f64_e32 v[18:19], v[8:9]
	v_fma_f64 v[20:21], -v[8:9], v[18:19], 1.0
	s_delay_alu instid0(VALU_DEP_1) | instskip(NEXT) | instid1(VALU_DEP_1)
	v_fma_f64 v[18:19], v[18:19], v[20:21], v[18:19]
	v_fma_f64 v[20:21], -v[8:9], v[18:19], 1.0
	s_delay_alu instid0(VALU_DEP_1) | instskip(SKIP_1) | instid1(VALU_DEP_1)
	v_fma_f64 v[18:19], v[18:19], v[20:21], v[18:19]
	v_div_scale_f64 v[20:21], vcc_lo, v[0:1], v[6:7], v[0:1]
	v_mul_f64_e32 v[22:23], v[20:21], v[18:19]
	s_delay_alu instid0(VALU_DEP_1) | instskip(SKIP_1) | instid1(VALU_DEP_1)
	v_fma_f64 v[8:9], -v[8:9], v[22:23], v[20:21]
	s_wait_alu 0xfffd
	v_div_fmas_f64 v[8:9], v[8:9], v[18:19], v[22:23]
	s_delay_alu instid0(VALU_DEP_1)
	v_div_fixup_f64 v[0:1], v[8:9], v[6:7], v[0:1]
	ds_store_b64 v2, v[0:1]
.LBB111_38:                             ;   in Loop: Header=BB111_3 Depth=1
	s_cmp_eq_u32 s37, 0
	s_cbranch_scc1 .LBB111_45
; %bb.39:                               ;   in Loop: Header=BB111_3 Depth=1
	s_wait_alu 0xfffe
	s_lshl_b32 s37, s18, 3
	s_wait_alu 0xfffe
	s_add_co_i32 s19, s31, s37
	s_add_co_i32 s37, s33, s37
	s_branch .LBB111_41
.LBB111_40:                             ;   in Loop: Header=BB111_41 Depth=2
	s_add_co_i32 s38, s38, s39
	s_add_co_i32 s19, s19, -16
	s_wait_alu 0xfffe
	s_add_co_i32 s38, s38, -8
	s_add_co_i32 s37, s37, -16
	s_wait_alu 0xfffe
	v_mov_b32_e32 v0, s38
	s_add_co_i32 s38, s18, -2
	s_cmp_lt_i32 s18, 2
	s_wait_alu 0xfffe
	s_mov_b32 s18, s38
	ds_load_b64 v[0:1], v0
	s_wait_dscnt 0x0
	v_div_scale_f64 v[8:9], null, v[0:1], v[0:1], v[2:3]
	s_delay_alu instid0(VALU_DEP_1) | instskip(NEXT) | instid1(TRANS32_DEP_1)
	v_rcp_f64_e32 v[18:19], v[8:9]
	v_fma_f64 v[20:21], -v[8:9], v[18:19], 1.0
	s_delay_alu instid0(VALU_DEP_1) | instskip(NEXT) | instid1(VALU_DEP_1)
	v_fma_f64 v[18:19], v[18:19], v[20:21], v[18:19]
	v_fma_f64 v[20:21], -v[8:9], v[18:19], 1.0
	s_delay_alu instid0(VALU_DEP_1) | instskip(SKIP_1) | instid1(VALU_DEP_1)
	v_fma_f64 v[18:19], v[18:19], v[20:21], v[18:19]
	v_div_scale_f64 v[20:21], vcc_lo, v[2:3], v[0:1], v[2:3]
	v_mul_f64_e32 v[22:23], v[20:21], v[18:19]
	s_delay_alu instid0(VALU_DEP_1) | instskip(SKIP_1) | instid1(VALU_DEP_1)
	v_fma_f64 v[8:9], -v[8:9], v[22:23], v[20:21]
	s_wait_alu 0xfffd
	v_div_fmas_f64 v[8:9], v[8:9], v[18:19], v[22:23]
	s_delay_alu instid0(VALU_DEP_1)
	v_div_fixup_f64 v[0:1], v[8:9], v[0:1], v[2:3]
	ds_store_b64 v7, v[0:1]
	s_cbranch_scc1 .LBB111_45
.LBB111_41:                             ;   Parent Loop BB111_3 Depth=1
                                        ; =>  This Loop Header: Depth=2
                                        ;       Child Loop BB111_42 Depth 3
                                        ;       Child Loop BB111_44 Depth 3
	s_wait_alu 0xfffe
	s_lshl_b32 s39, s18, 9
	v_mov_b32_e32 v2, v13
	s_wait_alu 0xfffe
	v_add_nc_u32_e32 v6, s39, v11
	s_cmp_le_i32 s24, s18
	s_mov_b32 s38, s19
	s_mov_b32 s40, s24
	ds_load_b64 v[0:1], v6
	s_cbranch_scc1 .LBB111_43
.LBB111_42:                             ;   Parent Loop BB111_3 Depth=1
                                        ;     Parent Loop BB111_41 Depth=2
                                        ; =>    This Inner Loop Header: Depth=3
	s_wait_alu 0xfffe
	v_mov_b32_e32 v3, s38
	s_add_co_i32 s40, s40, -1
	s_addk_co_i32 s38, 0xfe00
	s_wait_alu 0xfffe
	s_cmp_le_i32 s40, s18
	ds_load_b64 v[7:8], v2
	ds_load_b64 v[18:19], v3
	v_add_nc_u32_e32 v2, 0xfffffe00, v2
	s_wait_dscnt 0x0
	v_fma_f64 v[0:1], -v[7:8], v[18:19], v[0:1]
	s_cbranch_scc0 .LBB111_42
.LBB111_43:                             ;   in Loop: Header=BB111_41 Depth=2
	s_lshl_b32 s38, s18, 3
	s_mov_b32 s41, s1
	s_wait_alu 0xfffe
	s_add_co_i32 s40, s38, s39
	s_addk_co_i32 s39, 0xfe00
	s_wait_alu 0xfffe
	v_dual_mov_b32 v2, s40 :: v_dual_add_nc_u32 v7, s39, v11
	s_cmp_le_i32 s1, s18
	s_mov_b32 s40, s37
	ds_load_b64 v[8:9], v2
	ds_load_b64 v[2:3], v7
	s_wait_dscnt 0x1
	v_div_scale_f64 v[18:19], null, v[8:9], v[8:9], v[0:1]
	s_delay_alu instid0(VALU_DEP_1) | instskip(NEXT) | instid1(TRANS32_DEP_1)
	v_rcp_f64_e32 v[20:21], v[18:19]
	v_fma_f64 v[22:23], -v[18:19], v[20:21], 1.0
	s_delay_alu instid0(VALU_DEP_1) | instskip(NEXT) | instid1(VALU_DEP_1)
	v_fma_f64 v[20:21], v[20:21], v[22:23], v[20:21]
	v_fma_f64 v[22:23], -v[18:19], v[20:21], 1.0
	s_delay_alu instid0(VALU_DEP_1) | instskip(SKIP_1) | instid1(VALU_DEP_1)
	v_fma_f64 v[20:21], v[20:21], v[22:23], v[20:21]
	v_div_scale_f64 v[22:23], vcc_lo, v[0:1], v[8:9], v[0:1]
	v_mul_f64_e32 v[24:25], v[22:23], v[20:21]
	s_delay_alu instid0(VALU_DEP_1) | instskip(SKIP_1) | instid1(VALU_DEP_1)
	v_fma_f64 v[18:19], -v[18:19], v[24:25], v[22:23]
	s_wait_alu 0xfffd
	v_div_fmas_f64 v[18:19], v[18:19], v[20:21], v[24:25]
	s_delay_alu instid0(VALU_DEP_1)
	v_div_fixup_f64 v[8:9], v[18:19], v[8:9], v[0:1]
	v_mov_b32_e32 v0, v13
	ds_store_b64 v6, v[8:9]
	s_cbranch_scc1 .LBB111_40
.LBB111_44:                             ;   Parent Loop BB111_3 Depth=1
                                        ;     Parent Loop BB111_41 Depth=2
                                        ; =>    This Inner Loop Header: Depth=3
	s_wait_alu 0xfffe
	v_mov_b32_e32 v1, s40
	s_add_co_i32 s41, s41, -1
	s_addk_co_i32 s40, 0xfe00
	s_wait_alu 0xfffe
	s_cmp_gt_i32 s41, s18
	ds_load_b64 v[8:9], v0
	ds_load_b64 v[18:19], v1
	v_add_nc_u32_e32 v0, 0xfffffe00, v0
	s_wait_dscnt 0x0
	v_fma_f64 v[2:3], -v[8:9], v[18:19], v[2:3]
	s_cbranch_scc1 .LBB111_44
	s_branch .LBB111_40
.LBB111_45:                             ;   in Loop: Header=BB111_3 Depth=1
	s_mov_b32 s18, 0
.LBB111_46:                             ;   in Loop: Header=BB111_3 Depth=1
	s_wait_alu 0xfffe
	s_and_not1_b32 vcc_lo, exec_lo, s18
	s_wait_alu 0xfffe
	s_cbranch_vccnz .LBB111_66
; %bb.47:                               ;   in Loop: Header=BB111_3 Depth=1
	s_mov_b32 s37, s24
	s_and_not1_b32 vcc_lo, exec_lo, s28
	s_mov_b32 s18, s34
	s_mov_b32 s19, s24
	s_wait_alu 0xfffe
	s_cbranch_vccnz .LBB111_53
.LBB111_48:                             ;   Parent Loop BB111_3 Depth=1
                                        ; =>  This Loop Header: Depth=2
                                        ;       Child Loop BB111_49 Depth 3
	s_wait_alu 0xfffe
	s_add_co_i32 s39, s19, -1
	v_lshl_add_u32 v18, s19, 9, v11
	s_add_co_i32 s38, s19, -2
	s_wait_alu 0xfffe
	v_lshl_add_u32 v19, s39, 9, v11
	s_add_co_i32 s37, s19, -3
	v_lshl_add_u32 v20, s38, 9, v11
	s_wait_alu 0xfffe
	v_lshl_add_u32 v21, s37, 9, v11
	ds_load_b64 v[8:9], v18
	ds_load_b64 v[6:7], v19
	;; [unrolled: 1-line block ×4, first 2 shown]
	v_mov_b32_e32 v22, v13
	s_cmp_le_i32 s24, s19
	s_mov_b32 s40, s18
	s_mov_b32 s41, s24
	s_cbranch_scc1 .LBB111_50
.LBB111_49:                             ;   Parent Loop BB111_3 Depth=1
                                        ;     Parent Loop BB111_48 Depth=2
                                        ; =>    This Inner Loop Header: Depth=3
	s_wait_alu 0xfffe
	v_mov_b32_e32 v27, s40
	s_add_co_i32 s41, s41, -1
	s_add_co_i32 s40, s40, -8
	s_wait_alu 0xfffe
	s_cmp_le_i32 s41, s19
	ds_load_b64 v[31:32], v22
	ds_load_2addr_stride64_b64 v[23:26], v27 offset0:2 offset1:3
	ds_load_2addr_stride64_b64 v[27:30], v27 offset1:1
	v_add_nc_u32_e32 v22, 0xfffffe00, v22
	s_wait_dscnt 0x1
	v_fma_f64 v[8:9], -v[31:32], v[25:26], v[8:9]
	v_fma_f64 v[6:7], -v[31:32], v[23:24], v[6:7]
	s_wait_dscnt 0x0
	v_fma_f64 v[2:3], -v[31:32], v[29:30], v[2:3]
	v_fma_f64 v[0:1], -v[31:32], v[27:28], v[0:1]
	s_cbranch_scc0 .LBB111_49
.LBB111_50:                             ;   in Loop: Header=BB111_48 Depth=2
	s_lshl_b32 s42, s39, 6
	s_lshl_b32 s41, s38, 6
	;; [unrolled: 1-line block ×3, first 2 shown]
; %bb.51:                               ;   in Loop: Header=BB111_48 Depth=2
	s_mul_i32 s43, s19, 0x208
	s_wait_alu 0xfffe
	s_lshl_b32 s42, s42, 3
	v_mov_b32_e32 v22, s43
	s_lshl_b32 s39, s39, 3
	s_lshl_b32 s38, s38, 3
	s_wait_alu 0xfffe
	s_add_co_i32 s39, s42, s39
	s_lshl_b32 s37, s37, 3
	ds_load_b64 v[26:27], v22
	s_wait_alu 0xfffe
	v_mov_b32_e32 v22, s39
	s_lshl_b32 s39, s41, 3
	s_lshl_b32 s41, s19, 3
	s_wait_alu 0xfffe
	s_add_co_i32 s38, s39, s38
	s_add_co_i32 s42, s39, s41
	ds_load_2addr_b64 v[22:25], v22 offset1:1
	s_addk_co_i32 s18, 0xf800
	s_wait_dscnt 0x1
	v_div_scale_f64 v[28:29], null, v[26:27], v[26:27], v[8:9]
	v_div_scale_f64 v[34:35], vcc_lo, v[8:9], v[26:27], v[8:9]
	s_delay_alu instid0(VALU_DEP_2) | instskip(NEXT) | instid1(TRANS32_DEP_1)
	v_rcp_f64_e32 v[30:31], v[28:29]
	v_fma_f64 v[32:33], -v[28:29], v[30:31], 1.0
	s_delay_alu instid0(VALU_DEP_1) | instskip(NEXT) | instid1(VALU_DEP_1)
	v_fma_f64 v[30:31], v[30:31], v[32:33], v[30:31]
	v_fma_f64 v[32:33], -v[28:29], v[30:31], 1.0
	s_delay_alu instid0(VALU_DEP_1) | instskip(NEXT) | instid1(VALU_DEP_1)
	v_fma_f64 v[30:31], v[30:31], v[32:33], v[30:31]
	v_mul_f64_e32 v[32:33], v[34:35], v[30:31]
	s_delay_alu instid0(VALU_DEP_1) | instskip(SKIP_1) | instid1(VALU_DEP_1)
	v_fma_f64 v[28:29], -v[28:29], v[32:33], v[34:35]
	s_wait_alu 0xfffd
	v_div_fmas_f64 v[28:29], v[28:29], v[30:31], v[32:33]
	s_delay_alu instid0(VALU_DEP_1) | instskip(SKIP_1) | instid1(VALU_DEP_1)
	v_div_fixup_f64 v[30:31], v[28:29], v[26:27], v[8:9]
	s_wait_dscnt 0x0
	v_fma_f64 v[24:25], -v[30:31], v[24:25], v[6:7]
	s_delay_alu instid0(VALU_DEP_1) | instskip(SKIP_1) | instid1(VALU_DEP_2)
	v_div_scale_f64 v[6:7], null, v[22:23], v[22:23], v[24:25]
	v_div_scale_f64 v[28:29], vcc_lo, v[24:25], v[22:23], v[24:25]
	v_rcp_f64_e32 v[8:9], v[6:7]
	s_delay_alu instid0(TRANS32_DEP_1) | instskip(NEXT) | instid1(VALU_DEP_1)
	v_fma_f64 v[26:27], -v[6:7], v[8:9], 1.0
	v_fma_f64 v[8:9], v[8:9], v[26:27], v[8:9]
	s_delay_alu instid0(VALU_DEP_1) | instskip(NEXT) | instid1(VALU_DEP_1)
	v_fma_f64 v[26:27], -v[6:7], v[8:9], 1.0
	v_fma_f64 v[8:9], v[8:9], v[26:27], v[8:9]
	s_delay_alu instid0(VALU_DEP_1) | instskip(NEXT) | instid1(VALU_DEP_1)
	v_mul_f64_e32 v[26:27], v[28:29], v[8:9]
	v_fma_f64 v[6:7], -v[6:7], v[26:27], v[28:29]
	s_wait_alu 0xfffd
	s_delay_alu instid0(VALU_DEP_1)
	v_div_fmas_f64 v[26:27], v[6:7], v[8:9], v[26:27]
	s_wait_alu 0xfffe
	v_mov_b32_e32 v6, s42
	ds_load_b64 v[28:29], v6
	v_mov_b32_e32 v6, s38
	s_lshl_b32 s38, s40, 3
	s_wait_alu 0xfffe
	s_add_co_i32 s39, s38, s41
	s_add_co_i32 s37, s38, s37
	ds_load_2addr_b64 v[6:9], v6 offset1:1
	s_wait_alu 0xfffe
	s_add_co_i32 s39, s39, -8
	s_wait_dscnt 0x1
	v_fma_f64 v[2:3], -v[30:31], v[28:29], v[2:3]
	v_div_fixup_f64 v[32:33], v[26:27], v[22:23], v[24:25]
	s_wait_dscnt 0x0
	s_delay_alu instid0(VALU_DEP_1) | instskip(NEXT) | instid1(VALU_DEP_1)
	v_fma_f64 v[2:3], -v[32:33], v[8:9], v[2:3]
	v_div_scale_f64 v[8:9], null, v[6:7], v[6:7], v[2:3]
	v_div_scale_f64 v[26:27], vcc_lo, v[2:3], v[6:7], v[2:3]
	s_delay_alu instid0(VALU_DEP_2) | instskip(NEXT) | instid1(TRANS32_DEP_1)
	v_rcp_f64_e32 v[22:23], v[8:9]
	v_fma_f64 v[24:25], -v[8:9], v[22:23], 1.0
	s_delay_alu instid0(VALU_DEP_1) | instskip(NEXT) | instid1(VALU_DEP_1)
	v_fma_f64 v[22:23], v[22:23], v[24:25], v[22:23]
	v_fma_f64 v[24:25], -v[8:9], v[22:23], 1.0
	s_delay_alu instid0(VALU_DEP_1) | instskip(SKIP_4) | instid1(VALU_DEP_1)
	v_fma_f64 v[34:35], v[22:23], v[24:25], v[22:23]
	s_wait_alu 0xfffe
	v_mov_b32_e32 v22, s39
	ds_load_2addr_b64 v[22:25], v22 offset1:1
	v_mul_f64_e32 v[36:37], v[26:27], v[34:35]
	v_fma_f64 v[8:9], -v[8:9], v[36:37], v[26:27]
	v_mov_b32_e32 v26, s37
	s_add_co_i32 s37, s19, -4
	s_cmp_lt_i32 s19, 7
	ds_load_2addr_b64 v[26:29], v26 offset1:1
	s_wait_dscnt 0x1
	v_fma_f64 v[0:1], -v[30:31], v[24:25], v[0:1]
	s_wait_alu 0xfffd
	v_div_fmas_f64 v[8:9], v[8:9], v[34:35], v[36:37]
	s_delay_alu instid0(VALU_DEP_2) | instskip(NEXT) | instid1(VALU_DEP_2)
	v_fma_f64 v[0:1], -v[32:33], v[22:23], v[0:1]
	v_div_fixup_f64 v[2:3], v[8:9], v[6:7], v[2:3]
	s_wait_dscnt 0x0
	s_delay_alu instid0(VALU_DEP_1) | instskip(NEXT) | instid1(VALU_DEP_1)
	v_fma_f64 v[0:1], -v[2:3], v[28:29], v[0:1]
	v_div_scale_f64 v[6:7], null, v[26:27], v[26:27], v[0:1]
	s_delay_alu instid0(VALU_DEP_1) | instskip(NEXT) | instid1(TRANS32_DEP_1)
	v_rcp_f64_e32 v[8:9], v[6:7]
	v_fma_f64 v[22:23], -v[6:7], v[8:9], 1.0
	s_delay_alu instid0(VALU_DEP_1) | instskip(NEXT) | instid1(VALU_DEP_1)
	v_fma_f64 v[8:9], v[8:9], v[22:23], v[8:9]
	v_fma_f64 v[22:23], -v[6:7], v[8:9], 1.0
	s_delay_alu instid0(VALU_DEP_1) | instskip(SKIP_1) | instid1(VALU_DEP_1)
	v_fma_f64 v[8:9], v[8:9], v[22:23], v[8:9]
	v_div_scale_f64 v[22:23], vcc_lo, v[0:1], v[26:27], v[0:1]
	v_mul_f64_e32 v[24:25], v[22:23], v[8:9]
	s_delay_alu instid0(VALU_DEP_1) | instskip(SKIP_1) | instid1(VALU_DEP_1)
	v_fma_f64 v[6:7], -v[6:7], v[24:25], v[22:23]
	s_wait_alu 0xfffd
	v_div_fmas_f64 v[6:7], v[6:7], v[8:9], v[24:25]
	s_delay_alu instid0(VALU_DEP_1)
	v_div_fixup_f64 v[0:1], v[6:7], v[26:27], v[0:1]
	ds_store_b64 v18, v[30:31]
	ds_store_b64 v19, v[32:33]
	;; [unrolled: 1-line block ×4, first 2 shown]
	s_cbranch_scc1 .LBB111_53
; %bb.52:                               ;   in Loop: Header=BB111_48 Depth=2
	s_wait_alu 0xfffe
	s_mov_b32 s19, s37
	s_branch .LBB111_48
.LBB111_53:                             ;   in Loop: Header=BB111_3 Depth=1
	s_wait_alu 0xfffe
	s_cmp_lt_i32 s37, 0
	s_cbranch_scc1 .LBB111_66
; %bb.54:                               ;   in Loop: Header=BB111_3 Depth=1
	s_bitcmp1_b32 s37, 0
	s_cselect_b32 s18, -1, 0
	s_wait_alu 0xfffe
	s_and_b32 vcc_lo, exec_lo, s18
	s_mov_b32 s18, s37
	s_wait_alu 0xfffe
	s_cbranch_vccnz .LBB111_59
; %bb.55:                               ;   in Loop: Header=BB111_3 Depth=1
	v_lshl_add_u32 v2, s37, 9, v11
	s_cmp_le_i32 s24, s37
	ds_load_b64 v[0:1], v2
	s_cbranch_scc1 .LBB111_58
; %bb.56:                               ;   in Loop: Header=BB111_3 Depth=1
	v_mov_b32_e32 v3, v13
	s_lshl_b32 s18, s37, 9
	s_mov_b32 s19, s24
	s_wait_alu 0xfffe
	s_add_co_i32 s18, s35, s18
.LBB111_57:                             ;   Parent Loop BB111_3 Depth=1
                                        ; =>  This Inner Loop Header: Depth=2
	s_wait_alu 0xfffe
	v_mov_b32_e32 v8, s18
	s_add_co_i32 s19, s19, -1
	s_add_co_i32 s18, s18, -8
	s_wait_alu 0xfffe
	s_cmp_gt_u32 s19, s37
	ds_load_b64 v[6:7], v3
	ds_load_b64 v[8:9], v8
	v_add_nc_u32_e32 v3, 0xfffffe00, v3
	s_wait_dscnt 0x0
	v_fma_f64 v[0:1], -v[6:7], v[8:9], v[0:1]
	s_cbranch_scc1 .LBB111_57
.LBB111_58:                             ;   in Loop: Header=BB111_3 Depth=1
	s_mul_i32 s18, s37, 0x208
	s_wait_alu 0xfffe
	v_mov_b32_e32 v3, s18
	s_add_co_i32 s18, s37, -1
	ds_load_b64 v[6:7], v3
	s_wait_dscnt 0x0
	v_div_scale_f64 v[8:9], null, v[6:7], v[6:7], v[0:1]
	s_delay_alu instid0(VALU_DEP_1) | instskip(NEXT) | instid1(TRANS32_DEP_1)
	v_rcp_f64_e32 v[18:19], v[8:9]
	v_fma_f64 v[20:21], -v[8:9], v[18:19], 1.0
	s_delay_alu instid0(VALU_DEP_1) | instskip(NEXT) | instid1(VALU_DEP_1)
	v_fma_f64 v[18:19], v[18:19], v[20:21], v[18:19]
	v_fma_f64 v[20:21], -v[8:9], v[18:19], 1.0
	s_delay_alu instid0(VALU_DEP_1) | instskip(SKIP_1) | instid1(VALU_DEP_1)
	v_fma_f64 v[18:19], v[18:19], v[20:21], v[18:19]
	v_div_scale_f64 v[20:21], vcc_lo, v[0:1], v[6:7], v[0:1]
	v_mul_f64_e32 v[22:23], v[20:21], v[18:19]
	s_delay_alu instid0(VALU_DEP_1) | instskip(SKIP_1) | instid1(VALU_DEP_1)
	v_fma_f64 v[8:9], -v[8:9], v[22:23], v[20:21]
	s_wait_alu 0xfffd
	v_div_fmas_f64 v[8:9], v[8:9], v[18:19], v[22:23]
	s_delay_alu instid0(VALU_DEP_1)
	v_div_fixup_f64 v[0:1], v[8:9], v[6:7], v[0:1]
	ds_store_b64 v2, v[0:1]
.LBB111_59:                             ;   in Loop: Header=BB111_3 Depth=1
	s_cmp_eq_u32 s37, 0
	s_cbranch_scc1 .LBB111_66
; %bb.60:                               ;   in Loop: Header=BB111_3 Depth=1
	s_wait_alu 0xfffe
	s_lshl_b32 s37, s18, 9
	s_wait_alu 0xfffe
	s_add_co_i32 s19, s35, s37
	s_add_co_i32 s37, s36, s37
	s_branch .LBB111_62
.LBB111_61:                             ;   in Loop: Header=BB111_62 Depth=2
	s_addk_co_i32 s39, 0xfdf8
	s_add_co_i32 s18, s18, -2
	s_wait_alu 0xfffe
	v_mov_b32_e32 v0, s39
	s_addk_co_i32 s19, 0xfc00
	s_addk_co_i32 s37, 0xfc00
	s_cmp_eq_u32 s38, 0
	ds_load_b64 v[0:1], v0
	s_wait_dscnt 0x0
	v_div_scale_f64 v[8:9], null, v[0:1], v[0:1], v[2:3]
	s_delay_alu instid0(VALU_DEP_1) | instskip(NEXT) | instid1(TRANS32_DEP_1)
	v_rcp_f64_e32 v[18:19], v[8:9]
	v_fma_f64 v[20:21], -v[8:9], v[18:19], 1.0
	s_delay_alu instid0(VALU_DEP_1) | instskip(NEXT) | instid1(VALU_DEP_1)
	v_fma_f64 v[18:19], v[18:19], v[20:21], v[18:19]
	v_fma_f64 v[20:21], -v[8:9], v[18:19], 1.0
	s_delay_alu instid0(VALU_DEP_1) | instskip(SKIP_1) | instid1(VALU_DEP_1)
	v_fma_f64 v[18:19], v[18:19], v[20:21], v[18:19]
	v_div_scale_f64 v[20:21], vcc_lo, v[2:3], v[0:1], v[2:3]
	v_mul_f64_e32 v[22:23], v[20:21], v[18:19]
	s_delay_alu instid0(VALU_DEP_1) | instskip(SKIP_1) | instid1(VALU_DEP_1)
	v_fma_f64 v[8:9], -v[8:9], v[22:23], v[20:21]
	s_wait_alu 0xfffd
	v_div_fmas_f64 v[8:9], v[8:9], v[18:19], v[22:23]
	s_delay_alu instid0(VALU_DEP_1)
	v_div_fixup_f64 v[0:1], v[8:9], v[0:1], v[2:3]
	ds_store_b64 v7, v[0:1]
	s_cbranch_scc1 .LBB111_66
.LBB111_62:                             ;   Parent Loop BB111_3 Depth=1
                                        ; =>  This Loop Header: Depth=2
                                        ;       Child Loop BB111_63 Depth 3
                                        ;       Child Loop BB111_65 Depth 3
	v_lshl_add_u32 v6, s18, 9, v11
	v_mov_b32_e32 v2, v13
	s_cmp_le_i32 s24, s18
	s_wait_alu 0xfffe
	s_mov_b32 s38, s19
	s_mov_b32 s39, s24
	ds_load_b64 v[0:1], v6
	s_cbranch_scc1 .LBB111_64
.LBB111_63:                             ;   Parent Loop BB111_3 Depth=1
                                        ;     Parent Loop BB111_62 Depth=2
                                        ; =>    This Inner Loop Header: Depth=3
	s_wait_alu 0xfffe
	v_mov_b32_e32 v3, s38
	s_add_co_i32 s39, s39, -1
	s_add_co_i32 s38, s38, -8
	s_wait_alu 0xfffe
	s_cmp_le_u32 s39, s18
	ds_load_b64 v[7:8], v2
	ds_load_b64 v[18:19], v3
	v_add_nc_u32_e32 v2, 0xfffffe00, v2
	s_wait_dscnt 0x0
	v_fma_f64 v[0:1], -v[7:8], v[18:19], v[0:1]
	s_cbranch_scc0 .LBB111_63
.LBB111_64:                             ;   in Loop: Header=BB111_62 Depth=2
	s_mul_i32 s39, s18, 0x208
	s_add_co_i32 s38, s18, -1
	s_wait_alu 0xfffe
	v_mov_b32_e32 v2, s39
	v_lshl_add_u32 v7, s38, 9, v11
	s_cmp_le_i32 s1, s18
	s_mov_b32 s40, s37
	s_mov_b32 s41, s24
	ds_load_b64 v[8:9], v2
	ds_load_b64 v[2:3], v7
	s_wait_dscnt 0x1
	v_div_scale_f64 v[18:19], null, v[8:9], v[8:9], v[0:1]
	s_delay_alu instid0(VALU_DEP_1) | instskip(NEXT) | instid1(TRANS32_DEP_1)
	v_rcp_f64_e32 v[20:21], v[18:19]
	v_fma_f64 v[22:23], -v[18:19], v[20:21], 1.0
	s_delay_alu instid0(VALU_DEP_1) | instskip(NEXT) | instid1(VALU_DEP_1)
	v_fma_f64 v[20:21], v[20:21], v[22:23], v[20:21]
	v_fma_f64 v[22:23], -v[18:19], v[20:21], 1.0
	s_delay_alu instid0(VALU_DEP_1) | instskip(SKIP_1) | instid1(VALU_DEP_1)
	v_fma_f64 v[20:21], v[20:21], v[22:23], v[20:21]
	v_div_scale_f64 v[22:23], vcc_lo, v[0:1], v[8:9], v[0:1]
	v_mul_f64_e32 v[24:25], v[22:23], v[20:21]
	s_delay_alu instid0(VALU_DEP_1) | instskip(SKIP_1) | instid1(VALU_DEP_1)
	v_fma_f64 v[18:19], -v[18:19], v[24:25], v[22:23]
	s_wait_alu 0xfffd
	v_div_fmas_f64 v[18:19], v[18:19], v[20:21], v[24:25]
	s_delay_alu instid0(VALU_DEP_1)
	v_div_fixup_f64 v[8:9], v[18:19], v[8:9], v[0:1]
	v_mov_b32_e32 v0, v13
	ds_store_b64 v6, v[8:9]
	s_cbranch_scc1 .LBB111_61
.LBB111_65:                             ;   Parent Loop BB111_3 Depth=1
                                        ;     Parent Loop BB111_62 Depth=2
                                        ; =>    This Inner Loop Header: Depth=3
	s_wait_alu 0xfffe
	v_mov_b32_e32 v1, s40
	s_add_co_i32 s41, s41, -1
	s_add_co_i32 s40, s40, -8
	s_wait_alu 0xfffe
	s_cmp_gt_u32 s41, s38
	ds_load_b64 v[8:9], v0
	ds_load_b64 v[18:19], v1
	v_add_nc_u32_e32 v0, 0xfffffe00, v0
	s_wait_dscnt 0x0
	v_fma_f64 v[2:3], -v[8:9], v[18:19], v[2:3]
	s_cbranch_scc1 .LBB111_65
	s_branch .LBB111_61
.LBB111_66:                             ;   in Loop: Header=BB111_3 Depth=1
	s_mov_b32 s18, 0
.LBB111_67:                             ;   in Loop: Header=BB111_3 Depth=1
	s_wait_alu 0xfffe
	s_and_not1_b32 vcc_lo, exec_lo, s18
	s_wait_alu 0xfffe
	s_cbranch_vccnz .LBB111_79
; %bb.68:                               ;   in Loop: Header=BB111_3 Depth=1
	s_and_not1_b32 vcc_lo, exec_lo, s28
	s_mov_b32 s37, 0
	s_wait_alu 0xfffe
	s_cbranch_vccnz .LBB111_74
; %bb.69:                               ;   in Loop: Header=BB111_3 Depth=1
	s_mov_b32 s18, 0
	s_mov_b32 s19, 0
.LBB111_70:                             ;   Parent Loop BB111_3 Depth=1
                                        ; =>  This Loop Header: Depth=2
                                        ;       Child Loop BB111_71 Depth 3
	s_wait_alu 0xfffe
	s_or_b32 s39, s19, 1
	v_lshl_add_u32 v18, s19, 9, v11
	s_or_b32 s37, s19, 2
	s_or_b32 s38, s19, 3
	s_wait_alu 0xfffe
	v_lshl_add_u32 v19, s39, 9, v11
	v_lshl_add_u32 v20, s37, 9, v11
	;; [unrolled: 1-line block ×3, first 2 shown]
	ds_load_b64 v[8:9], v18
	ds_load_b64 v[6:7], v19
	;; [unrolled: 1-line block ×4, first 2 shown]
	v_mov_b32_e32 v22, v11
	s_cmp_eq_u32 s19, 0
	s_mov_b32 s40, s18
	s_mov_b32 s41, s19
	s_cbranch_scc1 .LBB111_72
.LBB111_71:                             ;   Parent Loop BB111_3 Depth=1
                                        ;     Parent Loop BB111_70 Depth=2
                                        ; =>    This Inner Loop Header: Depth=3
	s_wait_alu 0xfffe
	v_mov_b32_e32 v27, s40
	s_add_co_i32 s41, s41, -1
	s_add_co_i32 s40, s40, 8
	s_wait_alu 0xfffe
	s_cmp_eq_u32 s41, 0
	ds_load_b64 v[31:32], v22
	ds_load_2addr_stride64_b64 v[23:26], v27 offset1:1
	ds_load_2addr_stride64_b64 v[27:30], v27 offset0:2 offset1:3
	v_add_nc_u32_e32 v22, 0x200, v22
	s_wait_dscnt 0x1
	v_fma_f64 v[8:9], -v[31:32], v[23:24], v[8:9]
	v_fma_f64 v[6:7], -v[31:32], v[25:26], v[6:7]
	s_wait_dscnt 0x0
	v_fma_f64 v[2:3], -v[31:32], v[27:28], v[2:3]
	v_fma_f64 v[0:1], -v[31:32], v[29:30], v[0:1]
	s_cbranch_scc0 .LBB111_71
.LBB111_72:                             ;   in Loop: Header=BB111_70 Depth=2
	s_mul_i32 s41, s19, 0x208
	s_lshl_b32 s40, s39, 6
	s_wait_alu 0xfffe
	v_mov_b32_e32 v22, s41
	s_lshl_b32 s40, s40, 3
	s_lshl_b32 s41, s19, 3
	;; [unrolled: 1-line block ×3, first 2 shown]
	s_wait_alu 0xfffe
	s_add_co_i32 s40, s40, s41
	ds_load_b64 v[26:27], v22
	s_wait_alu 0xfffe
	v_mov_b32_e32 v22, s40
	s_lshl_b32 s39, s39, 3
	s_lshl_b32 s37, s37, 3
	s_wait_alu 0xfffe
	s_add_co_i32 s40, s39, s41
	s_add_co_i32 s37, s39, s37
	ds_load_b128 v[22:25], v22
	s_lshl_b32 s38, s38, 6
	s_addk_co_i32 s18, 0x800
	s_wait_dscnt 0x1
	v_div_scale_f64 v[28:29], null, v[26:27], v[26:27], v[8:9]
	v_div_scale_f64 v[34:35], vcc_lo, v[8:9], v[26:27], v[8:9]
	s_delay_alu instid0(VALU_DEP_2) | instskip(NEXT) | instid1(TRANS32_DEP_1)
	v_rcp_f64_e32 v[30:31], v[28:29]
	v_fma_f64 v[32:33], -v[28:29], v[30:31], 1.0
	s_delay_alu instid0(VALU_DEP_1) | instskip(NEXT) | instid1(VALU_DEP_1)
	v_fma_f64 v[30:31], v[30:31], v[32:33], v[30:31]
	v_fma_f64 v[32:33], -v[28:29], v[30:31], 1.0
	s_delay_alu instid0(VALU_DEP_1) | instskip(NEXT) | instid1(VALU_DEP_1)
	v_fma_f64 v[30:31], v[30:31], v[32:33], v[30:31]
	v_mul_f64_e32 v[32:33], v[34:35], v[30:31]
	s_delay_alu instid0(VALU_DEP_1) | instskip(SKIP_1) | instid1(VALU_DEP_1)
	v_fma_f64 v[28:29], -v[28:29], v[32:33], v[34:35]
	s_wait_alu 0xfffd
	v_div_fmas_f64 v[28:29], v[28:29], v[30:31], v[32:33]
	s_delay_alu instid0(VALU_DEP_1) | instskip(SKIP_1) | instid1(VALU_DEP_1)
	v_div_fixup_f64 v[26:27], v[28:29], v[26:27], v[8:9]
	s_wait_dscnt 0x0
	v_fma_f64 v[22:23], -v[26:27], v[22:23], v[6:7]
	s_delay_alu instid0(VALU_DEP_1) | instskip(SKIP_1) | instid1(VALU_DEP_2)
	v_div_scale_f64 v[6:7], null, v[24:25], v[24:25], v[22:23]
	v_div_scale_f64 v[30:31], vcc_lo, v[22:23], v[24:25], v[22:23]
	v_rcp_f64_e32 v[8:9], v[6:7]
	s_delay_alu instid0(TRANS32_DEP_1) | instskip(NEXT) | instid1(VALU_DEP_1)
	v_fma_f64 v[28:29], -v[6:7], v[8:9], 1.0
	v_fma_f64 v[8:9], v[8:9], v[28:29], v[8:9]
	s_delay_alu instid0(VALU_DEP_1) | instskip(NEXT) | instid1(VALU_DEP_1)
	v_fma_f64 v[28:29], -v[6:7], v[8:9], 1.0
	v_fma_f64 v[8:9], v[8:9], v[28:29], v[8:9]
	s_delay_alu instid0(VALU_DEP_1) | instskip(NEXT) | instid1(VALU_DEP_1)
	v_mul_f64_e32 v[28:29], v[30:31], v[8:9]
	v_fma_f64 v[6:7], -v[6:7], v[28:29], v[30:31]
	s_wait_alu 0xfffe
	v_mov_b32_e32 v30, s37
	s_lshl_b32 s37, s38, 3
	s_wait_alu 0xfffe
	s_add_co_i32 s37, s37, s41
	ds_load_b64 v[30:31], v30
	s_wait_alu 0xfffd
	v_div_fmas_f64 v[28:29], v[6:7], v[8:9], v[28:29]
	v_mov_b32_e32 v6, s40
	ds_load_b128 v[6:9], v6
	s_wait_dscnt 0x0
	v_fma_f64 v[2:3], -v[26:27], v[6:7], v[2:3]
	v_div_fixup_f64 v[28:29], v[28:29], v[24:25], v[22:23]
	s_delay_alu instid0(VALU_DEP_1) | instskip(NEXT) | instid1(VALU_DEP_1)
	v_fma_f64 v[2:3], -v[28:29], v[8:9], v[2:3]
	v_div_scale_f64 v[6:7], null, v[30:31], v[30:31], v[2:3]
	v_div_scale_f64 v[24:25], vcc_lo, v[2:3], v[30:31], v[2:3]
	s_delay_alu instid0(VALU_DEP_2) | instskip(NEXT) | instid1(TRANS32_DEP_1)
	v_rcp_f64_e32 v[8:9], v[6:7]
	v_fma_f64 v[22:23], -v[6:7], v[8:9], 1.0
	s_delay_alu instid0(VALU_DEP_1) | instskip(NEXT) | instid1(VALU_DEP_1)
	v_fma_f64 v[8:9], v[8:9], v[22:23], v[8:9]
	v_fma_f64 v[22:23], -v[6:7], v[8:9], 1.0
	s_delay_alu instid0(VALU_DEP_1)
	v_fma_f64 v[32:33], v[8:9], v[22:23], v[8:9]
	s_wait_alu 0xfffe
	v_mov_b32_e32 v22, s37
	s_add_co_i32 s37, s19, 4
	s_add_co_i32 s19, s19, 7
	s_wait_alu 0xfffe
	s_cmp_ge_i32 s19, s1
	s_delay_alu instid0(VALU_DEP_2) | instskip(NEXT) | instid1(VALU_DEP_1)
	v_mul_f64_e32 v[34:35], v[24:25], v[32:33]
	v_fma_f64 v[36:37], -v[6:7], v[34:35], v[24:25]
	ds_load_b128 v[6:9], v22
	ds_load_b128 v[22:25], v22 offset:16
	s_wait_dscnt 0x1
	v_fma_f64 v[0:1], -v[26:27], v[6:7], v[0:1]
	s_wait_alu 0xfffd
	v_div_fmas_f64 v[6:7], v[36:37], v[32:33], v[34:35]
	s_delay_alu instid0(VALU_DEP_2) | instskip(NEXT) | instid1(VALU_DEP_2)
	v_fma_f64 v[0:1], -v[28:29], v[8:9], v[0:1]
	v_div_fixup_f64 v[2:3], v[6:7], v[30:31], v[2:3]
	s_wait_dscnt 0x0
	s_delay_alu instid0(VALU_DEP_1) | instskip(NEXT) | instid1(VALU_DEP_1)
	v_fma_f64 v[0:1], -v[2:3], v[22:23], v[0:1]
	v_div_scale_f64 v[6:7], null, v[24:25], v[24:25], v[0:1]
	s_delay_alu instid0(VALU_DEP_1) | instskip(NEXT) | instid1(TRANS32_DEP_1)
	v_rcp_f64_e32 v[8:9], v[6:7]
	v_fma_f64 v[22:23], -v[6:7], v[8:9], 1.0
	s_delay_alu instid0(VALU_DEP_1) | instskip(NEXT) | instid1(VALU_DEP_1)
	v_fma_f64 v[8:9], v[8:9], v[22:23], v[8:9]
	v_fma_f64 v[22:23], -v[6:7], v[8:9], 1.0
	s_delay_alu instid0(VALU_DEP_1) | instskip(SKIP_1) | instid1(VALU_DEP_1)
	v_fma_f64 v[8:9], v[8:9], v[22:23], v[8:9]
	v_div_scale_f64 v[22:23], vcc_lo, v[0:1], v[24:25], v[0:1]
	v_mul_f64_e32 v[30:31], v[22:23], v[8:9]
	s_delay_alu instid0(VALU_DEP_1) | instskip(SKIP_1) | instid1(VALU_DEP_1)
	v_fma_f64 v[6:7], -v[6:7], v[30:31], v[22:23]
	s_wait_alu 0xfffd
	v_div_fmas_f64 v[6:7], v[6:7], v[8:9], v[30:31]
	s_delay_alu instid0(VALU_DEP_1)
	v_div_fixup_f64 v[0:1], v[6:7], v[24:25], v[0:1]
	ds_store_b64 v18, v[26:27]
	ds_store_b64 v19, v[28:29]
	;; [unrolled: 1-line block ×4, first 2 shown]
	s_cbranch_scc1 .LBB111_74
; %bb.73:                               ;   in Loop: Header=BB111_70 Depth=2
	s_mov_b32 s19, s37
	s_branch .LBB111_70
.LBB111_74:                             ;   in Loop: Header=BB111_3 Depth=1
	s_cmp_ge_i32 s37, s1
	s_cbranch_scc1 .LBB111_79
; %bb.75:                               ;   in Loop: Header=BB111_3 Depth=1
	s_lshl_b32 s18, s37, 9
	s_branch .LBB111_77
.LBB111_76:                             ;   in Loop: Header=BB111_77 Depth=2
	s_mul_i32 s19, s37, 0x208
	s_add_co_i32 s37, s37, 1
	s_wait_alu 0xfffe
	v_mov_b32_e32 v3, s19
	s_addk_co_i32 s18, 0x200
	s_cmp_ge_i32 s37, s1
	ds_load_b64 v[6:7], v3
	s_wait_dscnt 0x0
	v_div_scale_f64 v[8:9], null, v[6:7], v[6:7], v[0:1]
	s_delay_alu instid0(VALU_DEP_1) | instskip(NEXT) | instid1(TRANS32_DEP_1)
	v_rcp_f64_e32 v[18:19], v[8:9]
	v_fma_f64 v[20:21], -v[8:9], v[18:19], 1.0
	s_delay_alu instid0(VALU_DEP_1) | instskip(NEXT) | instid1(VALU_DEP_1)
	v_fma_f64 v[18:19], v[18:19], v[20:21], v[18:19]
	v_fma_f64 v[20:21], -v[8:9], v[18:19], 1.0
	s_delay_alu instid0(VALU_DEP_1) | instskip(SKIP_1) | instid1(VALU_DEP_1)
	v_fma_f64 v[18:19], v[18:19], v[20:21], v[18:19]
	v_div_scale_f64 v[20:21], vcc_lo, v[0:1], v[6:7], v[0:1]
	v_mul_f64_e32 v[22:23], v[20:21], v[18:19]
	s_delay_alu instid0(VALU_DEP_1) | instskip(SKIP_1) | instid1(VALU_DEP_1)
	v_fma_f64 v[8:9], -v[8:9], v[22:23], v[20:21]
	s_wait_alu 0xfffd
	v_div_fmas_f64 v[8:9], v[8:9], v[18:19], v[22:23]
	s_delay_alu instid0(VALU_DEP_1)
	v_div_fixup_f64 v[0:1], v[8:9], v[6:7], v[0:1]
	ds_store_b64 v2, v[0:1]
	s_cbranch_scc1 .LBB111_79
.LBB111_77:                             ;   Parent Loop BB111_3 Depth=1
                                        ; =>  This Loop Header: Depth=2
                                        ;       Child Loop BB111_78 Depth 3
	v_lshl_add_u32 v2, s37, 9, v11
	v_mov_b32_e32 v3, v11
	s_cmp_eq_u32 s37, 0
	s_wait_alu 0xfffe
	s_mov_b32 s19, s18
	s_mov_b32 s38, s37
	ds_load_b64 v[0:1], v2
	s_cbranch_scc1 .LBB111_76
.LBB111_78:                             ;   Parent Loop BB111_3 Depth=1
                                        ;     Parent Loop BB111_77 Depth=2
                                        ; =>    This Inner Loop Header: Depth=3
	s_wait_alu 0xfffe
	v_mov_b32_e32 v8, s19
	s_add_co_i32 s38, s38, -1
	s_add_co_i32 s19, s19, 8
	s_wait_alu 0xfffe
	s_cmp_eq_u32 s38, 0
	ds_load_b64 v[6:7], v3
	ds_load_b64 v[8:9], v8
	v_add_nc_u32_e32 v3, 0x200, v3
	s_wait_dscnt 0x0
	v_fma_f64 v[0:1], -v[6:7], v[8:9], v[0:1]
	s_cbranch_scc0 .LBB111_78
	s_branch .LBB111_76
.LBB111_79:                             ;   in Loop: Header=BB111_3 Depth=1
	s_and_saveexec_b32 s18, s29
	s_cbranch_execz .LBB111_2
; %bb.80:                               ;   in Loop: Header=BB111_3 Depth=1
	v_add_co_u32 v0, vcc_lo, v16, v15
	s_wait_alu 0xfffd
	v_add_co_ci_u32_e64 v1, null, 0, v17, vcc_lo
	v_mov_b32_e32 v2, v11
	s_mov_b32 s19, s23
.LBB111_81:                             ;   Parent Loop BB111_3 Depth=1
                                        ; =>  This Inner Loop Header: Depth=2
	ds_load_b64 v[6:7], v2
	v_add_nc_u32_e32 v2, 0x200, v2
	s_wait_alu 0xfffe
	s_add_co_i32 s19, s19, -1
	s_wait_alu 0xfffe
	s_cmp_lg_u32 s19, 0
	s_wait_dscnt 0x0
	flat_store_b64 v[0:1], v[6:7]
	v_add_co_u32 v0, vcc_lo, v0, s14
	s_wait_alu 0xfffd
	v_add_co_ci_u32_e64 v1, null, s15, v1, vcc_lo
	s_cbranch_scc1 .LBB111_81
	s_branch .LBB111_2
.LBB111_82:
	s_endpgm
	.section	.rodata,"a",@progbits
	.p2align	6, 0x0
	.amdhsa_kernel _ZL31rocblas_trsm_small_right_deviceIddPKPKdPKPdLi64EEv13rocblas_fill_18rocblas_operation_17rocblas_diagonal_iiT0_T1_lilT2_lili
		.amdhsa_group_segment_fixed_size 65536
		.amdhsa_private_segment_fixed_size 0
		.amdhsa_kernarg_size 360
		.amdhsa_user_sgpr_count 2
		.amdhsa_user_sgpr_dispatch_ptr 0
		.amdhsa_user_sgpr_queue_ptr 0
		.amdhsa_user_sgpr_kernarg_segment_ptr 1
		.amdhsa_user_sgpr_dispatch_id 0
		.amdhsa_user_sgpr_private_segment_size 0
		.amdhsa_wavefront_size32 1
		.amdhsa_uses_dynamic_stack 0
		.amdhsa_enable_private_segment 0
		.amdhsa_system_sgpr_workgroup_id_x 1
		.amdhsa_system_sgpr_workgroup_id_y 0
		.amdhsa_system_sgpr_workgroup_id_z 1
		.amdhsa_system_sgpr_workgroup_info 0
		.amdhsa_system_vgpr_workitem_id 0
		.amdhsa_next_free_vgpr 241
		.amdhsa_next_free_sgpr 44
		.amdhsa_reserve_vcc 1
		.amdhsa_float_round_mode_32 0
		.amdhsa_float_round_mode_16_64 0
		.amdhsa_float_denorm_mode_32 3
		.amdhsa_float_denorm_mode_16_64 3
		.amdhsa_fp16_overflow 0
		.amdhsa_workgroup_processor_mode 1
		.amdhsa_memory_ordered 1
		.amdhsa_forward_progress 1
		.amdhsa_inst_pref_size 55
		.amdhsa_round_robin_scheduling 0
		.amdhsa_exception_fp_ieee_invalid_op 0
		.amdhsa_exception_fp_denorm_src 0
		.amdhsa_exception_fp_ieee_div_zero 0
		.amdhsa_exception_fp_ieee_overflow 0
		.amdhsa_exception_fp_ieee_underflow 0
		.amdhsa_exception_fp_ieee_inexact 0
		.amdhsa_exception_int_div_zero 0
	.end_amdhsa_kernel
	.section	.text._ZL31rocblas_trsm_small_right_deviceIddPKPKdPKPdLi64EEv13rocblas_fill_18rocblas_operation_17rocblas_diagonal_iiT0_T1_lilT2_lili,"axG",@progbits,_ZL31rocblas_trsm_small_right_deviceIddPKPKdPKPdLi64EEv13rocblas_fill_18rocblas_operation_17rocblas_diagonal_iiT0_T1_lilT2_lili,comdat
.Lfunc_end111:
	.size	_ZL31rocblas_trsm_small_right_deviceIddPKPKdPKPdLi64EEv13rocblas_fill_18rocblas_operation_17rocblas_diagonal_iiT0_T1_lilT2_lili, .Lfunc_end111-_ZL31rocblas_trsm_small_right_deviceIddPKPKdPKPdLi64EEv13rocblas_fill_18rocblas_operation_17rocblas_diagonal_iiT0_T1_lilT2_lili
                                        ; -- End function
	.set _ZL31rocblas_trsm_small_right_deviceIddPKPKdPKPdLi64EEv13rocblas_fill_18rocblas_operation_17rocblas_diagonal_iiT0_T1_lilT2_lili.num_vgpr, 43
	.set _ZL31rocblas_trsm_small_right_deviceIddPKPKdPKPdLi64EEv13rocblas_fill_18rocblas_operation_17rocblas_diagonal_iiT0_T1_lilT2_lili.num_agpr, 0
	.set _ZL31rocblas_trsm_small_right_deviceIddPKPKdPKPdLi64EEv13rocblas_fill_18rocblas_operation_17rocblas_diagonal_iiT0_T1_lilT2_lili.numbered_sgpr, 44
	.set _ZL31rocblas_trsm_small_right_deviceIddPKPKdPKPdLi64EEv13rocblas_fill_18rocblas_operation_17rocblas_diagonal_iiT0_T1_lilT2_lili.num_named_barrier, 0
	.set _ZL31rocblas_trsm_small_right_deviceIddPKPKdPKPdLi64EEv13rocblas_fill_18rocblas_operation_17rocblas_diagonal_iiT0_T1_lilT2_lili.private_seg_size, 0
	.set _ZL31rocblas_trsm_small_right_deviceIddPKPKdPKPdLi64EEv13rocblas_fill_18rocblas_operation_17rocblas_diagonal_iiT0_T1_lilT2_lili.uses_vcc, 1
	.set _ZL31rocblas_trsm_small_right_deviceIddPKPKdPKPdLi64EEv13rocblas_fill_18rocblas_operation_17rocblas_diagonal_iiT0_T1_lilT2_lili.uses_flat_scratch, 0
	.set _ZL31rocblas_trsm_small_right_deviceIddPKPKdPKPdLi64EEv13rocblas_fill_18rocblas_operation_17rocblas_diagonal_iiT0_T1_lilT2_lili.has_dyn_sized_stack, 0
	.set _ZL31rocblas_trsm_small_right_deviceIddPKPKdPKPdLi64EEv13rocblas_fill_18rocblas_operation_17rocblas_diagonal_iiT0_T1_lilT2_lili.has_recursion, 0
	.set _ZL31rocblas_trsm_small_right_deviceIddPKPKdPKPdLi64EEv13rocblas_fill_18rocblas_operation_17rocblas_diagonal_iiT0_T1_lilT2_lili.has_indirect_call, 0
	.section	.AMDGPU.csdata,"",@progbits
; Kernel info:
; codeLenInByte = 7000
; TotalNumSgprs: 46
; NumVgprs: 43
; ScratchSize: 0
; MemoryBound: 0
; FloatMode: 240
; IeeeMode: 1
; LDSByteSize: 65536 bytes/workgroup (compile time only)
; SGPRBlocks: 0
; VGPRBlocks: 30
; NumSGPRsForWavesPerEU: 46
; NumVGPRsForWavesPerEU: 241
; Occupancy: 1
; WaveLimiterHint : 0
; COMPUTE_PGM_RSRC2:SCRATCH_EN: 0
; COMPUTE_PGM_RSRC2:USER_SGPR: 2
; COMPUTE_PGM_RSRC2:TRAP_HANDLER: 0
; COMPUTE_PGM_RSRC2:TGID_X_EN: 1
; COMPUTE_PGM_RSRC2:TGID_Y_EN: 0
; COMPUTE_PGM_RSRC2:TGID_Z_EN: 1
; COMPUTE_PGM_RSRC2:TIDIG_COMP_CNT: 0
	.section	.text._ZL39rocblas_trsm_block_forward_substitutionIddPKPKdPKPdLb0ELb0ELb0EEv18rocblas_operation_llT0_T1_lllT2_lllib,"axG",@progbits,_ZL39rocblas_trsm_block_forward_substitutionIddPKPKdPKPdLb0ELb0ELb0EEv18rocblas_operation_llT0_T1_lllT2_lllib,comdat
	.globl	_ZL39rocblas_trsm_block_forward_substitutionIddPKPKdPKPdLb0ELb0ELb0EEv18rocblas_operation_llT0_T1_lllT2_lllib ; -- Begin function _ZL39rocblas_trsm_block_forward_substitutionIddPKPKdPKPdLb0ELb0ELb0EEv18rocblas_operation_llT0_T1_lllT2_lllib
	.p2align	8
	.type	_ZL39rocblas_trsm_block_forward_substitutionIddPKPKdPKPdLb0ELb0ELb0EEv18rocblas_operation_llT0_T1_lllT2_lllib,@function
_ZL39rocblas_trsm_block_forward_substitutionIddPKPKdPKPdLb0ELb0ELb0EEv18rocblas_operation_llT0_T1_lllT2_lllib: ; @_ZL39rocblas_trsm_block_forward_substitutionIddPKPKdPKPdLb0ELb0ELb0EEv18rocblas_operation_llT0_T1_lllT2_lllib
; %bb.0:
	s_load_b64 s[20:21], s[0:1], 0x60
	s_lshr_b32 s22, ttmp7, 16
	s_wait_kmcnt 0x0
	s_cmp_ge_u32 s22, s20
	s_cbranch_scc1 .LBB112_27
; %bb.1:
	s_clause 0x1
	s_load_u16 s33, s[0:1], 0x76
	s_load_b64 s[28:29], s[0:1], 0x50
	v_bfe_u32 v1, v0, 10, 10
	s_bitcmp1_b32 s21, 0
	s_load_b256 s[4:11], s[0:1], 0x8
	s_cselect_b32 s2, -1, 0
	s_and_b32 s3, ttmp7, 0xffff
	s_clause 0x1
	s_load_b128 s[16:19], s[0:1], 0x28
	s_load_b128 s[12:15], s[0:1], 0x40
	s_add_nc_u64 s[24:25], s[0:1], 0x68
	s_mov_b64 s[26:27], src_shared_base
	s_mov_b32 s23, 0
	v_mov_b32_e32 v3, 0
	s_wait_kmcnt 0x0
	v_mad_co_u64_u32 v[4:5], null, s3, s33, v[1:2]
	v_and_b32_e32 v2, 0x3ff, v0
	s_lshl_b32 s0, s33, 3
	v_cmp_gt_i64_e64 s21, s[4:5], 0
	v_mov_b32_e32 v5, v3
	s_add_co_i32 s26, s0, 0
	v_cmp_gt_i64_e64 s1, s[4:5], v[2:3]
	v_mad_co_u64_u32 v[6:7], null, s28, v4, 0
	s_delay_alu instid0(VALU_DEP_3)
	v_cmp_gt_i64_e64 s3, s[6:7], v[4:5]
	v_cmp_le_i64_e32 vcc_lo, s[4:5], v[2:3]
	v_lshl_add_u32 v0, v1, 3, 0
	v_lshl_add_u32 v16, v2, 3, s26
	v_lshlrev_b32_e32 v17, 3, v2
	s_lshl_b64 s[6:7], s[16:17], 3
	v_mad_co_u64_u32 v[7:8], null, s29, v4, v[7:8]
	s_add_nc_u64 s[28:29], s[4:5], -1
	s_and_b32 s1, s3, s1
	s_wait_alu 0xfffe
	v_cmp_eq_u64_e64 s0, s[28:29], v[2:3]
	v_cmp_gt_i64_e64 s3, s[4:5], 1
	s_lshl_b64 s[14:15], s[14:15], 3
	s_xor_b32 s34, vcc_lo, -1
	v_lshlrev_b64_e32 v[4:5], 3, v[6:7]
	s_branch .LBB112_4
.LBB112_2:                              ;   in Loop: Header=BB112_4 Depth=1
	s_wait_alu 0xfffe
	s_or_b32 exec_lo, exec_lo, s16
	flat_store_b64 v[8:9], v[10:11]
.LBB112_3:                              ;   in Loop: Header=BB112_4 Depth=1
	s_or_b32 exec_lo, exec_lo, s35
	s_add_co_i32 s22, s22, 0x10000
	s_delay_alu instid0(SALU_CYCLE_1)
	s_cmp_lt_u32 s22, s20
	s_cbranch_scc0 .LBB112_27
.LBB112_4:                              ; =>This Loop Header: Depth=1
                                        ;     Child Loop BB112_9 Depth 2
                                        ;     Child Loop BB112_21 Depth 2
	s_lshl_b64 s[16:17], s[22:23], 3
	s_wait_alu 0xfffe
	s_add_nc_u64 s[30:31], s[10:11], s[16:17]
	s_add_nc_u64 s[16:17], s[12:13], s[16:17]
	global_load_b64 v[6:7], v3, s[30:31]
	s_wait_loadcnt 0x1
	global_load_b64 v[8:9], v3, s[16:17]
	s_wait_loadcnt 0x1
	v_add_co_u32 v6, vcc_lo, v6, s6
	s_wait_alu 0xfffd
	v_add_co_ci_u32_e64 v7, null, s7, v7, vcc_lo
	s_and_not1_b32 vcc_lo, exec_lo, s2
	s_wait_alu 0xfffe
	s_cbranch_vccz .LBB112_6
; %bb.5:                                ;   in Loop: Header=BB112_4 Depth=1
	s_and_saveexec_b32 s35, s1
	s_cbranch_execz .LBB112_3
	s_branch .LBB112_18
.LBB112_6:                              ;   in Loop: Header=BB112_4 Depth=1
	s_and_not1_b32 vcc_lo, exec_lo, s21
	s_wait_alu 0xfffe
	s_cbranch_vccnz .LBB112_17
; %bb.7:                                ;   in Loop: Header=BB112_4 Depth=1
	s_wait_dscnt 0x0
	v_mad_co_u64_u32 v[10:11], null, s18, v2, 0
	v_mov_b32_e32 v14, v1
	s_mov_b32 s16, s33
	s_delay_alu instid0(VALU_DEP_2) | instskip(SKIP_3) | instid1(VALU_DEP_3)
	v_mad_co_u64_u32 v[11:12], null, s19, v2, v[11:12]
	v_add_co_u32 v12, vcc_lo, v6, v17
	s_wait_alu 0xfffd
	v_add_co_ci_u32_e64 v13, null, 0, v7, vcc_lo
	v_lshlrev_b64_e32 v[10:11], 3, v[10:11]
	s_delay_alu instid0(VALU_DEP_1) | instskip(SKIP_1) | instid1(VALU_DEP_2)
	v_add_co_u32 v6, vcc_lo, v12, v10
	s_wait_alu 0xfffd
	v_add_co_ci_u32_e64 v7, null, v13, v11, vcc_lo
	s_branch .LBB112_9
.LBB112_8:                              ;   in Loop: Header=BB112_9 Depth=2
	s_wait_alu 0xfffe
	s_or_b32 exec_lo, exec_lo, s30
	s_ashr_i32 s17, s16, 31
	v_add_nc_u32_e32 v14, s33, v14
	s_wait_alu 0xfffe
	v_cmp_le_i64_e64 s17, s[4:5], s[16:17]
	s_add_co_i32 s16, s16, s33
	s_and_b32 vcc_lo, exec_lo, s17
	s_wait_alu 0xfffe
	s_cbranch_vccnz .LBB112_17
.LBB112_9:                              ;   Parent Loop BB112_4 Depth=1
                                        ; =>  This Inner Loop Header: Depth=2
	v_cmp_gt_i32_e32 vcc_lo, v2, v14
	s_mov_b32 s17, 0
                                        ; implicit-def: $vgpr10_vgpr11
	s_and_b32 s30, s34, vcc_lo
	s_wait_alu 0xfffe
	s_and_saveexec_b32 s31, s30
	s_wait_alu 0xfffe
	s_xor_b32 s30, exec_lo, s31
	s_cbranch_execnz .LBB112_12
; %bb.10:                               ;   in Loop: Header=BB112_9 Depth=2
	s_wait_alu 0xfffe
	s_or_saveexec_b32 s30, s30
	v_mov_b32_e32 v15, v14
	s_wait_alu 0xfffe
	s_xor_b32 exec_lo, exec_lo, s30
	s_cbranch_execnz .LBB112_13
.LBB112_11:                             ;   in Loop: Header=BB112_9 Depth=2
	s_or_b32 exec_lo, exec_lo, s30
	s_wait_alu 0xfffe
	s_and_saveexec_b32 s30, s17
	s_cbranch_execz .LBB112_8
	s_branch .LBB112_16
.LBB112_12:                             ;   in Loop: Header=BB112_9 Depth=2
	v_ashrrev_i32_e32 v15, 31, v14
	v_mul_lo_u32 v18, s19, v14
	s_wait_loadcnt_dscnt 0x0
	v_mad_co_u64_u32 v[10:11], null, s18, v14, 0
	s_mov_b32 s17, exec_lo
	v_mul_lo_u32 v15, s18, v15
	s_delay_alu instid0(VALU_DEP_1) | instskip(NEXT) | instid1(VALU_DEP_1)
	v_add3_u32 v11, v11, v15, v18
	v_lshlrev_b64_e32 v[10:11], 3, v[10:11]
	s_delay_alu instid0(VALU_DEP_1) | instskip(SKIP_1) | instid1(VALU_DEP_2)
	v_add_co_u32 v10, vcc_lo, v12, v10
	s_wait_alu 0xfffd
	v_add_co_ci_u32_e64 v11, null, v13, v11, vcc_lo
	flat_load_b64 v[10:11], v[10:11]
	s_wait_alu 0xfffe
	s_or_saveexec_b32 s30, s30
	v_mov_b32_e32 v15, v14
	s_wait_alu 0xfffe
	s_xor_b32 exec_lo, exec_lo, s30
	s_cbranch_execz .LBB112_11
.LBB112_13:                             ;   in Loop: Header=BB112_9 Depth=2
	v_cmp_eq_u32_e32 vcc_lo, v2, v14
	s_wait_alu 0xfffe
	s_mov_b32 s35, s17
                                        ; implicit-def: $vgpr10_vgpr11
	s_and_b32 s36, s34, vcc_lo
	s_delay_alu instid0(SALU_CYCLE_1)
	s_and_saveexec_b32 s31, s36
	s_cbranch_execz .LBB112_15
; %bb.14:                               ;   in Loop: Header=BB112_9 Depth=2
	s_wait_loadcnt_dscnt 0x0
	flat_load_b64 v[10:11], v[6:7]
	s_or_b32 s35, s17, exec_lo
	s_wait_loadcnt_dscnt 0x0
	v_div_scale_f64 v[18:19], null, v[10:11], v[10:11], 1.0
	s_delay_alu instid0(VALU_DEP_1) | instskip(NEXT) | instid1(TRANS32_DEP_1)
	v_rcp_f64_e32 v[20:21], v[18:19]
	v_fma_f64 v[22:23], -v[18:19], v[20:21], 1.0
	s_delay_alu instid0(VALU_DEP_1) | instskip(NEXT) | instid1(VALU_DEP_1)
	v_fma_f64 v[20:21], v[20:21], v[22:23], v[20:21]
	v_fma_f64 v[22:23], -v[18:19], v[20:21], 1.0
	s_delay_alu instid0(VALU_DEP_1) | instskip(SKIP_1) | instid1(VALU_DEP_1)
	v_fma_f64 v[20:21], v[20:21], v[22:23], v[20:21]
	v_div_scale_f64 v[22:23], vcc_lo, 1.0, v[10:11], 1.0
	v_mul_f64_e32 v[24:25], v[22:23], v[20:21]
	s_delay_alu instid0(VALU_DEP_1) | instskip(SKIP_1) | instid1(VALU_DEP_1)
	v_fma_f64 v[18:19], -v[18:19], v[24:25], v[22:23]
	s_wait_alu 0xfffd
	v_div_fmas_f64 v[18:19], v[18:19], v[20:21], v[24:25]
	s_delay_alu instid0(VALU_DEP_1)
	v_div_fixup_f64 v[10:11], v[18:19], v[10:11], 1.0
.LBB112_15:                             ;   in Loop: Header=BB112_9 Depth=2
	s_wait_alu 0xfffe
	s_or_b32 exec_lo, exec_lo, s31
	v_mov_b32_e32 v15, v2
	s_and_not1_b32 s17, s17, exec_lo
	s_and_b32 s31, s35, exec_lo
	s_wait_alu 0xfffe
	s_or_b32 s17, s17, s31
	s_or_b32 exec_lo, exec_lo, s30
	s_wait_alu 0xfffe
	s_and_saveexec_b32 s30, s17
	s_cbranch_execz .LBB112_8
.LBB112_16:                             ;   in Loop: Header=BB112_9 Depth=2
	s_load_b32 s17, s[24:25], 0xc
	s_wait_kmcnt 0x0
	s_and_b32 s17, s17, 0xffff
	s_wait_alu 0xfffe
	v_mul_lo_u32 v15, v15, s17
	s_delay_alu instid0(VALU_DEP_1)
	v_lshl_add_u32 v15, v15, 3, v16
	s_wait_loadcnt_dscnt 0x0
	ds_store_b64 v15, v[10:11]
	s_branch .LBB112_8
.LBB112_17:                             ;   in Loop: Header=BB112_4 Depth=1
	s_load_b32 s16, s[24:25], 0xc
	v_dual_mov_b32 v6, s26 :: v_dual_mov_b32 v7, s27
	s_mov_b32 s19, s23
	s_wait_kmcnt 0x0
	s_and_b32 s18, s16, 0xffff
	s_and_saveexec_b32 s35, s1
	s_cbranch_execz .LBB112_3
.LBB112_18:                             ;   in Loop: Header=BB112_4 Depth=1
	s_wait_loadcnt 0x0
	v_add_co_u32 v8, vcc_lo, v8, s14
	s_wait_alu 0xfffd
	v_add_co_ci_u32_e64 v9, null, s15, v9, vcc_lo
	s_delay_alu instid0(VALU_DEP_2) | instskip(SKIP_1) | instid1(VALU_DEP_2)
	v_add_co_u32 v8, vcc_lo, v8, v4
	s_wait_alu 0xfffd
	v_add_co_ci_u32_e64 v9, null, v9, v5, vcc_lo
	s_delay_alu instid0(VALU_DEP_2) | instskip(SKIP_1) | instid1(VALU_DEP_2)
	v_add_co_u32 v8, vcc_lo, v8, v17
	s_wait_alu 0xfffd
	v_add_co_ci_u32_e64 v9, null, 0, v9, vcc_lo
	s_and_not1_b32 vcc_lo, exec_lo, s3
	s_wait_dscnt 0x0
	flat_load_b64 v[10:11], v[8:9]
	s_wait_loadcnt_dscnt 0x0
	v_mul_f64_e32 v[10:11], s[8:9], v[10:11]
	s_wait_alu 0xfffe
	s_cbranch_vccnz .LBB112_25
; %bb.19:                               ;   in Loop: Header=BB112_4 Depth=1
	v_mad_co_u64_u32 v[12:13], null, v2, s18, v[2:3]
	s_lshl_b64 s[16:17], s[18:19], 3
	s_mov_b64 s[30:31], 0
	v_mad_co_u64_u32 v[13:14], null, v2, s19, v[13:14]
	s_delay_alu instid0(VALU_DEP_1) | instskip(SKIP_3) | instid1(VALU_DEP_3)
	v_lshlrev_b64_e32 v[14:15], 3, v[12:13]
	v_add_co_u32 v12, vcc_lo, v6, v17
	s_wait_alu 0xfffd
	v_add_co_ci_u32_e64 v13, null, 0, v7, vcc_lo
	v_add_co_u32 v14, vcc_lo, v6, v14
	s_wait_alu 0xfffd
	v_add_co_ci_u32_e64 v15, null, v7, v15, vcc_lo
	s_branch .LBB112_21
.LBB112_20:                             ;   in Loop: Header=BB112_21 Depth=2
	s_or_b32 exec_lo, exec_lo, s36
	s_wait_alu 0xfffe
	v_add_co_u32 v12, vcc_lo, v12, s16
	s_wait_alu 0xfffd
	v_add_co_ci_u32_e64 v13, null, s17, v13, vcc_lo
	s_add_nc_u64 s[30:31], s[30:31], 1
	s_wait_alu 0xfffe
	s_cmp_eq_u64 s[28:29], s[30:31]
	s_cbranch_scc1 .LBB112_25
.LBB112_21:                             ;   Parent Loop BB112_4 Depth=1
                                        ; =>  This Inner Loop Header: Depth=2
	s_mov_b32 s36, exec_lo
	s_barrier_signal -1
	s_barrier_wait -1
	global_inv scope:SCOPE_SE
	s_wait_alu 0xfffe
	v_cmpx_eq_u64_e64 s[30:31], v[2:3]
	s_cbranch_execz .LBB112_23
; %bb.22:                               ;   in Loop: Header=BB112_21 Depth=2
	flat_load_b64 v[18:19], v[14:15]
	s_wait_loadcnt_dscnt 0x0
	v_div_scale_f64 v[20:21], null, v[18:19], v[18:19], 1.0
	v_div_scale_f64 v[26:27], vcc_lo, 1.0, v[18:19], 1.0
	s_delay_alu instid0(VALU_DEP_2) | instskip(NEXT) | instid1(TRANS32_DEP_1)
	v_rcp_f64_e32 v[22:23], v[20:21]
	v_fma_f64 v[24:25], -v[20:21], v[22:23], 1.0
	s_delay_alu instid0(VALU_DEP_1) | instskip(NEXT) | instid1(VALU_DEP_1)
	v_fma_f64 v[22:23], v[22:23], v[24:25], v[22:23]
	v_fma_f64 v[24:25], -v[20:21], v[22:23], 1.0
	s_delay_alu instid0(VALU_DEP_1) | instskip(NEXT) | instid1(VALU_DEP_1)
	v_fma_f64 v[22:23], v[22:23], v[24:25], v[22:23]
	v_mul_f64_e32 v[24:25], v[26:27], v[22:23]
	s_delay_alu instid0(VALU_DEP_1) | instskip(SKIP_1) | instid1(VALU_DEP_1)
	v_fma_f64 v[20:21], -v[20:21], v[24:25], v[26:27]
	s_wait_alu 0xfffd
	v_div_fmas_f64 v[20:21], v[20:21], v[22:23], v[24:25]
	s_delay_alu instid0(VALU_DEP_1) | instskip(NEXT) | instid1(VALU_DEP_1)
	v_div_fixup_f64 v[20:21], v[20:21], v[18:19], 1.0
	v_cndmask_b32_e64 v19, v21, v19, s2
	s_delay_alu instid0(VALU_DEP_2) | instskip(NEXT) | instid1(VALU_DEP_1)
	v_cndmask_b32_e64 v18, v20, v18, s2
	v_mul_f64_e32 v[10:11], v[10:11], v[18:19]
	ds_store_b64 v0, v[10:11]
.LBB112_23:                             ;   in Loop: Header=BB112_21 Depth=2
	s_or_b32 exec_lo, exec_lo, s36
	s_delay_alu instid0(SALU_CYCLE_1)
	s_mov_b32 s36, exec_lo
	s_wait_loadcnt_dscnt 0x0
	s_barrier_signal -1
	s_barrier_wait -1
	global_inv scope:SCOPE_SE
	v_cmpx_lt_u64_e64 s[30:31], v[2:3]
	s_cbranch_execz .LBB112_20
; %bb.24:                               ;   in Loop: Header=BB112_21 Depth=2
	flat_load_b64 v[18:19], v[12:13]
	ds_load_b64 v[20:21], v0
	s_wait_loadcnt_dscnt 0x0
	v_fma_f64 v[10:11], -v[18:19], v[20:21], v[10:11]
	s_branch .LBB112_20
.LBB112_25:                             ;   in Loop: Header=BB112_4 Depth=1
	s_and_saveexec_b32 s16, s0
	s_cbranch_execz .LBB112_2
; %bb.26:                               ;   in Loop: Header=BB112_4 Depth=1
	v_mad_co_u64_u32 v[12:13], null, v2, s18, v[2:3]
	s_delay_alu instid0(VALU_DEP_1) | instskip(NEXT) | instid1(VALU_DEP_1)
	v_mad_co_u64_u32 v[13:14], null, v2, s19, v[13:14]
	v_lshlrev_b64_e32 v[12:13], 3, v[12:13]
	s_delay_alu instid0(VALU_DEP_1) | instskip(SKIP_1) | instid1(VALU_DEP_2)
	v_add_co_u32 v6, vcc_lo, v6, v12
	s_wait_alu 0xfffd
	v_add_co_ci_u32_e64 v7, null, v7, v13, vcc_lo
	flat_load_b64 v[6:7], v[6:7]
	s_wait_loadcnt_dscnt 0x0
	v_div_scale_f64 v[12:13], null, v[6:7], v[6:7], 1.0
	v_div_scale_f64 v[20:21], vcc_lo, 1.0, v[6:7], 1.0
	s_delay_alu instid0(VALU_DEP_2) | instskip(NEXT) | instid1(TRANS32_DEP_1)
	v_rcp_f64_e32 v[14:15], v[12:13]
	v_fma_f64 v[18:19], -v[12:13], v[14:15], 1.0
	s_delay_alu instid0(VALU_DEP_1) | instskip(NEXT) | instid1(VALU_DEP_1)
	v_fma_f64 v[14:15], v[14:15], v[18:19], v[14:15]
	v_fma_f64 v[18:19], -v[12:13], v[14:15], 1.0
	s_delay_alu instid0(VALU_DEP_1) | instskip(NEXT) | instid1(VALU_DEP_1)
	v_fma_f64 v[14:15], v[14:15], v[18:19], v[14:15]
	v_mul_f64_e32 v[18:19], v[20:21], v[14:15]
	s_delay_alu instid0(VALU_DEP_1) | instskip(SKIP_1) | instid1(VALU_DEP_1)
	v_fma_f64 v[12:13], -v[12:13], v[18:19], v[20:21]
	s_wait_alu 0xfffd
	v_div_fmas_f64 v[12:13], v[12:13], v[14:15], v[18:19]
	s_delay_alu instid0(VALU_DEP_1) | instskip(NEXT) | instid1(VALU_DEP_1)
	v_div_fixup_f64 v[12:13], v[12:13], v[6:7], 1.0
	v_cndmask_b32_e64 v7, v13, v7, s2
	s_delay_alu instid0(VALU_DEP_2) | instskip(NEXT) | instid1(VALU_DEP_1)
	v_cndmask_b32_e64 v6, v12, v6, s2
	v_mul_f64_e32 v[10:11], v[10:11], v[6:7]
	s_branch .LBB112_2
.LBB112_27:
	s_endpgm
	.section	.rodata,"a",@progbits
	.p2align	6, 0x0
	.amdhsa_kernel _ZL39rocblas_trsm_block_forward_substitutionIddPKPKdPKPdLb0ELb0ELb0EEv18rocblas_operation_llT0_T1_lllT2_lllib
		.amdhsa_group_segment_fixed_size 0
		.amdhsa_private_segment_fixed_size 0
		.amdhsa_kernarg_size 360
		.amdhsa_user_sgpr_count 2
		.amdhsa_user_sgpr_dispatch_ptr 0
		.amdhsa_user_sgpr_queue_ptr 0
		.amdhsa_user_sgpr_kernarg_segment_ptr 1
		.amdhsa_user_sgpr_dispatch_id 0
		.amdhsa_user_sgpr_private_segment_size 0
		.amdhsa_wavefront_size32 1
		.amdhsa_uses_dynamic_stack 0
		.amdhsa_enable_private_segment 0
		.amdhsa_system_sgpr_workgroup_id_x 1
		.amdhsa_system_sgpr_workgroup_id_y 1
		.amdhsa_system_sgpr_workgroup_id_z 1
		.amdhsa_system_sgpr_workgroup_info 0
		.amdhsa_system_vgpr_workitem_id 1
		.amdhsa_next_free_vgpr 28
		.amdhsa_next_free_sgpr 37
		.amdhsa_reserve_vcc 1
		.amdhsa_float_round_mode_32 0
		.amdhsa_float_round_mode_16_64 0
		.amdhsa_float_denorm_mode_32 3
		.amdhsa_float_denorm_mode_16_64 3
		.amdhsa_fp16_overflow 0
		.amdhsa_workgroup_processor_mode 1
		.amdhsa_memory_ordered 1
		.amdhsa_forward_progress 1
		.amdhsa_inst_pref_size 14
		.amdhsa_round_robin_scheduling 0
		.amdhsa_exception_fp_ieee_invalid_op 0
		.amdhsa_exception_fp_denorm_src 0
		.amdhsa_exception_fp_ieee_div_zero 0
		.amdhsa_exception_fp_ieee_overflow 0
		.amdhsa_exception_fp_ieee_underflow 0
		.amdhsa_exception_fp_ieee_inexact 0
		.amdhsa_exception_int_div_zero 0
	.end_amdhsa_kernel
	.section	.text._ZL39rocblas_trsm_block_forward_substitutionIddPKPKdPKPdLb0ELb0ELb0EEv18rocblas_operation_llT0_T1_lllT2_lllib,"axG",@progbits,_ZL39rocblas_trsm_block_forward_substitutionIddPKPKdPKPdLb0ELb0ELb0EEv18rocblas_operation_llT0_T1_lllT2_lllib,comdat
.Lfunc_end112:
	.size	_ZL39rocblas_trsm_block_forward_substitutionIddPKPKdPKPdLb0ELb0ELb0EEv18rocblas_operation_llT0_T1_lllT2_lllib, .Lfunc_end112-_ZL39rocblas_trsm_block_forward_substitutionIddPKPKdPKPdLb0ELb0ELb0EEv18rocblas_operation_llT0_T1_lllT2_lllib
                                        ; -- End function
	.set _ZL39rocblas_trsm_block_forward_substitutionIddPKPKdPKPdLb0ELb0ELb0EEv18rocblas_operation_llT0_T1_lllT2_lllib.num_vgpr, 28
	.set _ZL39rocblas_trsm_block_forward_substitutionIddPKPKdPKPdLb0ELb0ELb0EEv18rocblas_operation_llT0_T1_lllT2_lllib.num_agpr, 0
	.set _ZL39rocblas_trsm_block_forward_substitutionIddPKPKdPKPdLb0ELb0ELb0EEv18rocblas_operation_llT0_T1_lllT2_lllib.numbered_sgpr, 37
	.set _ZL39rocblas_trsm_block_forward_substitutionIddPKPKdPKPdLb0ELb0ELb0EEv18rocblas_operation_llT0_T1_lllT2_lllib.num_named_barrier, 0
	.set _ZL39rocblas_trsm_block_forward_substitutionIddPKPKdPKPdLb0ELb0ELb0EEv18rocblas_operation_llT0_T1_lllT2_lllib.private_seg_size, 0
	.set _ZL39rocblas_trsm_block_forward_substitutionIddPKPKdPKPdLb0ELb0ELb0EEv18rocblas_operation_llT0_T1_lllT2_lllib.uses_vcc, 1
	.set _ZL39rocblas_trsm_block_forward_substitutionIddPKPKdPKPdLb0ELb0ELb0EEv18rocblas_operation_llT0_T1_lllT2_lllib.uses_flat_scratch, 0
	.set _ZL39rocblas_trsm_block_forward_substitutionIddPKPKdPKPdLb0ELb0ELb0EEv18rocblas_operation_llT0_T1_lllT2_lllib.has_dyn_sized_stack, 0
	.set _ZL39rocblas_trsm_block_forward_substitutionIddPKPKdPKPdLb0ELb0ELb0EEv18rocblas_operation_llT0_T1_lllT2_lllib.has_recursion, 0
	.set _ZL39rocblas_trsm_block_forward_substitutionIddPKPKdPKPdLb0ELb0ELb0EEv18rocblas_operation_llT0_T1_lllT2_lllib.has_indirect_call, 0
	.section	.AMDGPU.csdata,"",@progbits
; Kernel info:
; codeLenInByte = 1740
; TotalNumSgprs: 39
; NumVgprs: 28
; ScratchSize: 0
; MemoryBound: 1
; FloatMode: 240
; IeeeMode: 1
; LDSByteSize: 0 bytes/workgroup (compile time only)
; SGPRBlocks: 0
; VGPRBlocks: 3
; NumSGPRsForWavesPerEU: 39
; NumVGPRsForWavesPerEU: 28
; Occupancy: 16
; WaveLimiterHint : 1
; COMPUTE_PGM_RSRC2:SCRATCH_EN: 0
; COMPUTE_PGM_RSRC2:USER_SGPR: 2
; COMPUTE_PGM_RSRC2:TRAP_HANDLER: 0
; COMPUTE_PGM_RSRC2:TGID_X_EN: 1
; COMPUTE_PGM_RSRC2:TGID_Y_EN: 1
; COMPUTE_PGM_RSRC2:TGID_Z_EN: 1
; COMPUTE_PGM_RSRC2:TIDIG_COMP_CNT: 1
	.section	.text._ZL40rocblas_trsm_block_backward_substitutionIddPKPKdPKPdLb0ELb0ELb0EEv18rocblas_operation_llT0_T1_lllT2_lllib,"axG",@progbits,_ZL40rocblas_trsm_block_backward_substitutionIddPKPKdPKPdLb0ELb0ELb0EEv18rocblas_operation_llT0_T1_lllT2_lllib,comdat
	.globl	_ZL40rocblas_trsm_block_backward_substitutionIddPKPKdPKPdLb0ELb0ELb0EEv18rocblas_operation_llT0_T1_lllT2_lllib ; -- Begin function _ZL40rocblas_trsm_block_backward_substitutionIddPKPKdPKPdLb0ELb0ELb0EEv18rocblas_operation_llT0_T1_lllT2_lllib
	.p2align	8
	.type	_ZL40rocblas_trsm_block_backward_substitutionIddPKPKdPKPdLb0ELb0ELb0EEv18rocblas_operation_llT0_T1_lllT2_lllib,@function
_ZL40rocblas_trsm_block_backward_substitutionIddPKPKdPKPdLb0ELb0ELb0EEv18rocblas_operation_llT0_T1_lllT2_lllib: ; @_ZL40rocblas_trsm_block_backward_substitutionIddPKPKdPKPdLb0ELb0ELb0EEv18rocblas_operation_llT0_T1_lllT2_lllib
; %bb.0:
	s_load_b64 s[20:21], s[0:1], 0x60
	s_lshr_b32 s22, ttmp7, 16
	s_wait_kmcnt 0x0
	s_cmp_ge_u32 s22, s20
	s_cbranch_scc1 .LBB113_29
; %bb.1:
	s_clause 0x4
	s_load_b128 s[12:15], s[0:1], 0x28
	s_load_b64 s[2:3], s[0:1], 0x50
	s_load_b256 s[4:11], s[0:1], 0x8
	s_load_u16 s33, s[0:1], 0x76
	s_load_b128 s[16:19], s[0:1], 0x40
	v_dual_mov_b32 v2, 0 :: v_dual_and_b32 v1, 0x3ff, v0
	v_bfe_u32 v0, v0, 10, 10
	s_bitcmp1_b32 s21, 0
	s_add_nc_u64 s[24:25], s[0:1], 0x68
	s_cselect_b32 s0, -1, 0
	s_and_b32 s21, ttmp7, 0xffff
	s_mov_b64 s[26:27], src_shared_base
	v_lshlrev_b32_e32 v19, 3, v1
	v_lshl_add_u32 v20, v0, 3, 0
	v_cmp_eq_u32_e64 s1, 0, v1
	v_lshlrev_b32_e32 v22, 3, v1
	s_mov_b32 s23, 0
	s_wait_kmcnt 0x0
	v_mad_co_u64_u32 v[3:4], null, s14, v1, 0
	v_mad_co_u64_u32 v[5:6], null, s2, v1, 0
	;; [unrolled: 1-line block ×3, first 2 shown]
	s_lshl_b32 s26, s33, 3
	v_mov_b32_e32 v8, v2
	s_add_co_i32 s26, s26, 0
	v_cmp_le_i64_e64 s21, s[4:5], v[1:2]
	v_mad_co_u64_u32 v[9:10], null, s15, v1, v[4:5]
	v_mad_co_u64_u32 v[10:11], null, s3, v1, v[6:7]
	v_cmp_gt_i64_e64 s2, s[4:5], v[1:2]
	v_cmp_gt_i64_e32 vcc_lo, s[6:7], v[7:8]
	v_cmp_gt_i64_e64 s40, s[4:5], 0
	v_dual_mov_b32 v4, v9 :: v_dual_add_nc_u32 v21, s26, v19
	v_lshlrev_b64_e32 v[7:8], 3, v[7:8]
	v_mov_b32_e32 v6, v10
	v_cmp_gt_i64_e64 s42, s[4:5], 1
	s_add_nc_u64 s[28:29], s[4:5], -1
	v_lshlrev_b64_e32 v[3:4], 3, v[3:4]
	s_lshl_b64 s[6:7], s[28:29], 3
	v_lshlrev_b64_e32 v[5:6], 3, v[5:6]
	s_and_b32 s41, vcc_lo, s2
	s_lshl_b64 s[12:13], s[12:13], 3
	s_xor_b32 s43, s21, -1
	s_lshl_b64 s[18:19], s[18:19], 3
	s_branch .LBB113_4
.LBB113_2:                              ;   in Loop: Header=BB113_4 Depth=1
	s_wait_alu 0xfffe
	s_or_b32 exec_lo, exec_lo, s36
	flat_store_b64 v[9:10], v[13:14]
.LBB113_3:                              ;   in Loop: Header=BB113_4 Depth=1
	s_wait_alu 0xfffe
	s_or_b32 exec_lo, exec_lo, s3
	s_add_co_i32 s22, s22, 0x10000
	s_delay_alu instid0(SALU_CYCLE_1)
	s_cmp_lt_u32 s22, s20
	s_cbranch_scc0 .LBB113_29
.LBB113_4:                              ; =>This Loop Header: Depth=1
                                        ;     Child Loop BB113_9 Depth 2
                                        ;     Child Loop BB113_23 Depth 2
	s_lshl_b64 s[30:31], s[22:23], 3
	s_wait_alu 0xfffe
	s_add_nc_u64 s[34:35], s[10:11], s[30:31]
	s_add_nc_u64 s[30:31], s[16:17], s[30:31]
	global_load_b64 v[11:12], v2, s[34:35]
	s_wait_loadcnt 0x1
	global_load_b64 v[9:10], v2, s[30:31]
	s_mov_b64 s[30:31], 1
	s_mov_b64 s[34:35], s[14:15]
	s_wait_loadcnt 0x1
	v_add_co_u32 v11, vcc_lo, v11, s12
	s_wait_alu 0xfffd
	v_add_co_ci_u32_e64 v12, null, s13, v12, vcc_lo
	s_and_not1_b32 vcc_lo, exec_lo, s0
	s_wait_alu 0xfffe
	s_cbranch_vccz .LBB113_6
; %bb.5:                                ;   in Loop: Header=BB113_4 Depth=1
	s_and_saveexec_b32 s3, s41
	s_cbranch_execz .LBB113_3
	s_branch .LBB113_20
.LBB113_6:                              ;   in Loop: Header=BB113_4 Depth=1
	s_and_not1_b32 vcc_lo, exec_lo, s40
	s_wait_alu 0xfffe
	s_cbranch_vccnz .LBB113_19
; %bb.7:                                ;   in Loop: Header=BB113_4 Depth=1
	v_add_co_u32 v17, vcc_lo, v11, v3
	s_wait_alu 0xfffd
	v_add_co_ci_u32_e64 v18, null, v12, v4, vcc_lo
	v_mov_b32_e32 v13, v0
	s_delay_alu instid0(VALU_DEP_3) | instskip(SKIP_1) | instid1(VALU_DEP_3)
	v_add_co_u32 v11, vcc_lo, v17, v22
	s_wait_alu 0xfffd
	v_add_co_ci_u32_e64 v12, null, 0, v18, vcc_lo
	s_mov_b32 s30, s33
	s_branch .LBB113_9
.LBB113_8:                              ;   in Loop: Header=BB113_9 Depth=2
	s_wait_alu 0xfffe
	s_or_b32 exec_lo, exec_lo, s31
	s_ashr_i32 s31, s30, 31
	v_add_nc_u32_e32 v13, s33, v13
	s_wait_alu 0xfffe
	v_cmp_le_i64_e64 s3, s[4:5], s[30:31]
	s_add_co_i32 s30, s30, s33
	s_and_b32 vcc_lo, exec_lo, s3
	s_wait_alu 0xfffe
	s_cbranch_vccnz .LBB113_19
.LBB113_9:                              ;   Parent Loop BB113_4 Depth=1
                                        ; =>  This Inner Loop Header: Depth=2
	s_mov_b32 s3, 0
	s_mov_b32 s34, s21
                                        ; implicit-def: $vgpr15_vgpr16
	s_and_saveexec_b32 s31, s2
	s_cbranch_execnz .LBB113_12
; %bb.10:                               ;   in Loop: Header=BB113_9 Depth=2
	s_wait_alu 0xfffe
	s_or_b32 exec_lo, exec_lo, s31
	v_mov_b32_e32 v14, v13
	s_and_saveexec_b32 s31, s34
	s_cbranch_execnz .LBB113_15
.LBB113_11:                             ;   in Loop: Header=BB113_9 Depth=2
	s_wait_alu 0xfffe
	s_or_b32 exec_lo, exec_lo, s31
	s_and_saveexec_b32 s31, s3
	s_cbranch_execz .LBB113_8
	s_branch .LBB113_18
.LBB113_12:                             ;   in Loop: Header=BB113_9 Depth=2
	v_ashrrev_i32_e32 v14, 31, v13
	v_cmp_lt_i32_e64 s3, v1, v13
	s_mov_b32 s34, -1
                                        ; implicit-def: $vgpr15_vgpr16
	v_cmp_gt_i64_e32 vcc_lo, s[4:5], v[13:14]
	s_wait_alu 0xfffe
	s_and_b32 s36, s3, vcc_lo
	s_mov_b32 s3, 0
	s_wait_alu 0xfffe
	s_and_saveexec_b32 s35, s36
	s_cbranch_execz .LBB113_14
; %bb.13:                               ;   in Loop: Header=BB113_9 Depth=2
	s_wait_loadcnt_dscnt 0x0
	v_lshlrev_b64_e32 v[14:15], 3, v[13:14]
	s_mov_b32 s3, exec_lo
	s_xor_b32 s34, exec_lo, -1
	s_delay_alu instid0(VALU_DEP_1) | instskip(SKIP_1) | instid1(VALU_DEP_2)
	v_add_co_u32 v14, vcc_lo, v17, v14
	s_wait_alu 0xfffd
	v_add_co_ci_u32_e64 v15, null, v18, v15, vcc_lo
	flat_load_b64 v[15:16], v[14:15]
.LBB113_14:                             ;   in Loop: Header=BB113_9 Depth=2
	s_wait_alu 0xfffe
	s_or_b32 exec_lo, exec_lo, s35
	s_delay_alu instid0(SALU_CYCLE_1)
	s_and_not1_b32 s35, s21, exec_lo
	s_and_b32 s34, s34, exec_lo
	s_and_b32 s3, s3, exec_lo
	s_wait_alu 0xfffe
	s_or_b32 s34, s35, s34
	s_or_b32 exec_lo, exec_lo, s31
	v_mov_b32_e32 v14, v13
	s_wait_alu 0xfffe
	s_and_saveexec_b32 s31, s34
	s_cbranch_execz .LBB113_11
.LBB113_15:                             ;   in Loop: Header=BB113_9 Depth=2
	v_cmp_eq_u32_e32 vcc_lo, v1, v13
	s_wait_alu 0xfffe
	s_mov_b32 s35, s3
                                        ; implicit-def: $vgpr15_vgpr16
	s_and_b32 s36, s43, vcc_lo
	s_wait_alu 0xfffe
	s_and_saveexec_b32 s34, s36
	s_cbranch_execz .LBB113_17
; %bb.16:                               ;   in Loop: Header=BB113_9 Depth=2
	s_wait_loadcnt_dscnt 0x0
	flat_load_b64 v[14:15], v[11:12]
	s_or_b32 s35, s3, exec_lo
	s_wait_loadcnt_dscnt 0x0
	v_div_scale_f64 v[23:24], null, v[14:15], v[14:15], 1.0
	s_delay_alu instid0(VALU_DEP_1) | instskip(NEXT) | instid1(TRANS32_DEP_1)
	v_rcp_f64_e32 v[25:26], v[23:24]
	v_fma_f64 v[27:28], -v[23:24], v[25:26], 1.0
	s_delay_alu instid0(VALU_DEP_1) | instskip(NEXT) | instid1(VALU_DEP_1)
	v_fma_f64 v[25:26], v[25:26], v[27:28], v[25:26]
	v_fma_f64 v[27:28], -v[23:24], v[25:26], 1.0
	s_delay_alu instid0(VALU_DEP_1) | instskip(SKIP_1) | instid1(VALU_DEP_1)
	v_fma_f64 v[25:26], v[25:26], v[27:28], v[25:26]
	v_div_scale_f64 v[27:28], vcc_lo, 1.0, v[14:15], 1.0
	v_mul_f64_e32 v[29:30], v[27:28], v[25:26]
	s_delay_alu instid0(VALU_DEP_1) | instskip(SKIP_1) | instid1(VALU_DEP_1)
	v_fma_f64 v[23:24], -v[23:24], v[29:30], v[27:28]
	s_wait_alu 0xfffd
	v_div_fmas_f64 v[23:24], v[23:24], v[25:26], v[29:30]
	s_delay_alu instid0(VALU_DEP_1)
	v_div_fixup_f64 v[15:16], v[23:24], v[14:15], 1.0
.LBB113_17:                             ;   in Loop: Header=BB113_9 Depth=2
	s_wait_alu 0xfffe
	s_or_b32 exec_lo, exec_lo, s34
	v_mov_b32_e32 v14, v1
	s_and_not1_b32 s3, s3, exec_lo
	s_and_b32 s34, s35, exec_lo
	s_wait_alu 0xfffe
	s_or_b32 s3, s3, s34
	s_or_b32 exec_lo, exec_lo, s31
	s_wait_alu 0xfffe
	s_and_saveexec_b32 s31, s3
	s_cbranch_execz .LBB113_8
.LBB113_18:                             ;   in Loop: Header=BB113_9 Depth=2
	s_load_b32 s3, s[24:25], 0xc
	s_wait_kmcnt 0x0
	s_and_b32 s3, s3, 0xffff
	s_wait_alu 0xfffe
	v_mul_lo_u32 v14, v14, s3
	s_delay_alu instid0(VALU_DEP_1)
	v_lshl_add_u32 v14, v14, 3, v21
	s_wait_loadcnt_dscnt 0x0
	ds_store_b64 v14, v[15:16]
	s_branch .LBB113_8
.LBB113_19:                             ;   in Loop: Header=BB113_4 Depth=1
	s_load_b32 s3, s[24:25], 0xc
	v_dual_mov_b32 v11, s26 :: v_dual_mov_b32 v12, s27
	s_mov_b32 s31, s23
	s_mov_b64 s[34:35], 1
	s_wait_kmcnt 0x0
	s_and_b32 s30, s3, 0xffff
	s_and_saveexec_b32 s3, s41
	s_cbranch_execz .LBB113_3
.LBB113_20:                             ;   in Loop: Header=BB113_4 Depth=1
	s_wait_loadcnt 0x0
	v_add_co_u32 v9, vcc_lo, v9, s18
	s_wait_alu 0xfffd
	v_add_co_ci_u32_e64 v10, null, s19, v10, vcc_lo
	s_delay_alu instid0(VALU_DEP_2) | instskip(SKIP_1) | instid1(VALU_DEP_2)
	v_add_co_u32 v9, vcc_lo, v9, v5
	s_wait_alu 0xfffd
	v_add_co_ci_u32_e64 v10, null, v10, v6, vcc_lo
	s_delay_alu instid0(VALU_DEP_2) | instskip(SKIP_1) | instid1(VALU_DEP_2)
	v_add_co_u32 v9, vcc_lo, v9, v7
	s_wait_alu 0xfffd
	v_add_co_ci_u32_e64 v10, null, v10, v8, vcc_lo
	s_and_not1_b32 vcc_lo, exec_lo, s42
	flat_load_b64 v[13:14], v[9:10]
	s_wait_loadcnt_dscnt 0x0
	v_mul_f64_e32 v[13:14], s[8:9], v[13:14]
	s_wait_alu 0xfffe
	s_cbranch_vccnz .LBB113_27
; %bb.21:                               ;   in Loop: Header=BB113_4 Depth=1
	s_add_nc_u64 s[36:37], s[30:31], s[34:35]
	s_mul_u64 s[38:39], s[6:7], s[30:31]
	s_wait_alu 0xfffe
	v_mad_co_u64_u32 v[17:18], null, s36, v1, 0
	v_add_co_u32 v15, vcc_lo, v11, s38
	s_wait_alu 0xfffd
	v_add_co_ci_u32_e64 v16, null, s39, v12, vcc_lo
	s_lshl_b32 s36, s30, 3
	s_mov_b64 s[38:39], s[28:29]
	v_mad_co_u64_u32 v[23:24], null, s37, v1, v[18:19]
	v_mad_co_u64_u32 v[15:16], null, v19, s34, v[15:16]
	s_mov_b32 s37, s23
	s_wait_alu 0xfffe
	s_sub_nc_u64 s[36:37], 0, s[36:37]
	v_mov_b32_e32 v18, v23
	v_mad_co_u64_u32 v[23:24], null, v19, s35, v[16:17]
	s_delay_alu instid0(VALU_DEP_2) | instskip(NEXT) | instid1(VALU_DEP_2)
	v_lshlrev_b64_e32 v[17:18], 3, v[17:18]
	v_mov_b32_e32 v16, v23
	s_delay_alu instid0(VALU_DEP_2) | instskip(SKIP_1) | instid1(VALU_DEP_3)
	v_add_co_u32 v17, vcc_lo, v11, v17
	s_wait_alu 0xfffd
	v_add_co_ci_u32_e64 v18, null, v12, v18, vcc_lo
	s_branch .LBB113_23
.LBB113_22:                             ;   in Loop: Header=BB113_23 Depth=2
	s_wait_alu 0xfffe
	s_or_b32 exec_lo, exec_lo, s44
	s_add_nc_u64 s[44:45], s[38:39], 1
	v_add_co_u32 v15, vcc_lo, v15, s36
	s_wait_alu 0xfffe
	v_cmp_lt_u64_e64 s44, s[44:45], 3
	s_wait_alu 0xfffd
	v_add_co_ci_u32_e64 v16, null, s37, v16, vcc_lo
	s_add_nc_u64 s[38:39], s[38:39], -1
	s_and_b32 vcc_lo, exec_lo, s44
	s_wait_alu 0xfffe
	s_cbranch_vccnz .LBB113_27
.LBB113_23:                             ;   Parent Loop BB113_4 Depth=1
                                        ; =>  This Inner Loop Header: Depth=2
	s_mov_b32 s44, exec_lo
	s_barrier_signal -1
	s_barrier_wait -1
	global_inv scope:SCOPE_SE
	v_cmpx_eq_u64_e64 s[38:39], v[1:2]
	s_cbranch_execz .LBB113_25
; %bb.24:                               ;   in Loop: Header=BB113_23 Depth=2
	flat_load_b64 v[23:24], v[17:18]
	s_wait_loadcnt_dscnt 0x0
	v_div_scale_f64 v[25:26], null, v[23:24], v[23:24], 1.0
	v_div_scale_f64 v[31:32], vcc_lo, 1.0, v[23:24], 1.0
	s_delay_alu instid0(VALU_DEP_2) | instskip(NEXT) | instid1(TRANS32_DEP_1)
	v_rcp_f64_e32 v[27:28], v[25:26]
	v_fma_f64 v[29:30], -v[25:26], v[27:28], 1.0
	s_delay_alu instid0(VALU_DEP_1) | instskip(NEXT) | instid1(VALU_DEP_1)
	v_fma_f64 v[27:28], v[27:28], v[29:30], v[27:28]
	v_fma_f64 v[29:30], -v[25:26], v[27:28], 1.0
	s_delay_alu instid0(VALU_DEP_1) | instskip(NEXT) | instid1(VALU_DEP_1)
	v_fma_f64 v[27:28], v[27:28], v[29:30], v[27:28]
	v_mul_f64_e32 v[29:30], v[31:32], v[27:28]
	s_delay_alu instid0(VALU_DEP_1) | instskip(SKIP_1) | instid1(VALU_DEP_1)
	v_fma_f64 v[25:26], -v[25:26], v[29:30], v[31:32]
	s_wait_alu 0xfffd
	v_div_fmas_f64 v[25:26], v[25:26], v[27:28], v[29:30]
	s_delay_alu instid0(VALU_DEP_1) | instskip(NEXT) | instid1(VALU_DEP_1)
	v_div_fixup_f64 v[25:26], v[25:26], v[23:24], 1.0
	v_cndmask_b32_e64 v24, v26, v24, s0
	s_delay_alu instid0(VALU_DEP_2) | instskip(NEXT) | instid1(VALU_DEP_1)
	v_cndmask_b32_e64 v23, v25, v23, s0
	v_mul_f64_e32 v[13:14], v[13:14], v[23:24]
	ds_store_b64 v20, v[13:14]
.LBB113_25:                             ;   in Loop: Header=BB113_23 Depth=2
	s_wait_alu 0xfffe
	s_or_b32 exec_lo, exec_lo, s44
	s_delay_alu instid0(SALU_CYCLE_1)
	s_mov_b32 s44, exec_lo
	s_wait_loadcnt_dscnt 0x0
	s_barrier_signal -1
	s_barrier_wait -1
	global_inv scope:SCOPE_SE
	v_cmpx_gt_i64_e64 s[38:39], v[1:2]
	s_cbranch_execz .LBB113_22
; %bb.26:                               ;   in Loop: Header=BB113_23 Depth=2
	flat_load_b64 v[23:24], v[15:16]
	ds_load_b64 v[25:26], v20
	s_wait_loadcnt_dscnt 0x0
	v_fma_f64 v[13:14], -v[23:24], v[25:26], v[13:14]
	s_branch .LBB113_22
.LBB113_27:                             ;   in Loop: Header=BB113_4 Depth=1
	s_and_saveexec_b32 s36, s1
	s_cbranch_execz .LBB113_2
; %bb.28:                               ;   in Loop: Header=BB113_4 Depth=1
	s_add_nc_u64 s[30:31], s[30:31], s[34:35]
	s_wait_alu 0xfffe
	v_mad_co_u64_u32 v[15:16], null, s30, v1, 0
	s_delay_alu instid0(VALU_DEP_1) | instskip(NEXT) | instid1(VALU_DEP_1)
	v_mad_co_u64_u32 v[16:17], null, s31, v1, v[16:17]
	v_lshlrev_b64_e32 v[15:16], 3, v[15:16]
	s_delay_alu instid0(VALU_DEP_1) | instskip(SKIP_1) | instid1(VALU_DEP_2)
	v_add_co_u32 v11, vcc_lo, v11, v15
	s_wait_alu 0xfffd
	v_add_co_ci_u32_e64 v12, null, v12, v16, vcc_lo
	flat_load_b64 v[11:12], v[11:12]
	s_wait_loadcnt_dscnt 0x0
	v_div_scale_f64 v[15:16], null, v[11:12], v[11:12], 1.0
	v_div_scale_f64 v[25:26], vcc_lo, 1.0, v[11:12], 1.0
	s_delay_alu instid0(VALU_DEP_2) | instskip(NEXT) | instid1(TRANS32_DEP_1)
	v_rcp_f64_e32 v[17:18], v[15:16]
	v_fma_f64 v[23:24], -v[15:16], v[17:18], 1.0
	s_delay_alu instid0(VALU_DEP_1) | instskip(NEXT) | instid1(VALU_DEP_1)
	v_fma_f64 v[17:18], v[17:18], v[23:24], v[17:18]
	v_fma_f64 v[23:24], -v[15:16], v[17:18], 1.0
	s_delay_alu instid0(VALU_DEP_1) | instskip(NEXT) | instid1(VALU_DEP_1)
	v_fma_f64 v[17:18], v[17:18], v[23:24], v[17:18]
	v_mul_f64_e32 v[23:24], v[25:26], v[17:18]
	s_delay_alu instid0(VALU_DEP_1) | instskip(SKIP_1) | instid1(VALU_DEP_1)
	v_fma_f64 v[15:16], -v[15:16], v[23:24], v[25:26]
	s_wait_alu 0xfffd
	v_div_fmas_f64 v[15:16], v[15:16], v[17:18], v[23:24]
	s_delay_alu instid0(VALU_DEP_1) | instskip(NEXT) | instid1(VALU_DEP_1)
	v_div_fixup_f64 v[15:16], v[15:16], v[11:12], 1.0
	v_cndmask_b32_e64 v12, v16, v12, s0
	s_delay_alu instid0(VALU_DEP_2) | instskip(NEXT) | instid1(VALU_DEP_1)
	v_cndmask_b32_e64 v11, v15, v11, s0
	v_mul_f64_e32 v[13:14], v[13:14], v[11:12]
	s_branch .LBB113_2
.LBB113_29:
	s_endpgm
	.section	.rodata,"a",@progbits
	.p2align	6, 0x0
	.amdhsa_kernel _ZL40rocblas_trsm_block_backward_substitutionIddPKPKdPKPdLb0ELb0ELb0EEv18rocblas_operation_llT0_T1_lllT2_lllib
		.amdhsa_group_segment_fixed_size 0
		.amdhsa_private_segment_fixed_size 0
		.amdhsa_kernarg_size 360
		.amdhsa_user_sgpr_count 2
		.amdhsa_user_sgpr_dispatch_ptr 0
		.amdhsa_user_sgpr_queue_ptr 0
		.amdhsa_user_sgpr_kernarg_segment_ptr 1
		.amdhsa_user_sgpr_dispatch_id 0
		.amdhsa_user_sgpr_private_segment_size 0
		.amdhsa_wavefront_size32 1
		.amdhsa_uses_dynamic_stack 0
		.amdhsa_enable_private_segment 0
		.amdhsa_system_sgpr_workgroup_id_x 1
		.amdhsa_system_sgpr_workgroup_id_y 1
		.amdhsa_system_sgpr_workgroup_id_z 1
		.amdhsa_system_sgpr_workgroup_info 0
		.amdhsa_system_vgpr_workitem_id 1
		.amdhsa_next_free_vgpr 33
		.amdhsa_next_free_sgpr 46
		.amdhsa_reserve_vcc 1
		.amdhsa_float_round_mode_32 0
		.amdhsa_float_round_mode_16_64 0
		.amdhsa_float_denorm_mode_32 3
		.amdhsa_float_denorm_mode_16_64 3
		.amdhsa_fp16_overflow 0
		.amdhsa_workgroup_processor_mode 1
		.amdhsa_memory_ordered 1
		.amdhsa_forward_progress 1
		.amdhsa_inst_pref_size 15
		.amdhsa_round_robin_scheduling 0
		.amdhsa_exception_fp_ieee_invalid_op 0
		.amdhsa_exception_fp_denorm_src 0
		.amdhsa_exception_fp_ieee_div_zero 0
		.amdhsa_exception_fp_ieee_overflow 0
		.amdhsa_exception_fp_ieee_underflow 0
		.amdhsa_exception_fp_ieee_inexact 0
		.amdhsa_exception_int_div_zero 0
	.end_amdhsa_kernel
	.section	.text._ZL40rocblas_trsm_block_backward_substitutionIddPKPKdPKPdLb0ELb0ELb0EEv18rocblas_operation_llT0_T1_lllT2_lllib,"axG",@progbits,_ZL40rocblas_trsm_block_backward_substitutionIddPKPKdPKPdLb0ELb0ELb0EEv18rocblas_operation_llT0_T1_lllT2_lllib,comdat
.Lfunc_end113:
	.size	_ZL40rocblas_trsm_block_backward_substitutionIddPKPKdPKPdLb0ELb0ELb0EEv18rocblas_operation_llT0_T1_lllT2_lllib, .Lfunc_end113-_ZL40rocblas_trsm_block_backward_substitutionIddPKPKdPKPdLb0ELb0ELb0EEv18rocblas_operation_llT0_T1_lllT2_lllib
                                        ; -- End function
	.set _ZL40rocblas_trsm_block_backward_substitutionIddPKPKdPKPdLb0ELb0ELb0EEv18rocblas_operation_llT0_T1_lllT2_lllib.num_vgpr, 33
	.set _ZL40rocblas_trsm_block_backward_substitutionIddPKPKdPKPdLb0ELb0ELb0EEv18rocblas_operation_llT0_T1_lllT2_lllib.num_agpr, 0
	.set _ZL40rocblas_trsm_block_backward_substitutionIddPKPKdPKPdLb0ELb0ELb0EEv18rocblas_operation_llT0_T1_lllT2_lllib.numbered_sgpr, 46
	.set _ZL40rocblas_trsm_block_backward_substitutionIddPKPKdPKPdLb0ELb0ELb0EEv18rocblas_operation_llT0_T1_lllT2_lllib.num_named_barrier, 0
	.set _ZL40rocblas_trsm_block_backward_substitutionIddPKPKdPKPdLb0ELb0ELb0EEv18rocblas_operation_llT0_T1_lllT2_lllib.private_seg_size, 0
	.set _ZL40rocblas_trsm_block_backward_substitutionIddPKPKdPKPdLb0ELb0ELb0EEv18rocblas_operation_llT0_T1_lllT2_lllib.uses_vcc, 1
	.set _ZL40rocblas_trsm_block_backward_substitutionIddPKPKdPKPdLb0ELb0ELb0EEv18rocblas_operation_llT0_T1_lllT2_lllib.uses_flat_scratch, 0
	.set _ZL40rocblas_trsm_block_backward_substitutionIddPKPKdPKPdLb0ELb0ELb0EEv18rocblas_operation_llT0_T1_lllT2_lllib.has_dyn_sized_stack, 0
	.set _ZL40rocblas_trsm_block_backward_substitutionIddPKPKdPKPdLb0ELb0ELb0EEv18rocblas_operation_llT0_T1_lllT2_lllib.has_recursion, 0
	.set _ZL40rocblas_trsm_block_backward_substitutionIddPKPKdPKPdLb0ELb0ELb0EEv18rocblas_operation_llT0_T1_lllT2_lllib.has_indirect_call, 0
	.section	.AMDGPU.csdata,"",@progbits
; Kernel info:
; codeLenInByte = 1840
; TotalNumSgprs: 48
; NumVgprs: 33
; ScratchSize: 0
; MemoryBound: 1
; FloatMode: 240
; IeeeMode: 1
; LDSByteSize: 0 bytes/workgroup (compile time only)
; SGPRBlocks: 0
; VGPRBlocks: 4
; NumSGPRsForWavesPerEU: 48
; NumVGPRsForWavesPerEU: 33
; Occupancy: 16
; WaveLimiterHint : 1
; COMPUTE_PGM_RSRC2:SCRATCH_EN: 0
; COMPUTE_PGM_RSRC2:USER_SGPR: 2
; COMPUTE_PGM_RSRC2:TRAP_HANDLER: 0
; COMPUTE_PGM_RSRC2:TGID_X_EN: 1
; COMPUTE_PGM_RSRC2:TGID_Y_EN: 1
; COMPUTE_PGM_RSRC2:TGID_Z_EN: 1
; COMPUTE_PGM_RSRC2:TIDIG_COMP_CNT: 1
	.section	.text._ZL39rocblas_trsm_block_forward_substitutionIddPKPKdPKPdLb0ELb0ELb1EEv18rocblas_operation_llT0_T1_lllT2_lllib,"axG",@progbits,_ZL39rocblas_trsm_block_forward_substitutionIddPKPKdPKPdLb0ELb0ELb1EEv18rocblas_operation_llT0_T1_lllT2_lllib,comdat
	.globl	_ZL39rocblas_trsm_block_forward_substitutionIddPKPKdPKPdLb0ELb0ELb1EEv18rocblas_operation_llT0_T1_lllT2_lllib ; -- Begin function _ZL39rocblas_trsm_block_forward_substitutionIddPKPKdPKPdLb0ELb0ELb1EEv18rocblas_operation_llT0_T1_lllT2_lllib
	.p2align	8
	.type	_ZL39rocblas_trsm_block_forward_substitutionIddPKPKdPKPdLb0ELb0ELb1EEv18rocblas_operation_llT0_T1_lllT2_lllib,@function
_ZL39rocblas_trsm_block_forward_substitutionIddPKPKdPKPdLb0ELb0ELb1EEv18rocblas_operation_llT0_T1_lllT2_lllib: ; @_ZL39rocblas_trsm_block_forward_substitutionIddPKPKdPKPdLb0ELb0ELb1EEv18rocblas_operation_llT0_T1_lllT2_lllib
; %bb.0:
	s_load_b64 s[2:3], s[0:1], 0x60
	s_lshr_b32 s20, ttmp7, 16
	s_wait_kmcnt 0x0
	s_cmp_ge_u32 s20, s2
	s_cbranch_scc1 .LBB114_19
; %bb.1:
	s_clause 0x1
	s_load_u16 s30, s[0:1], 0x76
	s_load_b64 s[26:27], s[0:1], 0x50
	v_bfe_u32 v1, v0, 10, 10
	s_bitcmp1_b32 s3, 0
	s_clause 0x1
	s_load_b128 s[16:19], s[0:1], 0x28
	s_load_b128 s[12:15], s[0:1], 0x40
	s_cselect_b32 s3, -1, 0
	s_and_b32 s4, ttmp7, 0xffff
	v_mov_b32_e32 v3, 0
	s_add_nc_u64 s[22:23], s[0:1], 0x68
	s_mov_b64 s[24:25], src_shared_base
	s_mov_b32 s21, 0
	s_wait_kmcnt 0x0
	v_mad_co_u64_u32 v[4:5], null, s4, s30, v[1:2]
	s_load_b256 s[4:11], s[0:1], 0x8
	v_and_b32_e32 v2, 0x3ff, v0
	s_lshl_b32 s1, s30, 3
	v_lshl_add_u32 v0, v1, 3, 0
	s_add_co_i32 s24, s1, 0
	s_lshl_b64 s[16:17], s[16:17], 3
	v_mad_co_u64_u32 v[6:7], null, s26, v4, 0
	v_lshl_add_u32 v12, v2, 3, s24
	v_lshlrev_b32_e32 v13, 3, v2
	s_lshl_b64 s[14:15], s[14:15], 3
	s_delay_alu instid0(VALU_DEP_3) | instskip(NEXT) | instid1(VALU_DEP_1)
	v_mov_b32_e32 v5, v7
	v_mad_co_u64_u32 v[7:8], null, s27, v4, v[5:6]
	v_mov_b32_e32 v5, v3
	s_wait_kmcnt 0x0
	v_cmp_gt_i64_e64 s0, s[4:5], v[2:3]
	v_cmp_gt_i64_e64 s1, s[4:5], 0
	;; [unrolled: 1-line block ×3, first 2 shown]
	v_cmp_gt_i64_e32 vcc_lo, s[6:7], v[4:5]
	v_lshlrev_b64_e32 v[4:5], 3, v[6:7]
	s_add_nc_u64 s[6:7], s[4:5], -1
	s_and_b32 s31, vcc_lo, s0
	s_branch .LBB114_4
.LBB114_2:                              ;   in Loop: Header=BB114_4 Depth=1
	flat_store_b64 v[6:7], v[8:9]
.LBB114_3:                              ;   in Loop: Header=BB114_4 Depth=1
	s_or_b32 exec_lo, exec_lo, s34
	s_add_co_i32 s20, s20, 0x10000
	s_delay_alu instid0(SALU_CYCLE_1)
	s_cmp_lt_u32 s20, s2
	s_cbranch_scc0 .LBB114_19
.LBB114_4:                              ; =>This Loop Header: Depth=1
                                        ;     Child Loop BB114_9 Depth 2
                                        ;     Child Loop BB114_15 Depth 2
	s_lshl_b64 s[26:27], s[20:21], 3
	s_wait_alu 0xfffe
	s_add_nc_u64 s[28:29], s[10:11], s[26:27]
	s_add_nc_u64 s[26:27], s[12:13], s[26:27]
	global_load_b64 v[8:9], v3, s[28:29]
	s_wait_loadcnt 0x1
	global_load_b64 v[6:7], v3, s[26:27]
	s_wait_loadcnt 0x1
	v_add_co_u32 v10, vcc_lo, v8, s16
	s_wait_alu 0xfffd
	v_add_co_ci_u32_e64 v11, null, s17, v9, vcc_lo
	s_and_not1_b32 vcc_lo, exec_lo, s3
	s_wait_alu 0xfffe
	s_cbranch_vccz .LBB114_6
; %bb.5:                                ;   in Loop: Header=BB114_4 Depth=1
	s_and_saveexec_b32 s34, s31
	s_cbranch_execz .LBB114_3
	s_branch .LBB114_12
.LBB114_6:                              ;   in Loop: Header=BB114_4 Depth=1
	s_and_not1_b32 vcc_lo, exec_lo, s1
	s_wait_alu 0xfffe
	s_cbranch_vccnz .LBB114_11
; %bb.7:                                ;   in Loop: Header=BB114_4 Depth=1
	v_add_co_u32 v8, vcc_lo, v10, v13
	s_wait_alu 0xfffd
	v_add_co_ci_u32_e64 v9, null, 0, v11, vcc_lo
	s_mov_b32 s26, 0
	s_branch .LBB114_9
.LBB114_8:                              ;   in Loop: Header=BB114_9 Depth=2
	s_wait_alu 0xfffe
	s_or_b32 exec_lo, exec_lo, s27
	s_add_co_i32 s26, s26, s30
	s_wait_alu 0xfffe
	s_ashr_i32 s27, s26, 31
	s_wait_alu 0xfffe
	v_cmp_le_i64_e64 s27, s[4:5], s[26:27]
	s_and_b32 vcc_lo, exec_lo, s27
	s_wait_alu 0xfffe
	s_cbranch_vccnz .LBB114_11
.LBB114_9:                              ;   Parent Loop BB114_4 Depth=1
                                        ; =>  This Inner Loop Header: Depth=2
	s_wait_alu 0xfffe
	v_add_nc_u32_e32 v10, s26, v1
	s_delay_alu instid0(VALU_DEP_1)
	v_cmp_gt_i32_e32 vcc_lo, v2, v10
	s_and_b32 s28, s0, vcc_lo
	s_wait_alu 0xfffe
	s_and_saveexec_b32 s27, s28
	s_cbranch_execz .LBB114_8
; %bb.10:                               ;   in Loop: Header=BB114_9 Depth=2
	v_ashrrev_i32_e32 v11, 31, v10
	v_mul_lo_u32 v16, s19, v10
	v_mad_co_u64_u32 v[14:15], null, s18, v10, 0
	s_load_b32 s28, s[22:23], 0xc
	v_mul_lo_u32 v11, s18, v11
	s_delay_alu instid0(VALU_DEP_1) | instskip(NEXT) | instid1(VALU_DEP_1)
	v_add3_u32 v15, v15, v11, v16
	v_lshlrev_b64_e32 v[14:15], 3, v[14:15]
	s_wait_kmcnt 0x0
	s_and_b32 s28, s28, 0xffff
	s_delay_alu instid0(VALU_DEP_1) | instskip(SKIP_1) | instid1(VALU_DEP_2)
	v_add_co_u32 v14, vcc_lo, v8, v14
	s_wait_alu 0xfffd
	v_add_co_ci_u32_e64 v15, null, v9, v15, vcc_lo
	s_wait_alu 0xfffe
	v_mul_lo_u32 v10, v10, s28
	flat_load_b64 v[14:15], v[14:15]
	v_lshl_add_u32 v10, v10, 3, v12
	s_wait_loadcnt_dscnt 0x0
	ds_store_b64 v10, v[14:15]
	s_branch .LBB114_8
.LBB114_11:                             ;   in Loop: Header=BB114_4 Depth=1
	s_load_b32 s18, s[22:23], 0xc
	v_dual_mov_b32 v10, s24 :: v_dual_mov_b32 v11, s25
	s_mov_b32 s19, s21
	s_wait_kmcnt 0x0
	s_and_b32 s18, s18, 0xffff
	s_and_saveexec_b32 s34, s31
	s_cbranch_execz .LBB114_3
.LBB114_12:                             ;   in Loop: Header=BB114_4 Depth=1
	s_wait_loadcnt 0x0
	v_add_co_u32 v6, vcc_lo, v6, s14
	s_wait_alu 0xfffd
	v_add_co_ci_u32_e64 v7, null, s15, v7, vcc_lo
	s_delay_alu instid0(VALU_DEP_2) | instskip(SKIP_1) | instid1(VALU_DEP_2)
	v_add_co_u32 v6, vcc_lo, v6, v4
	s_wait_alu 0xfffd
	v_add_co_ci_u32_e64 v7, null, v7, v5, vcc_lo
	s_delay_alu instid0(VALU_DEP_2) | instskip(SKIP_1) | instid1(VALU_DEP_2)
	v_add_co_u32 v6, vcc_lo, v6, v13
	s_wait_alu 0xfffd
	v_add_co_ci_u32_e64 v7, null, 0, v7, vcc_lo
	s_and_not1_b32 vcc_lo, exec_lo, s33
	flat_load_b64 v[8:9], v[6:7]
	s_wait_loadcnt_dscnt 0x0
	v_mul_f64_e32 v[8:9], s[8:9], v[8:9]
	s_wait_alu 0xfffe
	s_cbranch_vccnz .LBB114_2
; %bb.13:                               ;   in Loop: Header=BB114_4 Depth=1
	v_add_co_u32 v10, vcc_lo, v10, v13
	s_wait_alu 0xfffd
	v_add_co_ci_u32_e64 v11, null, 0, v11, vcc_lo
	s_lshl_b64 s[26:27], s[18:19], 3
	s_mov_b64 s[28:29], 0
	s_branch .LBB114_15
.LBB114_14:                             ;   in Loop: Header=BB114_15 Depth=2
	s_or_b32 exec_lo, exec_lo, s35
	v_add_co_u32 v10, vcc_lo, v10, s26
	s_wait_alu 0xfffd
	v_add_co_ci_u32_e64 v11, null, s27, v11, vcc_lo
	s_add_nc_u64 s[28:29], s[28:29], 1
	s_wait_alu 0xfffe
	s_cmp_eq_u64 s[6:7], s[28:29]
	s_cbranch_scc1 .LBB114_2
.LBB114_15:                             ;   Parent Loop BB114_4 Depth=1
                                        ; =>  This Inner Loop Header: Depth=2
	s_mov_b32 s35, exec_lo
	s_barrier_signal -1
	s_barrier_wait -1
	global_inv scope:SCOPE_SE
	s_wait_alu 0xfffe
	v_cmpx_eq_u64_e64 s[28:29], v[2:3]
; %bb.16:                               ;   in Loop: Header=BB114_15 Depth=2
	ds_store_b64 v0, v[8:9]
; %bb.17:                               ;   in Loop: Header=BB114_15 Depth=2
	s_or_b32 exec_lo, exec_lo, s35
	s_delay_alu instid0(SALU_CYCLE_1)
	s_mov_b32 s35, exec_lo
	s_wait_loadcnt_dscnt 0x0
	s_barrier_signal -1
	s_barrier_wait -1
	global_inv scope:SCOPE_SE
	v_cmpx_lt_u64_e64 s[28:29], v[2:3]
	s_cbranch_execz .LBB114_14
; %bb.18:                               ;   in Loop: Header=BB114_15 Depth=2
	flat_load_b64 v[14:15], v[10:11]
	ds_load_b64 v[16:17], v0
	s_wait_loadcnt_dscnt 0x0
	v_fma_f64 v[8:9], -v[14:15], v[16:17], v[8:9]
	s_branch .LBB114_14
.LBB114_19:
	s_endpgm
	.section	.rodata,"a",@progbits
	.p2align	6, 0x0
	.amdhsa_kernel _ZL39rocblas_trsm_block_forward_substitutionIddPKPKdPKPdLb0ELb0ELb1EEv18rocblas_operation_llT0_T1_lllT2_lllib
		.amdhsa_group_segment_fixed_size 0
		.amdhsa_private_segment_fixed_size 0
		.amdhsa_kernarg_size 360
		.amdhsa_user_sgpr_count 2
		.amdhsa_user_sgpr_dispatch_ptr 0
		.amdhsa_user_sgpr_queue_ptr 0
		.amdhsa_user_sgpr_kernarg_segment_ptr 1
		.amdhsa_user_sgpr_dispatch_id 0
		.amdhsa_user_sgpr_private_segment_size 0
		.amdhsa_wavefront_size32 1
		.amdhsa_uses_dynamic_stack 0
		.amdhsa_enable_private_segment 0
		.amdhsa_system_sgpr_workgroup_id_x 1
		.amdhsa_system_sgpr_workgroup_id_y 1
		.amdhsa_system_sgpr_workgroup_id_z 1
		.amdhsa_system_sgpr_workgroup_info 0
		.amdhsa_system_vgpr_workitem_id 1
		.amdhsa_next_free_vgpr 18
		.amdhsa_next_free_sgpr 36
		.amdhsa_reserve_vcc 1
		.amdhsa_float_round_mode_32 0
		.amdhsa_float_round_mode_16_64 0
		.amdhsa_float_denorm_mode_32 3
		.amdhsa_float_denorm_mode_16_64 3
		.amdhsa_fp16_overflow 0
		.amdhsa_workgroup_processor_mode 1
		.amdhsa_memory_ordered 1
		.amdhsa_forward_progress 1
		.amdhsa_inst_pref_size 8
		.amdhsa_round_robin_scheduling 0
		.amdhsa_exception_fp_ieee_invalid_op 0
		.amdhsa_exception_fp_denorm_src 0
		.amdhsa_exception_fp_ieee_div_zero 0
		.amdhsa_exception_fp_ieee_overflow 0
		.amdhsa_exception_fp_ieee_underflow 0
		.amdhsa_exception_fp_ieee_inexact 0
		.amdhsa_exception_int_div_zero 0
	.end_amdhsa_kernel
	.section	.text._ZL39rocblas_trsm_block_forward_substitutionIddPKPKdPKPdLb0ELb0ELb1EEv18rocblas_operation_llT0_T1_lllT2_lllib,"axG",@progbits,_ZL39rocblas_trsm_block_forward_substitutionIddPKPKdPKPdLb0ELb0ELb1EEv18rocblas_operation_llT0_T1_lllT2_lllib,comdat
.Lfunc_end114:
	.size	_ZL39rocblas_trsm_block_forward_substitutionIddPKPKdPKPdLb0ELb0ELb1EEv18rocblas_operation_llT0_T1_lllT2_lllib, .Lfunc_end114-_ZL39rocblas_trsm_block_forward_substitutionIddPKPKdPKPdLb0ELb0ELb1EEv18rocblas_operation_llT0_T1_lllT2_lllib
                                        ; -- End function
	.set _ZL39rocblas_trsm_block_forward_substitutionIddPKPKdPKPdLb0ELb0ELb1EEv18rocblas_operation_llT0_T1_lllT2_lllib.num_vgpr, 18
	.set _ZL39rocblas_trsm_block_forward_substitutionIddPKPKdPKPdLb0ELb0ELb1EEv18rocblas_operation_llT0_T1_lllT2_lllib.num_agpr, 0
	.set _ZL39rocblas_trsm_block_forward_substitutionIddPKPKdPKPdLb0ELb0ELb1EEv18rocblas_operation_llT0_T1_lllT2_lllib.numbered_sgpr, 36
	.set _ZL39rocblas_trsm_block_forward_substitutionIddPKPKdPKPdLb0ELb0ELb1EEv18rocblas_operation_llT0_T1_lllT2_lllib.num_named_barrier, 0
	.set _ZL39rocblas_trsm_block_forward_substitutionIddPKPKdPKPdLb0ELb0ELb1EEv18rocblas_operation_llT0_T1_lllT2_lllib.private_seg_size, 0
	.set _ZL39rocblas_trsm_block_forward_substitutionIddPKPKdPKPdLb0ELb0ELb1EEv18rocblas_operation_llT0_T1_lllT2_lllib.uses_vcc, 1
	.set _ZL39rocblas_trsm_block_forward_substitutionIddPKPKdPKPdLb0ELb0ELb1EEv18rocblas_operation_llT0_T1_lllT2_lllib.uses_flat_scratch, 0
	.set _ZL39rocblas_trsm_block_forward_substitutionIddPKPKdPKPdLb0ELb0ELb1EEv18rocblas_operation_llT0_T1_lllT2_lllib.has_dyn_sized_stack, 0
	.set _ZL39rocblas_trsm_block_forward_substitutionIddPKPKdPKPdLb0ELb0ELb1EEv18rocblas_operation_llT0_T1_lllT2_lllib.has_recursion, 0
	.set _ZL39rocblas_trsm_block_forward_substitutionIddPKPKdPKPdLb0ELb0ELb1EEv18rocblas_operation_llT0_T1_lllT2_lllib.has_indirect_call, 0
	.section	.AMDGPU.csdata,"",@progbits
; Kernel info:
; codeLenInByte = 976
; TotalNumSgprs: 38
; NumVgprs: 18
; ScratchSize: 0
; MemoryBound: 0
; FloatMode: 240
; IeeeMode: 1
; LDSByteSize: 0 bytes/workgroup (compile time only)
; SGPRBlocks: 0
; VGPRBlocks: 2
; NumSGPRsForWavesPerEU: 38
; NumVGPRsForWavesPerEU: 18
; Occupancy: 16
; WaveLimiterHint : 1
; COMPUTE_PGM_RSRC2:SCRATCH_EN: 0
; COMPUTE_PGM_RSRC2:USER_SGPR: 2
; COMPUTE_PGM_RSRC2:TRAP_HANDLER: 0
; COMPUTE_PGM_RSRC2:TGID_X_EN: 1
; COMPUTE_PGM_RSRC2:TGID_Y_EN: 1
; COMPUTE_PGM_RSRC2:TGID_Z_EN: 1
; COMPUTE_PGM_RSRC2:TIDIG_COMP_CNT: 1
	.section	.text._ZL40rocblas_trsm_block_backward_substitutionIddPKPKdPKPdLb0ELb0ELb1EEv18rocblas_operation_llT0_T1_lllT2_lllib,"axG",@progbits,_ZL40rocblas_trsm_block_backward_substitutionIddPKPKdPKPdLb0ELb0ELb1EEv18rocblas_operation_llT0_T1_lllT2_lllib,comdat
	.globl	_ZL40rocblas_trsm_block_backward_substitutionIddPKPKdPKPdLb0ELb0ELb1EEv18rocblas_operation_llT0_T1_lllT2_lllib ; -- Begin function _ZL40rocblas_trsm_block_backward_substitutionIddPKPKdPKPdLb0ELb0ELb1EEv18rocblas_operation_llT0_T1_lllT2_lllib
	.p2align	8
	.type	_ZL40rocblas_trsm_block_backward_substitutionIddPKPKdPKPdLb0ELb0ELb1EEv18rocblas_operation_llT0_T1_lllT2_lllib,@function
_ZL40rocblas_trsm_block_backward_substitutionIddPKPKdPKPdLb0ELb0ELb1EEv18rocblas_operation_llT0_T1_lllT2_lllib: ; @_ZL40rocblas_trsm_block_backward_substitutionIddPKPKdPKPdLb0ELb0ELb1EEv18rocblas_operation_llT0_T1_lllT2_lllib
; %bb.0:
	s_load_b64 s[2:3], s[0:1], 0x60
	s_lshr_b32 s20, ttmp7, 16
	s_wait_kmcnt 0x0
	s_cmp_ge_u32 s20, s2
	s_cbranch_scc1 .LBB115_19
; %bb.1:
	s_clause 0x4
	s_load_b128 s[12:15], s[0:1], 0x28
	s_load_b64 s[26:27], s[0:1], 0x50
	s_load_u16 s33, s[0:1], 0x76
	s_load_b256 s[4:11], s[0:1], 0x8
	s_load_b128 s[16:19], s[0:1], 0x40
	v_dual_mov_b32 v3, 0 :: v_dual_and_b32 v2, 0x3ff, v0
	v_bfe_u32 v1, v0, 10, 10
	s_bitcmp1_b32 s3, 0
	s_add_nc_u64 s[22:23], s[0:1], 0x68
	s_cselect_b32 s3, -1, 0
	s_and_b32 s0, ttmp7, 0xffff
	v_lshlrev_b32_e32 v0, 3, v2
	s_mov_b64 s[24:25], src_shared_base
	v_lshl_add_u32 v16, v1, 3, 0
	s_mov_b32 s21, 0
	s_wait_kmcnt 0x0
	v_mad_co_u64_u32 v[6:7], null, s14, v2, 0
	v_mad_co_u64_u32 v[8:9], null, s26, v2, 0
	v_mad_co_u64_u32 v[4:5], null, s0, s33, v[1:2]
	v_mov_b32_e32 v5, v3
	s_lshl_b32 s1, s33, 3
	v_cmp_gt_i64_e64 s0, s[4:5], v[2:3]
	s_wait_alu 0xfffe
	s_add_co_i32 s24, s1, 0
	v_mad_co_u64_u32 v[10:11], null, s15, v2, v[7:8]
	v_cmp_gt_i64_e32 vcc_lo, s[6:7], v[4:5]
	v_cmp_gt_i64_e64 s34, s[4:5], 0
	v_lshlrev_b64_e32 v[4:5], 3, v[4:5]
	v_cmp_gt_i64_e64 s36, s[4:5], 1
	v_add_nc_u32_e32 v17, s24, v0
	s_lshl_b64 s[12:13], s[12:13], 3
	v_mad_co_u64_u32 v[11:12], null, s27, v2, v[9:10]
	v_mov_b32_e32 v7, v10
	s_add_nc_u64 s[26:27], s[4:5], -1
	s_and_b32 s35, vcc_lo, s0
	s_wait_alu 0xfffe
	s_lshl_b64 s[6:7], s[26:27], 3
	s_lshl_b64 s[18:19], s[18:19], 3
	v_lshlrev_b64_e32 v[6:7], 3, v[6:7]
	v_mov_b32_e32 v9, v11
	s_delay_alu instid0(VALU_DEP_1)
	v_lshlrev_b64_e32 v[8:9], 3, v[8:9]
	s_branch .LBB115_4
.LBB115_2:                              ;   in Loop: Header=BB115_4 Depth=1
	flat_store_b64 v[10:11], v[12:13]
.LBB115_3:                              ;   in Loop: Header=BB115_4 Depth=1
	s_wait_alu 0xfffe
	s_or_b32 exec_lo, exec_lo, s1
	s_add_co_i32 s20, s20, 0x10000
	s_delay_alu instid0(SALU_CYCLE_1)
	s_cmp_lt_u32 s20, s2
	s_cbranch_scc0 .LBB115_19
.LBB115_4:                              ; =>This Loop Header: Depth=1
                                        ;     Child Loop BB115_9 Depth 2
                                        ;     Child Loop BB115_15 Depth 2
	s_lshl_b64 s[28:29], s[20:21], 3
	s_wait_alu 0xfffe
	s_add_nc_u64 s[30:31], s[10:11], s[28:29]
	s_add_nc_u64 s[28:29], s[16:17], s[28:29]
	global_load_b64 v[12:13], v3, s[30:31]
	s_wait_loadcnt 0x1
	global_load_b64 v[10:11], v3, s[28:29]
	s_mov_b64 s[28:29], 1
	s_mov_b64 s[30:31], s[14:15]
	s_wait_loadcnt 0x1
	v_add_co_u32 v14, vcc_lo, v12, s12
	s_wait_alu 0xfffd
	v_add_co_ci_u32_e64 v15, null, s13, v13, vcc_lo
	s_and_not1_b32 vcc_lo, exec_lo, s3
	s_wait_alu 0xfffe
	s_cbranch_vccz .LBB115_6
; %bb.5:                                ;   in Loop: Header=BB115_4 Depth=1
	s_and_saveexec_b32 s1, s35
	s_cbranch_execz .LBB115_3
	s_branch .LBB115_12
.LBB115_6:                              ;   in Loop: Header=BB115_4 Depth=1
	s_and_not1_b32 vcc_lo, exec_lo, s34
	s_wait_alu 0xfffe
	s_cbranch_vccnz .LBB115_11
; %bb.7:                                ;   in Loop: Header=BB115_4 Depth=1
	v_add_co_u32 v14, vcc_lo, v14, v6
	s_wait_alu 0xfffd
	v_add_co_ci_u32_e64 v15, null, v15, v7, vcc_lo
	s_mov_b32 s28, 0
	s_branch .LBB115_9
.LBB115_8:                              ;   in Loop: Header=BB115_9 Depth=2
	s_wait_alu 0xfffe
	s_or_b32 exec_lo, exec_lo, s1
	s_add_co_i32 s28, s28, s33
	s_wait_alu 0xfffe
	s_ashr_i32 s29, s28, 31
	s_wait_alu 0xfffe
	v_cmp_le_i64_e64 s1, s[4:5], s[28:29]
	s_and_b32 vcc_lo, exec_lo, s1
	s_wait_alu 0xfffe
	s_cbranch_vccnz .LBB115_11
.LBB115_9:                              ;   Parent Loop BB115_4 Depth=1
                                        ; =>  This Inner Loop Header: Depth=2
	s_wait_alu 0xfffe
	v_add_nc_u32_e32 v12, s28, v1
	s_delay_alu instid0(VALU_DEP_1) | instskip(SKIP_1) | instid1(VALU_DEP_2)
	v_ashrrev_i32_e32 v13, 31, v12
	v_cmp_lt_i32_e64 s1, v2, v12
	v_cmp_gt_i64_e32 vcc_lo, s[4:5], v[12:13]
	s_and_b32 s1, s1, vcc_lo
	s_wait_alu 0xfffe
	s_and_b32 s29, s0, s1
	s_wait_alu 0xfffe
	s_and_saveexec_b32 s1, s29
	s_cbranch_execz .LBB115_8
; %bb.10:                               ;   in Loop: Header=BB115_9 Depth=2
	v_lshlrev_b64_e32 v[18:19], 3, v[12:13]
	s_load_b32 s29, s[22:23], 0xc
	s_delay_alu instid0(VALU_DEP_1) | instskip(SKIP_1) | instid1(VALU_DEP_2)
	v_add_co_u32 v18, vcc_lo, v14, v18
	s_wait_alu 0xfffd
	v_add_co_ci_u32_e64 v19, null, v15, v19, vcc_lo
	flat_load_b64 v[18:19], v[18:19]
	s_wait_kmcnt 0x0
	s_and_b32 s29, s29, 0xffff
	s_wait_alu 0xfffe
	v_mul_lo_u32 v12, v12, s29
	s_delay_alu instid0(VALU_DEP_1)
	v_lshl_add_u32 v12, v12, 3, v17
	s_wait_loadcnt_dscnt 0x0
	ds_store_b64 v12, v[18:19]
	s_branch .LBB115_8
.LBB115_11:                             ;   in Loop: Header=BB115_4 Depth=1
	s_load_b32 s1, s[22:23], 0xc
	v_dual_mov_b32 v14, s24 :: v_dual_mov_b32 v15, s25
	s_mov_b32 s29, s21
	s_mov_b64 s[30:31], 1
	s_wait_kmcnt 0x0
	s_and_b32 s28, s1, 0xffff
	s_and_saveexec_b32 s1, s35
	s_cbranch_execz .LBB115_3
.LBB115_12:                             ;   in Loop: Header=BB115_4 Depth=1
	s_wait_loadcnt 0x0
	v_add_co_u32 v10, vcc_lo, v10, s18
	s_wait_alu 0xfffd
	v_add_co_ci_u32_e64 v11, null, s19, v11, vcc_lo
	s_delay_alu instid0(VALU_DEP_2) | instskip(SKIP_1) | instid1(VALU_DEP_2)
	v_add_co_u32 v10, vcc_lo, v10, v8
	s_wait_alu 0xfffd
	v_add_co_ci_u32_e64 v11, null, v11, v9, vcc_lo
	s_delay_alu instid0(VALU_DEP_2) | instskip(SKIP_1) | instid1(VALU_DEP_2)
	v_add_co_u32 v10, vcc_lo, v10, v4
	s_wait_alu 0xfffd
	v_add_co_ci_u32_e64 v11, null, v11, v5, vcc_lo
	s_and_not1_b32 vcc_lo, exec_lo, s36
	flat_load_b64 v[12:13], v[10:11]
	s_wait_loadcnt_dscnt 0x0
	v_mul_f64_e32 v[12:13], s[8:9], v[12:13]
	s_wait_alu 0xfffe
	s_cbranch_vccnz .LBB115_2
; %bb.13:                               ;   in Loop: Header=BB115_4 Depth=1
	s_mul_u64 s[38:39], s[6:7], s[28:29]
	s_lshl_b32 s28, s28, 3
	s_wait_alu 0xfffe
	v_add_co_u32 v14, vcc_lo, v14, s38
	s_wait_alu 0xfffd
	v_add_co_ci_u32_e64 v15, null, s39, v15, vcc_lo
	s_mov_b32 s29, s21
	s_wait_alu 0xfffe
	s_sub_nc_u64 s[28:29], 0, s[28:29]
	v_mad_co_u64_u32 v[14:15], null, v0, s30, v[14:15]
	s_delay_alu instid0(VALU_DEP_1)
	v_mad_co_u64_u32 v[18:19], null, v0, s31, v[15:16]
	s_mov_b64 s[30:31], s[26:27]
	v_mov_b32_e32 v15, v18
	s_branch .LBB115_15
.LBB115_14:                             ;   in Loop: Header=BB115_15 Depth=2
	s_or_b32 exec_lo, exec_lo, s37
	s_add_nc_u64 s[38:39], s[30:31], 1
	v_add_co_u32 v14, vcc_lo, v14, s28
	s_wait_alu 0xfffe
	v_cmp_lt_u64_e64 s37, s[38:39], 3
	s_wait_alu 0xfffd
	v_add_co_ci_u32_e64 v15, null, s29, v15, vcc_lo
	s_add_nc_u64 s[30:31], s[30:31], -1
	s_and_b32 vcc_lo, exec_lo, s37
	s_wait_alu 0xfffe
	s_cbranch_vccnz .LBB115_2
.LBB115_15:                             ;   Parent Loop BB115_4 Depth=1
                                        ; =>  This Inner Loop Header: Depth=2
	s_mov_b32 s37, exec_lo
	s_barrier_signal -1
	s_barrier_wait -1
	global_inv scope:SCOPE_SE
	s_wait_alu 0xfffe
	v_cmpx_eq_u64_e64 s[30:31], v[2:3]
; %bb.16:                               ;   in Loop: Header=BB115_15 Depth=2
	ds_store_b64 v16, v[12:13]
; %bb.17:                               ;   in Loop: Header=BB115_15 Depth=2
	s_or_b32 exec_lo, exec_lo, s37
	s_delay_alu instid0(SALU_CYCLE_1)
	s_mov_b32 s37, exec_lo
	s_wait_loadcnt_dscnt 0x0
	s_barrier_signal -1
	s_barrier_wait -1
	global_inv scope:SCOPE_SE
	v_cmpx_gt_i64_e64 s[30:31], v[2:3]
	s_cbranch_execz .LBB115_14
; %bb.18:                               ;   in Loop: Header=BB115_15 Depth=2
	flat_load_b64 v[18:19], v[14:15]
	ds_load_b64 v[20:21], v16
	s_wait_loadcnt_dscnt 0x0
	v_fma_f64 v[12:13], -v[18:19], v[20:21], v[12:13]
	s_branch .LBB115_14
.LBB115_19:
	s_endpgm
	.section	.rodata,"a",@progbits
	.p2align	6, 0x0
	.amdhsa_kernel _ZL40rocblas_trsm_block_backward_substitutionIddPKPKdPKPdLb0ELb0ELb1EEv18rocblas_operation_llT0_T1_lllT2_lllib
		.amdhsa_group_segment_fixed_size 0
		.amdhsa_private_segment_fixed_size 0
		.amdhsa_kernarg_size 360
		.amdhsa_user_sgpr_count 2
		.amdhsa_user_sgpr_dispatch_ptr 0
		.amdhsa_user_sgpr_queue_ptr 0
		.amdhsa_user_sgpr_kernarg_segment_ptr 1
		.amdhsa_user_sgpr_dispatch_id 0
		.amdhsa_user_sgpr_private_segment_size 0
		.amdhsa_wavefront_size32 1
		.amdhsa_uses_dynamic_stack 0
		.amdhsa_enable_private_segment 0
		.amdhsa_system_sgpr_workgroup_id_x 1
		.amdhsa_system_sgpr_workgroup_id_y 1
		.amdhsa_system_sgpr_workgroup_id_z 1
		.amdhsa_system_sgpr_workgroup_info 0
		.amdhsa_system_vgpr_workitem_id 1
		.amdhsa_next_free_vgpr 22
		.amdhsa_next_free_sgpr 40
		.amdhsa_reserve_vcc 1
		.amdhsa_float_round_mode_32 0
		.amdhsa_float_round_mode_16_64 0
		.amdhsa_float_denorm_mode_32 3
		.amdhsa_float_denorm_mode_16_64 3
		.amdhsa_fp16_overflow 0
		.amdhsa_workgroup_processor_mode 1
		.amdhsa_memory_ordered 1
		.amdhsa_forward_progress 1
		.amdhsa_inst_pref_size 9
		.amdhsa_round_robin_scheduling 0
		.amdhsa_exception_fp_ieee_invalid_op 0
		.amdhsa_exception_fp_denorm_src 0
		.amdhsa_exception_fp_ieee_div_zero 0
		.amdhsa_exception_fp_ieee_overflow 0
		.amdhsa_exception_fp_ieee_underflow 0
		.amdhsa_exception_fp_ieee_inexact 0
		.amdhsa_exception_int_div_zero 0
	.end_amdhsa_kernel
	.section	.text._ZL40rocblas_trsm_block_backward_substitutionIddPKPKdPKPdLb0ELb0ELb1EEv18rocblas_operation_llT0_T1_lllT2_lllib,"axG",@progbits,_ZL40rocblas_trsm_block_backward_substitutionIddPKPKdPKPdLb0ELb0ELb1EEv18rocblas_operation_llT0_T1_lllT2_lllib,comdat
.Lfunc_end115:
	.size	_ZL40rocblas_trsm_block_backward_substitutionIddPKPKdPKPdLb0ELb0ELb1EEv18rocblas_operation_llT0_T1_lllT2_lllib, .Lfunc_end115-_ZL40rocblas_trsm_block_backward_substitutionIddPKPKdPKPdLb0ELb0ELb1EEv18rocblas_operation_llT0_T1_lllT2_lllib
                                        ; -- End function
	.set _ZL40rocblas_trsm_block_backward_substitutionIddPKPKdPKPdLb0ELb0ELb1EEv18rocblas_operation_llT0_T1_lllT2_lllib.num_vgpr, 22
	.set _ZL40rocblas_trsm_block_backward_substitutionIddPKPKdPKPdLb0ELb0ELb1EEv18rocblas_operation_llT0_T1_lllT2_lllib.num_agpr, 0
	.set _ZL40rocblas_trsm_block_backward_substitutionIddPKPKdPKPdLb0ELb0ELb1EEv18rocblas_operation_llT0_T1_lllT2_lllib.numbered_sgpr, 40
	.set _ZL40rocblas_trsm_block_backward_substitutionIddPKPKdPKPdLb0ELb0ELb1EEv18rocblas_operation_llT0_T1_lllT2_lllib.num_named_barrier, 0
	.set _ZL40rocblas_trsm_block_backward_substitutionIddPKPKdPKPdLb0ELb0ELb1EEv18rocblas_operation_llT0_T1_lllT2_lllib.private_seg_size, 0
	.set _ZL40rocblas_trsm_block_backward_substitutionIddPKPKdPKPdLb0ELb0ELb1EEv18rocblas_operation_llT0_T1_lllT2_lllib.uses_vcc, 1
	.set _ZL40rocblas_trsm_block_backward_substitutionIddPKPKdPKPdLb0ELb0ELb1EEv18rocblas_operation_llT0_T1_lllT2_lllib.uses_flat_scratch, 0
	.set _ZL40rocblas_trsm_block_backward_substitutionIddPKPKdPKPdLb0ELb0ELb1EEv18rocblas_operation_llT0_T1_lllT2_lllib.has_dyn_sized_stack, 0
	.set _ZL40rocblas_trsm_block_backward_substitutionIddPKPKdPKPdLb0ELb0ELb1EEv18rocblas_operation_llT0_T1_lllT2_lllib.has_recursion, 0
	.set _ZL40rocblas_trsm_block_backward_substitutionIddPKPKdPKPdLb0ELb0ELb1EEv18rocblas_operation_llT0_T1_lllT2_lllib.has_indirect_call, 0
	.section	.AMDGPU.csdata,"",@progbits
; Kernel info:
; codeLenInByte = 1064
; TotalNumSgprs: 42
; NumVgprs: 22
; ScratchSize: 0
; MemoryBound: 0
; FloatMode: 240
; IeeeMode: 1
; LDSByteSize: 0 bytes/workgroup (compile time only)
; SGPRBlocks: 0
; VGPRBlocks: 2
; NumSGPRsForWavesPerEU: 42
; NumVGPRsForWavesPerEU: 22
; Occupancy: 16
; WaveLimiterHint : 1
; COMPUTE_PGM_RSRC2:SCRATCH_EN: 0
; COMPUTE_PGM_RSRC2:USER_SGPR: 2
; COMPUTE_PGM_RSRC2:TRAP_HANDLER: 0
; COMPUTE_PGM_RSRC2:TGID_X_EN: 1
; COMPUTE_PGM_RSRC2:TGID_Y_EN: 1
; COMPUTE_PGM_RSRC2:TGID_Z_EN: 1
; COMPUTE_PGM_RSRC2:TIDIG_COMP_CNT: 1
	.section	.text._ZL39rocblas_trsm_block_forward_substitutionIddPKPKdPKPdLb0ELb1ELb0EEv18rocblas_operation_llT0_T1_lllT2_lllib,"axG",@progbits,_ZL39rocblas_trsm_block_forward_substitutionIddPKPKdPKPdLb0ELb1ELb0EEv18rocblas_operation_llT0_T1_lllT2_lllib,comdat
	.globl	_ZL39rocblas_trsm_block_forward_substitutionIddPKPKdPKPdLb0ELb1ELb0EEv18rocblas_operation_llT0_T1_lllT2_lllib ; -- Begin function _ZL39rocblas_trsm_block_forward_substitutionIddPKPKdPKPdLb0ELb1ELb0EEv18rocblas_operation_llT0_T1_lllT2_lllib
	.p2align	8
	.type	_ZL39rocblas_trsm_block_forward_substitutionIddPKPKdPKPdLb0ELb1ELb0EEv18rocblas_operation_llT0_T1_lllT2_lllib,@function
_ZL39rocblas_trsm_block_forward_substitutionIddPKPKdPKPdLb0ELb1ELb0EEv18rocblas_operation_llT0_T1_lllT2_lllib: ; @_ZL39rocblas_trsm_block_forward_substitutionIddPKPKdPKPdLb0ELb1ELb0EEv18rocblas_operation_llT0_T1_lllT2_lllib
; %bb.0:
	s_load_b64 s[20:21], s[0:1], 0x60
	s_lshr_b32 s22, ttmp7, 16
	s_wait_kmcnt 0x0
	s_cmp_ge_u32 s22, s20
	s_cbranch_scc1 .LBB116_27
; %bb.1:
	s_clause 0x4
	s_load_b64 s[2:3], s[0:1], 0x50
	s_load_u16 s30, s[0:1], 0x76
	s_load_b256 s[4:11], s[0:1], 0x8
	s_load_b128 s[16:19], s[0:1], 0x28
	s_load_b128 s[12:15], s[0:1], 0x40
	v_dual_mov_b32 v2, 0 :: v_dual_and_b32 v1, 0x3ff, v0
	v_bfe_u32 v0, v0, 10, 10
	s_bitcmp1_b32 s21, 0
	s_add_nc_u64 s[24:25], s[0:1], 0x68
	s_cselect_b32 s0, -1, 0
	s_and_b32 s1, ttmp7, 0xffff
	s_mov_b64 s[26:27], src_shared_base
	v_lshl_add_u32 v17, v0, 3, 0
	s_mov_b32 s23, 0
	v_lshlrev_b32_e32 v19, 3, v1
	s_wait_kmcnt 0x0
	v_mad_co_u64_u32 v[5:6], null, s2, v1, 0
	v_mad_co_u64_u32 v[7:8], null, s1, s30, v[0:1]
	v_mov_b32_e32 v8, v2
	s_lshl_b32 s1, s30, 3
	v_cmp_le_i64_e32 vcc_lo, s[4:5], v[1:2]
	v_cmp_gt_i64_e64 s2, s[4:5], v[1:2]
	v_mov_b32_e32 v3, v6
	s_add_nc_u64 s[28:29], s[4:5], -1
	s_wait_alu 0xfffe
	s_add_co_i32 s26, s1, 0
	v_cmp_gt_i64_e64 s21, s[4:5], 0
	v_cmp_eq_u64_e64 s1, s[28:29], v[1:2]
	v_mad_co_u64_u32 v[3:4], null, s3, v1, v[3:4]
	v_cmp_gt_i64_e64 s3, s[6:7], v[7:8]
	v_cmp_gt_i64_e64 s33, s[4:5], 1
	v_lshl_add_u32 v18, v1, 3, s26
	s_lshl_b64 s[6:7], s[14:15], 3
	s_xor_b32 s34, vcc_lo, -1
	v_mov_b32_e32 v6, v3
	v_lshlrev_b64_e32 v[3:4], 3, v[7:8]
	s_and_b32 s31, s3, s2
	s_lshl_b64 s[2:3], s[16:17], 3
	s_delay_alu instid0(VALU_DEP_2)
	v_lshlrev_b64_e32 v[5:6], 3, v[5:6]
	s_branch .LBB116_4
.LBB116_2:                              ;   in Loop: Header=BB116_4 Depth=1
	s_wait_alu 0xfffe
	s_or_b32 exec_lo, exec_lo, s14
	flat_store_b64 v[9:10], v[11:12]
.LBB116_3:                              ;   in Loop: Header=BB116_4 Depth=1
	s_or_b32 exec_lo, exec_lo, s35
	s_add_co_i32 s22, s22, 0x10000
	s_delay_alu instid0(SALU_CYCLE_1)
	s_cmp_lt_u32 s22, s20
	s_cbranch_scc0 .LBB116_27
.LBB116_4:                              ; =>This Loop Header: Depth=1
                                        ;     Child Loop BB116_9 Depth 2
                                        ;     Child Loop BB116_21 Depth 2
	s_lshl_b64 s[14:15], s[22:23], 3
	s_wait_alu 0xfffe
	s_add_nc_u64 s[16:17], s[10:11], s[14:15]
	s_add_nc_u64 s[14:15], s[12:13], s[14:15]
	global_load_b64 v[7:8], v2, s[16:17]
	s_wait_loadcnt 0x1
	global_load_b64 v[9:10], v2, s[14:15]
	s_wait_loadcnt 0x1
	v_add_co_u32 v7, vcc_lo, v7, s2
	s_wait_alu 0xfffd
	v_add_co_ci_u32_e64 v8, null, s3, v8, vcc_lo
	s_and_not1_b32 vcc_lo, exec_lo, s0
	s_wait_alu 0xfffe
	s_cbranch_vccz .LBB116_6
; %bb.5:                                ;   in Loop: Header=BB116_4 Depth=1
	s_and_saveexec_b32 s35, s31
	s_cbranch_execz .LBB116_3
	s_branch .LBB116_18
.LBB116_6:                              ;   in Loop: Header=BB116_4 Depth=1
	s_and_not1_b32 vcc_lo, exec_lo, s21
	s_wait_alu 0xfffe
	s_cbranch_vccnz .LBB116_17
; %bb.7:                                ;   in Loop: Header=BB116_4 Depth=1
	s_wait_dscnt 0x0
	v_mad_co_u64_u32 v[11:12], null, s18, v1, 0
	v_mov_b32_e32 v15, v0
	s_mov_b32 s14, s30
	s_delay_alu instid0(VALU_DEP_2) | instskip(SKIP_3) | instid1(VALU_DEP_3)
	v_mad_co_u64_u32 v[12:13], null, s19, v1, v[12:13]
	v_add_co_u32 v13, vcc_lo, v7, v19
	s_wait_alu 0xfffd
	v_add_co_ci_u32_e64 v14, null, 0, v8, vcc_lo
	v_lshlrev_b64_e32 v[11:12], 3, v[11:12]
	s_delay_alu instid0(VALU_DEP_1) | instskip(SKIP_1) | instid1(VALU_DEP_2)
	v_add_co_u32 v7, vcc_lo, v13, v11
	s_wait_alu 0xfffd
	v_add_co_ci_u32_e64 v8, null, v14, v12, vcc_lo
	s_branch .LBB116_9
.LBB116_8:                              ;   in Loop: Header=BB116_9 Depth=2
	s_wait_alu 0xfffe
	s_or_b32 exec_lo, exec_lo, s16
	s_ashr_i32 s15, s14, 31
	v_add_nc_u32_e32 v15, s30, v15
	s_wait_alu 0xfffe
	v_cmp_le_i64_e64 s15, s[4:5], s[14:15]
	s_add_co_i32 s14, s14, s30
	s_and_b32 vcc_lo, exec_lo, s15
	s_wait_alu 0xfffe
	s_cbranch_vccnz .LBB116_17
.LBB116_9:                              ;   Parent Loop BB116_4 Depth=1
                                        ; =>  This Inner Loop Header: Depth=2
	v_cmp_gt_i32_e32 vcc_lo, v1, v15
	s_mov_b32 s15, 0
                                        ; implicit-def: $vgpr11_vgpr12
	s_and_b32 s16, s34, vcc_lo
	s_wait_alu 0xfffe
	s_and_saveexec_b32 s17, s16
	s_wait_alu 0xfffe
	s_xor_b32 s16, exec_lo, s17
	s_cbranch_execnz .LBB116_12
; %bb.10:                               ;   in Loop: Header=BB116_9 Depth=2
	s_wait_alu 0xfffe
	s_or_saveexec_b32 s16, s16
	v_mov_b32_e32 v16, v15
	s_wait_alu 0xfffe
	s_xor_b32 exec_lo, exec_lo, s16
	s_cbranch_execnz .LBB116_13
.LBB116_11:                             ;   in Loop: Header=BB116_9 Depth=2
	s_or_b32 exec_lo, exec_lo, s16
	s_wait_alu 0xfffe
	s_and_saveexec_b32 s16, s15
	s_cbranch_execz .LBB116_8
	s_branch .LBB116_16
.LBB116_12:                             ;   in Loop: Header=BB116_9 Depth=2
	v_ashrrev_i32_e32 v16, 31, v15
	v_mul_lo_u32 v20, s19, v15
	s_wait_loadcnt_dscnt 0x0
	v_mad_co_u64_u32 v[11:12], null, s18, v15, 0
	s_mov_b32 s15, exec_lo
	v_mul_lo_u32 v16, s18, v16
	s_delay_alu instid0(VALU_DEP_1) | instskip(NEXT) | instid1(VALU_DEP_1)
	v_add3_u32 v12, v12, v16, v20
	v_lshlrev_b64_e32 v[11:12], 3, v[11:12]
	s_delay_alu instid0(VALU_DEP_1) | instskip(SKIP_1) | instid1(VALU_DEP_2)
	v_add_co_u32 v11, vcc_lo, v13, v11
	s_wait_alu 0xfffd
	v_add_co_ci_u32_e64 v12, null, v14, v12, vcc_lo
	flat_load_b64 v[11:12], v[11:12]
	s_wait_alu 0xfffe
	s_or_saveexec_b32 s16, s16
	v_mov_b32_e32 v16, v15
	s_wait_alu 0xfffe
	s_xor_b32 exec_lo, exec_lo, s16
	s_cbranch_execz .LBB116_11
.LBB116_13:                             ;   in Loop: Header=BB116_9 Depth=2
	v_cmp_eq_u32_e32 vcc_lo, v1, v15
	s_wait_alu 0xfffe
	s_mov_b32 s35, s15
                                        ; implicit-def: $vgpr11_vgpr12
	s_and_b32 s36, s34, vcc_lo
	s_delay_alu instid0(SALU_CYCLE_1)
	s_and_saveexec_b32 s17, s36
	s_cbranch_execz .LBB116_15
; %bb.14:                               ;   in Loop: Header=BB116_9 Depth=2
	s_wait_loadcnt_dscnt 0x0
	flat_load_b64 v[11:12], v[7:8]
	s_or_b32 s35, s15, exec_lo
	s_wait_loadcnt_dscnt 0x0
	v_div_scale_f64 v[20:21], null, v[11:12], v[11:12], 1.0
	s_delay_alu instid0(VALU_DEP_1) | instskip(NEXT) | instid1(TRANS32_DEP_1)
	v_rcp_f64_e32 v[22:23], v[20:21]
	v_fma_f64 v[24:25], -v[20:21], v[22:23], 1.0
	s_delay_alu instid0(VALU_DEP_1) | instskip(NEXT) | instid1(VALU_DEP_1)
	v_fma_f64 v[22:23], v[22:23], v[24:25], v[22:23]
	v_fma_f64 v[24:25], -v[20:21], v[22:23], 1.0
	s_delay_alu instid0(VALU_DEP_1) | instskip(SKIP_1) | instid1(VALU_DEP_1)
	v_fma_f64 v[22:23], v[22:23], v[24:25], v[22:23]
	v_div_scale_f64 v[24:25], vcc_lo, 1.0, v[11:12], 1.0
	v_mul_f64_e32 v[26:27], v[24:25], v[22:23]
	s_delay_alu instid0(VALU_DEP_1) | instskip(SKIP_1) | instid1(VALU_DEP_1)
	v_fma_f64 v[20:21], -v[20:21], v[26:27], v[24:25]
	s_wait_alu 0xfffd
	v_div_fmas_f64 v[20:21], v[20:21], v[22:23], v[26:27]
	s_delay_alu instid0(VALU_DEP_1)
	v_div_fixup_f64 v[11:12], v[20:21], v[11:12], 1.0
.LBB116_15:                             ;   in Loop: Header=BB116_9 Depth=2
	s_wait_alu 0xfffe
	s_or_b32 exec_lo, exec_lo, s17
	v_mov_b32_e32 v16, v1
	s_and_not1_b32 s15, s15, exec_lo
	s_and_b32 s17, s35, exec_lo
	s_wait_alu 0xfffe
	s_or_b32 s15, s15, s17
	s_or_b32 exec_lo, exec_lo, s16
	s_wait_alu 0xfffe
	s_and_saveexec_b32 s16, s15
	s_cbranch_execz .LBB116_8
.LBB116_16:                             ;   in Loop: Header=BB116_9 Depth=2
	s_load_b32 s15, s[24:25], 0xc
	s_wait_kmcnt 0x0
	s_and_b32 s15, s15, 0xffff
	s_wait_alu 0xfffe
	v_mul_lo_u32 v16, v16, s15
	s_delay_alu instid0(VALU_DEP_1)
	v_lshl_add_u32 v16, v16, 3, v18
	s_wait_loadcnt_dscnt 0x0
	ds_store_b64 v16, v[11:12]
	s_branch .LBB116_8
.LBB116_17:                             ;   in Loop: Header=BB116_4 Depth=1
	s_load_b32 s14, s[24:25], 0xc
	v_dual_mov_b32 v7, s26 :: v_dual_mov_b32 v8, s27
	s_mov_b32 s19, s23
	s_wait_kmcnt 0x0
	s_and_b32 s18, s14, 0xffff
	s_and_saveexec_b32 s35, s31
	s_cbranch_execz .LBB116_3
.LBB116_18:                             ;   in Loop: Header=BB116_4 Depth=1
	s_wait_loadcnt 0x0
	v_add_co_u32 v9, vcc_lo, v9, s6
	s_wait_alu 0xfffd
	v_add_co_ci_u32_e64 v10, null, s7, v10, vcc_lo
	s_delay_alu instid0(VALU_DEP_2) | instskip(SKIP_1) | instid1(VALU_DEP_2)
	v_add_co_u32 v9, vcc_lo, v9, v5
	s_wait_alu 0xfffd
	v_add_co_ci_u32_e64 v10, null, v10, v6, vcc_lo
	s_delay_alu instid0(VALU_DEP_2) | instskip(SKIP_1) | instid1(VALU_DEP_2)
	v_add_co_u32 v9, vcc_lo, v9, v3
	s_wait_alu 0xfffd
	v_add_co_ci_u32_e64 v10, null, v10, v4, vcc_lo
	s_and_not1_b32 vcc_lo, exec_lo, s33
	s_wait_dscnt 0x0
	flat_load_b64 v[11:12], v[9:10]
	s_wait_loadcnt_dscnt 0x0
	v_mul_f64_e32 v[11:12], s[8:9], v[11:12]
	s_wait_alu 0xfffe
	s_cbranch_vccnz .LBB116_25
; %bb.19:                               ;   in Loop: Header=BB116_4 Depth=1
	v_mad_co_u64_u32 v[13:14], null, v1, s18, v[1:2]
	s_lshl_b64 s[14:15], s[18:19], 3
	s_mov_b64 s[16:17], 0
	v_mad_co_u64_u32 v[14:15], null, v1, s19, v[14:15]
	s_delay_alu instid0(VALU_DEP_1) | instskip(SKIP_3) | instid1(VALU_DEP_3)
	v_lshlrev_b64_e32 v[15:16], 3, v[13:14]
	v_add_co_u32 v13, vcc_lo, v7, v19
	s_wait_alu 0xfffd
	v_add_co_ci_u32_e64 v14, null, 0, v8, vcc_lo
	v_add_co_u32 v15, vcc_lo, v7, v15
	s_wait_alu 0xfffd
	v_add_co_ci_u32_e64 v16, null, v8, v16, vcc_lo
	s_branch .LBB116_21
.LBB116_20:                             ;   in Loop: Header=BB116_21 Depth=2
	s_or_b32 exec_lo, exec_lo, s36
	s_wait_alu 0xfffe
	v_add_co_u32 v13, vcc_lo, v13, s14
	s_wait_alu 0xfffd
	v_add_co_ci_u32_e64 v14, null, s15, v14, vcc_lo
	s_add_nc_u64 s[16:17], s[16:17], 1
	s_wait_alu 0xfffe
	s_cmp_eq_u64 s[28:29], s[16:17]
	s_cbranch_scc1 .LBB116_25
.LBB116_21:                             ;   Parent Loop BB116_4 Depth=1
                                        ; =>  This Inner Loop Header: Depth=2
	s_mov_b32 s36, exec_lo
	s_barrier_signal -1
	s_barrier_wait -1
	global_inv scope:SCOPE_SE
	s_wait_alu 0xfffe
	v_cmpx_eq_u64_e64 s[16:17], v[1:2]
	s_cbranch_execz .LBB116_23
; %bb.22:                               ;   in Loop: Header=BB116_21 Depth=2
	flat_load_b64 v[20:21], v[15:16]
	s_wait_loadcnt_dscnt 0x0
	v_div_scale_f64 v[22:23], null, v[20:21], v[20:21], 1.0
	v_div_scale_f64 v[28:29], vcc_lo, 1.0, v[20:21], 1.0
	s_delay_alu instid0(VALU_DEP_2) | instskip(NEXT) | instid1(TRANS32_DEP_1)
	v_rcp_f64_e32 v[24:25], v[22:23]
	v_fma_f64 v[26:27], -v[22:23], v[24:25], 1.0
	s_delay_alu instid0(VALU_DEP_1) | instskip(NEXT) | instid1(VALU_DEP_1)
	v_fma_f64 v[24:25], v[24:25], v[26:27], v[24:25]
	v_fma_f64 v[26:27], -v[22:23], v[24:25], 1.0
	s_delay_alu instid0(VALU_DEP_1) | instskip(NEXT) | instid1(VALU_DEP_1)
	v_fma_f64 v[24:25], v[24:25], v[26:27], v[24:25]
	v_mul_f64_e32 v[26:27], v[28:29], v[24:25]
	s_delay_alu instid0(VALU_DEP_1) | instskip(SKIP_1) | instid1(VALU_DEP_1)
	v_fma_f64 v[22:23], -v[22:23], v[26:27], v[28:29]
	s_wait_alu 0xfffd
	v_div_fmas_f64 v[22:23], v[22:23], v[24:25], v[26:27]
	s_delay_alu instid0(VALU_DEP_1) | instskip(NEXT) | instid1(VALU_DEP_1)
	v_div_fixup_f64 v[22:23], v[22:23], v[20:21], 1.0
	v_cndmask_b32_e64 v21, v23, v21, s0
	s_delay_alu instid0(VALU_DEP_2) | instskip(NEXT) | instid1(VALU_DEP_1)
	v_cndmask_b32_e64 v20, v22, v20, s0
	v_mul_f64_e32 v[11:12], v[11:12], v[20:21]
	ds_store_b64 v17, v[11:12]
.LBB116_23:                             ;   in Loop: Header=BB116_21 Depth=2
	s_or_b32 exec_lo, exec_lo, s36
	s_delay_alu instid0(SALU_CYCLE_1)
	s_mov_b32 s36, exec_lo
	s_wait_loadcnt_dscnt 0x0
	s_barrier_signal -1
	s_barrier_wait -1
	global_inv scope:SCOPE_SE
	v_cmpx_lt_u64_e64 s[16:17], v[1:2]
	s_cbranch_execz .LBB116_20
; %bb.24:                               ;   in Loop: Header=BB116_21 Depth=2
	flat_load_b64 v[20:21], v[13:14]
	ds_load_b64 v[22:23], v17
	s_wait_loadcnt_dscnt 0x0
	v_fma_f64 v[11:12], -v[20:21], v[22:23], v[11:12]
	s_branch .LBB116_20
.LBB116_25:                             ;   in Loop: Header=BB116_4 Depth=1
	s_and_saveexec_b32 s14, s1
	s_cbranch_execz .LBB116_2
; %bb.26:                               ;   in Loop: Header=BB116_4 Depth=1
	v_mad_co_u64_u32 v[13:14], null, v1, s18, v[1:2]
	s_delay_alu instid0(VALU_DEP_1) | instskip(NEXT) | instid1(VALU_DEP_1)
	v_mad_co_u64_u32 v[14:15], null, v1, s19, v[14:15]
	v_lshlrev_b64_e32 v[13:14], 3, v[13:14]
	s_delay_alu instid0(VALU_DEP_1) | instskip(SKIP_1) | instid1(VALU_DEP_2)
	v_add_co_u32 v7, vcc_lo, v7, v13
	s_wait_alu 0xfffd
	v_add_co_ci_u32_e64 v8, null, v8, v14, vcc_lo
	flat_load_b64 v[7:8], v[7:8]
	s_wait_loadcnt_dscnt 0x0
	v_div_scale_f64 v[13:14], null, v[7:8], v[7:8], 1.0
	v_div_scale_f64 v[22:23], vcc_lo, 1.0, v[7:8], 1.0
	s_delay_alu instid0(VALU_DEP_2) | instskip(NEXT) | instid1(TRANS32_DEP_1)
	v_rcp_f64_e32 v[15:16], v[13:14]
	v_fma_f64 v[20:21], -v[13:14], v[15:16], 1.0
	s_delay_alu instid0(VALU_DEP_1) | instskip(NEXT) | instid1(VALU_DEP_1)
	v_fma_f64 v[15:16], v[15:16], v[20:21], v[15:16]
	v_fma_f64 v[20:21], -v[13:14], v[15:16], 1.0
	s_delay_alu instid0(VALU_DEP_1) | instskip(NEXT) | instid1(VALU_DEP_1)
	v_fma_f64 v[15:16], v[15:16], v[20:21], v[15:16]
	v_mul_f64_e32 v[20:21], v[22:23], v[15:16]
	s_delay_alu instid0(VALU_DEP_1) | instskip(SKIP_1) | instid1(VALU_DEP_1)
	v_fma_f64 v[13:14], -v[13:14], v[20:21], v[22:23]
	s_wait_alu 0xfffd
	v_div_fmas_f64 v[13:14], v[13:14], v[15:16], v[20:21]
	s_delay_alu instid0(VALU_DEP_1) | instskip(NEXT) | instid1(VALU_DEP_1)
	v_div_fixup_f64 v[13:14], v[13:14], v[7:8], 1.0
	v_cndmask_b32_e64 v8, v14, v8, s0
	s_delay_alu instid0(VALU_DEP_2) | instskip(NEXT) | instid1(VALU_DEP_1)
	v_cndmask_b32_e64 v7, v13, v7, s0
	v_mul_f64_e32 v[11:12], v[11:12], v[7:8]
	s_branch .LBB116_2
.LBB116_27:
	s_endpgm
	.section	.rodata,"a",@progbits
	.p2align	6, 0x0
	.amdhsa_kernel _ZL39rocblas_trsm_block_forward_substitutionIddPKPKdPKPdLb0ELb1ELb0EEv18rocblas_operation_llT0_T1_lllT2_lllib
		.amdhsa_group_segment_fixed_size 0
		.amdhsa_private_segment_fixed_size 0
		.amdhsa_kernarg_size 360
		.amdhsa_user_sgpr_count 2
		.amdhsa_user_sgpr_dispatch_ptr 0
		.amdhsa_user_sgpr_queue_ptr 0
		.amdhsa_user_sgpr_kernarg_segment_ptr 1
		.amdhsa_user_sgpr_dispatch_id 0
		.amdhsa_user_sgpr_private_segment_size 0
		.amdhsa_wavefront_size32 1
		.amdhsa_uses_dynamic_stack 0
		.amdhsa_enable_private_segment 0
		.amdhsa_system_sgpr_workgroup_id_x 1
		.amdhsa_system_sgpr_workgroup_id_y 1
		.amdhsa_system_sgpr_workgroup_id_z 1
		.amdhsa_system_sgpr_workgroup_info 0
		.amdhsa_system_vgpr_workitem_id 1
		.amdhsa_next_free_vgpr 30
		.amdhsa_next_free_sgpr 37
		.amdhsa_reserve_vcc 1
		.amdhsa_float_round_mode_32 0
		.amdhsa_float_round_mode_16_64 0
		.amdhsa_float_denorm_mode_32 3
		.amdhsa_float_denorm_mode_16_64 3
		.amdhsa_fp16_overflow 0
		.amdhsa_workgroup_processor_mode 1
		.amdhsa_memory_ordered 1
		.amdhsa_forward_progress 1
		.amdhsa_inst_pref_size 14
		.amdhsa_round_robin_scheduling 0
		.amdhsa_exception_fp_ieee_invalid_op 0
		.amdhsa_exception_fp_denorm_src 0
		.amdhsa_exception_fp_ieee_div_zero 0
		.amdhsa_exception_fp_ieee_overflow 0
		.amdhsa_exception_fp_ieee_underflow 0
		.amdhsa_exception_fp_ieee_inexact 0
		.amdhsa_exception_int_div_zero 0
	.end_amdhsa_kernel
	.section	.text._ZL39rocblas_trsm_block_forward_substitutionIddPKPKdPKPdLb0ELb1ELb0EEv18rocblas_operation_llT0_T1_lllT2_lllib,"axG",@progbits,_ZL39rocblas_trsm_block_forward_substitutionIddPKPKdPKPdLb0ELb1ELb0EEv18rocblas_operation_llT0_T1_lllT2_lllib,comdat
.Lfunc_end116:
	.size	_ZL39rocblas_trsm_block_forward_substitutionIddPKPKdPKPdLb0ELb1ELb0EEv18rocblas_operation_llT0_T1_lllT2_lllib, .Lfunc_end116-_ZL39rocblas_trsm_block_forward_substitutionIddPKPKdPKPdLb0ELb1ELb0EEv18rocblas_operation_llT0_T1_lllT2_lllib
                                        ; -- End function
	.set _ZL39rocblas_trsm_block_forward_substitutionIddPKPKdPKPdLb0ELb1ELb0EEv18rocblas_operation_llT0_T1_lllT2_lllib.num_vgpr, 30
	.set _ZL39rocblas_trsm_block_forward_substitutionIddPKPKdPKPdLb0ELb1ELb0EEv18rocblas_operation_llT0_T1_lllT2_lllib.num_agpr, 0
	.set _ZL39rocblas_trsm_block_forward_substitutionIddPKPKdPKPdLb0ELb1ELb0EEv18rocblas_operation_llT0_T1_lllT2_lllib.numbered_sgpr, 37
	.set _ZL39rocblas_trsm_block_forward_substitutionIddPKPKdPKPdLb0ELb1ELb0EEv18rocblas_operation_llT0_T1_lllT2_lllib.num_named_barrier, 0
	.set _ZL39rocblas_trsm_block_forward_substitutionIddPKPKdPKPdLb0ELb1ELb0EEv18rocblas_operation_llT0_T1_lllT2_lllib.private_seg_size, 0
	.set _ZL39rocblas_trsm_block_forward_substitutionIddPKPKdPKPdLb0ELb1ELb0EEv18rocblas_operation_llT0_T1_lllT2_lllib.uses_vcc, 1
	.set _ZL39rocblas_trsm_block_forward_substitutionIddPKPKdPKPdLb0ELb1ELb0EEv18rocblas_operation_llT0_T1_lllT2_lllib.uses_flat_scratch, 0
	.set _ZL39rocblas_trsm_block_forward_substitutionIddPKPKdPKPdLb0ELb1ELb0EEv18rocblas_operation_llT0_T1_lllT2_lllib.has_dyn_sized_stack, 0
	.set _ZL39rocblas_trsm_block_forward_substitutionIddPKPKdPKPdLb0ELb1ELb0EEv18rocblas_operation_llT0_T1_lllT2_lllib.has_recursion, 0
	.set _ZL39rocblas_trsm_block_forward_substitutionIddPKPKdPKPdLb0ELb1ELb0EEv18rocblas_operation_llT0_T1_lllT2_lllib.has_indirect_call, 0
	.section	.AMDGPU.csdata,"",@progbits
; Kernel info:
; codeLenInByte = 1748
; TotalNumSgprs: 39
; NumVgprs: 30
; ScratchSize: 0
; MemoryBound: 1
; FloatMode: 240
; IeeeMode: 1
; LDSByteSize: 0 bytes/workgroup (compile time only)
; SGPRBlocks: 0
; VGPRBlocks: 3
; NumSGPRsForWavesPerEU: 39
; NumVGPRsForWavesPerEU: 30
; Occupancy: 16
; WaveLimiterHint : 1
; COMPUTE_PGM_RSRC2:SCRATCH_EN: 0
; COMPUTE_PGM_RSRC2:USER_SGPR: 2
; COMPUTE_PGM_RSRC2:TRAP_HANDLER: 0
; COMPUTE_PGM_RSRC2:TGID_X_EN: 1
; COMPUTE_PGM_RSRC2:TGID_Y_EN: 1
; COMPUTE_PGM_RSRC2:TGID_Z_EN: 1
; COMPUTE_PGM_RSRC2:TIDIG_COMP_CNT: 1
	.section	.text._ZL40rocblas_trsm_block_backward_substitutionIddPKPKdPKPdLb0ELb1ELb0EEv18rocblas_operation_llT0_T1_lllT2_lllib,"axG",@progbits,_ZL40rocblas_trsm_block_backward_substitutionIddPKPKdPKPdLb0ELb1ELb0EEv18rocblas_operation_llT0_T1_lllT2_lllib,comdat
	.globl	_ZL40rocblas_trsm_block_backward_substitutionIddPKPKdPKPdLb0ELb1ELb0EEv18rocblas_operation_llT0_T1_lllT2_lllib ; -- Begin function _ZL40rocblas_trsm_block_backward_substitutionIddPKPKdPKPdLb0ELb1ELb0EEv18rocblas_operation_llT0_T1_lllT2_lllib
	.p2align	8
	.type	_ZL40rocblas_trsm_block_backward_substitutionIddPKPKdPKPdLb0ELb1ELb0EEv18rocblas_operation_llT0_T1_lllT2_lllib,@function
_ZL40rocblas_trsm_block_backward_substitutionIddPKPKdPKPdLb0ELb1ELb0EEv18rocblas_operation_llT0_T1_lllT2_lllib: ; @_ZL40rocblas_trsm_block_backward_substitutionIddPKPKdPKPdLb0ELb1ELb0EEv18rocblas_operation_llT0_T1_lllT2_lllib
; %bb.0:
	s_load_b64 s[20:21], s[0:1], 0x60
	s_lshr_b32 s22, ttmp7, 16
	s_wait_kmcnt 0x0
	s_cmp_ge_u32 s22, s20
	s_cbranch_scc1 .LBB117_29
; %bb.1:
	s_clause 0x4
	s_load_u16 s33, s[0:1], 0x76
	s_load_b128 s[12:15], s[0:1], 0x28
	s_load_b64 s[28:29], s[0:1], 0x50
	s_load_b256 s[4:11], s[0:1], 0x8
	s_load_b128 s[16:19], s[0:1], 0x40
	v_bfe_u32 v1, v0, 10, 10
	v_dual_mov_b32 v3, 0 :: v_dual_and_b32 v2, 0x3ff, v0
	s_bitcmp1_b32 s21, 0
	s_mov_b64 s[26:27], src_shared_base
	s_cselect_b32 s2, -1, 0
	s_and_b32 s3, ttmp7, 0xffff
	v_lshlrev_b32_e32 v0, 3, v2
	s_add_nc_u64 s[24:25], s[0:1], 0x68
	v_lshl_add_u32 v18, v1, 3, 0
	v_cmp_eq_u32_e64 s0, 0, v2
	s_mov_b32 s23, 0
	v_lshlrev_b32_e32 v20, 3, v2
	s_wait_kmcnt 0x0
	v_mad_co_u64_u32 v[4:5], null, s3, s33, v[1:2]
	v_mad_co_u64_u32 v[6:7], null, s14, v2, 0
	v_mov_b32_e32 v5, v3
	s_lshl_b32 s3, s33, 3
	v_cmp_le_i64_e64 s21, s[4:5], v[2:3]
	v_cmp_gt_i64_e64 s1, s[4:5], v[2:3]
	v_mad_co_u64_u32 v[8:9], null, s28, v4, 0
	v_cmp_gt_i64_e32 vcc_lo, s[6:7], v[4:5]
	s_wait_alu 0xfffe
	s_add_co_i32 s26, s3, 0
	v_cmp_gt_i64_e64 s40, s[4:5], 0
	v_cmp_gt_i64_e64 s42, s[4:5], 1
	v_add_nc_u32_e32 v19, s26, v0
	s_lshl_b64 s[12:13], s[12:13], 3
	v_mad_co_u64_u32 v[10:11], null, s15, v2, v[7:8]
	s_and_b32 s41, vcc_lo, s1
	s_xor_b32 s43, s21, -1
	s_lshl_b64 s[18:19], s[18:19], 3
	v_mad_co_u64_u32 v[11:12], null, s29, v4, v[9:10]
	v_mov_b32_e32 v7, v10
	s_add_nc_u64 s[28:29], s[4:5], -1
	s_wait_alu 0xfffe
	s_lshl_b64 s[6:7], s[28:29], 3
	s_delay_alu instid0(VALU_DEP_1) | instskip(NEXT) | instid1(VALU_DEP_3)
	v_lshlrev_b64_e32 v[4:5], 3, v[6:7]
	v_mov_b32_e32 v9, v11
	s_delay_alu instid0(VALU_DEP_1)
	v_lshlrev_b64_e32 v[6:7], 3, v[8:9]
	s_branch .LBB117_4
.LBB117_2:                              ;   in Loop: Header=BB117_4 Depth=1
	s_wait_alu 0xfffe
	s_or_b32 exec_lo, exec_lo, s36
	flat_store_b64 v[8:9], v[12:13]
.LBB117_3:                              ;   in Loop: Header=BB117_4 Depth=1
	s_wait_alu 0xfffe
	s_or_b32 exec_lo, exec_lo, s3
	s_add_co_i32 s22, s22, 0x10000
	s_delay_alu instid0(SALU_CYCLE_1)
	s_cmp_lt_u32 s22, s20
	s_cbranch_scc0 .LBB117_29
.LBB117_4:                              ; =>This Loop Header: Depth=1
                                        ;     Child Loop BB117_9 Depth 2
                                        ;     Child Loop BB117_23 Depth 2
	s_lshl_b64 s[30:31], s[22:23], 3
	s_wait_alu 0xfffe
	s_add_nc_u64 s[34:35], s[10:11], s[30:31]
	s_add_nc_u64 s[30:31], s[16:17], s[30:31]
	global_load_b64 v[10:11], v3, s[34:35]
	s_wait_loadcnt 0x1
	global_load_b64 v[8:9], v3, s[30:31]
	s_mov_b64 s[30:31], 1
	s_mov_b64 s[34:35], s[14:15]
	s_wait_loadcnt 0x1
	v_add_co_u32 v10, vcc_lo, v10, s12
	s_wait_alu 0xfffd
	v_add_co_ci_u32_e64 v11, null, s13, v11, vcc_lo
	s_and_not1_b32 vcc_lo, exec_lo, s2
	s_wait_alu 0xfffe
	s_cbranch_vccz .LBB117_6
; %bb.5:                                ;   in Loop: Header=BB117_4 Depth=1
	s_and_saveexec_b32 s3, s41
	s_cbranch_execz .LBB117_3
	s_branch .LBB117_20
.LBB117_6:                              ;   in Loop: Header=BB117_4 Depth=1
	s_and_not1_b32 vcc_lo, exec_lo, s40
	s_wait_alu 0xfffe
	s_cbranch_vccnz .LBB117_19
; %bb.7:                                ;   in Loop: Header=BB117_4 Depth=1
	v_add_co_u32 v16, vcc_lo, v10, v4
	s_wait_alu 0xfffd
	v_add_co_ci_u32_e64 v17, null, v11, v5, vcc_lo
	v_mov_b32_e32 v12, v1
	s_delay_alu instid0(VALU_DEP_3) | instskip(SKIP_1) | instid1(VALU_DEP_3)
	v_add_co_u32 v10, vcc_lo, v16, v20
	s_wait_alu 0xfffd
	v_add_co_ci_u32_e64 v11, null, 0, v17, vcc_lo
	s_mov_b32 s30, s33
	s_branch .LBB117_9
.LBB117_8:                              ;   in Loop: Header=BB117_9 Depth=2
	s_wait_alu 0xfffe
	s_or_b32 exec_lo, exec_lo, s31
	s_ashr_i32 s31, s30, 31
	v_add_nc_u32_e32 v12, s33, v12
	s_wait_alu 0xfffe
	v_cmp_le_i64_e64 s3, s[4:5], s[30:31]
	s_add_co_i32 s30, s30, s33
	s_and_b32 vcc_lo, exec_lo, s3
	s_wait_alu 0xfffe
	s_cbranch_vccnz .LBB117_19
.LBB117_9:                              ;   Parent Loop BB117_4 Depth=1
                                        ; =>  This Inner Loop Header: Depth=2
	s_mov_b32 s3, 0
	s_mov_b32 s34, s21
                                        ; implicit-def: $vgpr14_vgpr15
	s_and_saveexec_b32 s31, s1
	s_cbranch_execnz .LBB117_12
; %bb.10:                               ;   in Loop: Header=BB117_9 Depth=2
	s_wait_alu 0xfffe
	s_or_b32 exec_lo, exec_lo, s31
	v_mov_b32_e32 v13, v12
	s_and_saveexec_b32 s31, s34
	s_cbranch_execnz .LBB117_15
.LBB117_11:                             ;   in Loop: Header=BB117_9 Depth=2
	s_wait_alu 0xfffe
	s_or_b32 exec_lo, exec_lo, s31
	s_and_saveexec_b32 s31, s3
	s_cbranch_execz .LBB117_8
	s_branch .LBB117_18
.LBB117_12:                             ;   in Loop: Header=BB117_9 Depth=2
	v_ashrrev_i32_e32 v13, 31, v12
	v_cmp_lt_i32_e64 s3, v2, v12
	s_mov_b32 s34, -1
                                        ; implicit-def: $vgpr14_vgpr15
	v_cmp_gt_i64_e32 vcc_lo, s[4:5], v[12:13]
	s_wait_alu 0xfffe
	s_and_b32 s36, s3, vcc_lo
	s_mov_b32 s3, 0
	s_wait_alu 0xfffe
	s_and_saveexec_b32 s35, s36
	s_cbranch_execz .LBB117_14
; %bb.13:                               ;   in Loop: Header=BB117_9 Depth=2
	s_wait_loadcnt_dscnt 0x0
	v_lshlrev_b64_e32 v[13:14], 3, v[12:13]
	s_mov_b32 s3, exec_lo
	s_xor_b32 s34, exec_lo, -1
	s_delay_alu instid0(VALU_DEP_1) | instskip(SKIP_1) | instid1(VALU_DEP_2)
	v_add_co_u32 v13, vcc_lo, v16, v13
	s_wait_alu 0xfffd
	v_add_co_ci_u32_e64 v14, null, v17, v14, vcc_lo
	flat_load_b64 v[14:15], v[13:14]
.LBB117_14:                             ;   in Loop: Header=BB117_9 Depth=2
	s_wait_alu 0xfffe
	s_or_b32 exec_lo, exec_lo, s35
	s_delay_alu instid0(SALU_CYCLE_1)
	s_and_not1_b32 s35, s21, exec_lo
	s_and_b32 s34, s34, exec_lo
	s_and_b32 s3, s3, exec_lo
	s_wait_alu 0xfffe
	s_or_b32 s34, s35, s34
	s_or_b32 exec_lo, exec_lo, s31
	v_mov_b32_e32 v13, v12
	s_wait_alu 0xfffe
	s_and_saveexec_b32 s31, s34
	s_cbranch_execz .LBB117_11
.LBB117_15:                             ;   in Loop: Header=BB117_9 Depth=2
	v_cmp_eq_u32_e32 vcc_lo, v2, v12
	s_wait_alu 0xfffe
	s_mov_b32 s35, s3
                                        ; implicit-def: $vgpr14_vgpr15
	s_and_b32 s36, s43, vcc_lo
	s_wait_alu 0xfffe
	s_and_saveexec_b32 s34, s36
	s_cbranch_execz .LBB117_17
; %bb.16:                               ;   in Loop: Header=BB117_9 Depth=2
	s_wait_loadcnt_dscnt 0x0
	flat_load_b64 v[13:14], v[10:11]
	s_or_b32 s35, s3, exec_lo
	s_wait_loadcnt_dscnt 0x0
	v_div_scale_f64 v[21:22], null, v[13:14], v[13:14], 1.0
	s_delay_alu instid0(VALU_DEP_1) | instskip(NEXT) | instid1(TRANS32_DEP_1)
	v_rcp_f64_e32 v[23:24], v[21:22]
	v_fma_f64 v[25:26], -v[21:22], v[23:24], 1.0
	s_delay_alu instid0(VALU_DEP_1) | instskip(NEXT) | instid1(VALU_DEP_1)
	v_fma_f64 v[23:24], v[23:24], v[25:26], v[23:24]
	v_fma_f64 v[25:26], -v[21:22], v[23:24], 1.0
	s_delay_alu instid0(VALU_DEP_1) | instskip(SKIP_1) | instid1(VALU_DEP_1)
	v_fma_f64 v[23:24], v[23:24], v[25:26], v[23:24]
	v_div_scale_f64 v[25:26], vcc_lo, 1.0, v[13:14], 1.0
	v_mul_f64_e32 v[27:28], v[25:26], v[23:24]
	s_delay_alu instid0(VALU_DEP_1) | instskip(SKIP_1) | instid1(VALU_DEP_1)
	v_fma_f64 v[21:22], -v[21:22], v[27:28], v[25:26]
	s_wait_alu 0xfffd
	v_div_fmas_f64 v[21:22], v[21:22], v[23:24], v[27:28]
	s_delay_alu instid0(VALU_DEP_1)
	v_div_fixup_f64 v[14:15], v[21:22], v[13:14], 1.0
.LBB117_17:                             ;   in Loop: Header=BB117_9 Depth=2
	s_wait_alu 0xfffe
	s_or_b32 exec_lo, exec_lo, s34
	v_mov_b32_e32 v13, v2
	s_and_not1_b32 s3, s3, exec_lo
	s_and_b32 s34, s35, exec_lo
	s_wait_alu 0xfffe
	s_or_b32 s3, s3, s34
	s_or_b32 exec_lo, exec_lo, s31
	s_wait_alu 0xfffe
	s_and_saveexec_b32 s31, s3
	s_cbranch_execz .LBB117_8
.LBB117_18:                             ;   in Loop: Header=BB117_9 Depth=2
	s_load_b32 s3, s[24:25], 0xc
	s_wait_kmcnt 0x0
	s_and_b32 s3, s3, 0xffff
	s_wait_alu 0xfffe
	v_mul_lo_u32 v13, v13, s3
	s_delay_alu instid0(VALU_DEP_1)
	v_lshl_add_u32 v13, v13, 3, v19
	s_wait_loadcnt_dscnt 0x0
	ds_store_b64 v13, v[14:15]
	s_branch .LBB117_8
.LBB117_19:                             ;   in Loop: Header=BB117_4 Depth=1
	s_load_b32 s3, s[24:25], 0xc
	v_dual_mov_b32 v10, s26 :: v_dual_mov_b32 v11, s27
	s_mov_b32 s31, s23
	s_mov_b64 s[34:35], 1
	s_wait_kmcnt 0x0
	s_and_b32 s30, s3, 0xffff
	s_and_saveexec_b32 s3, s41
	s_cbranch_execz .LBB117_3
.LBB117_20:                             ;   in Loop: Header=BB117_4 Depth=1
	s_wait_loadcnt 0x0
	v_add_co_u32 v8, vcc_lo, v8, s18
	s_wait_alu 0xfffd
	v_add_co_ci_u32_e64 v9, null, s19, v9, vcc_lo
	s_delay_alu instid0(VALU_DEP_2) | instskip(SKIP_1) | instid1(VALU_DEP_2)
	v_add_co_u32 v8, vcc_lo, v8, v6
	s_wait_alu 0xfffd
	v_add_co_ci_u32_e64 v9, null, v9, v7, vcc_lo
	s_delay_alu instid0(VALU_DEP_2) | instskip(SKIP_1) | instid1(VALU_DEP_2)
	v_add_co_u32 v8, vcc_lo, v8, v20
	s_wait_alu 0xfffd
	v_add_co_ci_u32_e64 v9, null, 0, v9, vcc_lo
	s_and_not1_b32 vcc_lo, exec_lo, s42
	flat_load_b64 v[12:13], v[8:9]
	s_wait_loadcnt_dscnt 0x0
	v_mul_f64_e32 v[12:13], s[8:9], v[12:13]
	s_wait_alu 0xfffe
	s_cbranch_vccnz .LBB117_27
; %bb.21:                               ;   in Loop: Header=BB117_4 Depth=1
	s_add_nc_u64 s[36:37], s[30:31], s[34:35]
	s_mul_u64 s[38:39], s[6:7], s[30:31]
	s_wait_alu 0xfffe
	v_mad_co_u64_u32 v[16:17], null, s36, v2, 0
	v_add_co_u32 v14, vcc_lo, v10, s38
	s_wait_alu 0xfffd
	v_add_co_ci_u32_e64 v15, null, s39, v11, vcc_lo
	s_lshl_b32 s36, s30, 3
	s_mov_b64 s[38:39], s[28:29]
	v_mad_co_u64_u32 v[21:22], null, s37, v2, v[17:18]
	v_mad_co_u64_u32 v[14:15], null, v0, s34, v[14:15]
	s_mov_b32 s37, s23
	s_wait_alu 0xfffe
	s_sub_nc_u64 s[36:37], 0, s[36:37]
	v_mov_b32_e32 v17, v21
	v_mad_co_u64_u32 v[21:22], null, v0, s35, v[15:16]
	s_delay_alu instid0(VALU_DEP_2) | instskip(NEXT) | instid1(VALU_DEP_2)
	v_lshlrev_b64_e32 v[16:17], 3, v[16:17]
	v_mov_b32_e32 v15, v21
	s_delay_alu instid0(VALU_DEP_2) | instskip(SKIP_1) | instid1(VALU_DEP_3)
	v_add_co_u32 v16, vcc_lo, v10, v16
	s_wait_alu 0xfffd
	v_add_co_ci_u32_e64 v17, null, v11, v17, vcc_lo
	s_branch .LBB117_23
.LBB117_22:                             ;   in Loop: Header=BB117_23 Depth=2
	s_wait_alu 0xfffe
	s_or_b32 exec_lo, exec_lo, s44
	s_add_nc_u64 s[44:45], s[38:39], 1
	v_add_co_u32 v14, vcc_lo, v14, s36
	s_wait_alu 0xfffe
	v_cmp_lt_u64_e64 s44, s[44:45], 3
	s_wait_alu 0xfffd
	v_add_co_ci_u32_e64 v15, null, s37, v15, vcc_lo
	s_add_nc_u64 s[38:39], s[38:39], -1
	s_and_b32 vcc_lo, exec_lo, s44
	s_wait_alu 0xfffe
	s_cbranch_vccnz .LBB117_27
.LBB117_23:                             ;   Parent Loop BB117_4 Depth=1
                                        ; =>  This Inner Loop Header: Depth=2
	s_mov_b32 s44, exec_lo
	s_barrier_signal -1
	s_barrier_wait -1
	global_inv scope:SCOPE_SE
	v_cmpx_eq_u64_e64 s[38:39], v[2:3]
	s_cbranch_execz .LBB117_25
; %bb.24:                               ;   in Loop: Header=BB117_23 Depth=2
	flat_load_b64 v[21:22], v[16:17]
	s_wait_loadcnt_dscnt 0x0
	v_div_scale_f64 v[23:24], null, v[21:22], v[21:22], 1.0
	v_div_scale_f64 v[29:30], vcc_lo, 1.0, v[21:22], 1.0
	s_delay_alu instid0(VALU_DEP_2) | instskip(NEXT) | instid1(TRANS32_DEP_1)
	v_rcp_f64_e32 v[25:26], v[23:24]
	v_fma_f64 v[27:28], -v[23:24], v[25:26], 1.0
	s_delay_alu instid0(VALU_DEP_1) | instskip(NEXT) | instid1(VALU_DEP_1)
	v_fma_f64 v[25:26], v[25:26], v[27:28], v[25:26]
	v_fma_f64 v[27:28], -v[23:24], v[25:26], 1.0
	s_delay_alu instid0(VALU_DEP_1) | instskip(NEXT) | instid1(VALU_DEP_1)
	v_fma_f64 v[25:26], v[25:26], v[27:28], v[25:26]
	v_mul_f64_e32 v[27:28], v[29:30], v[25:26]
	s_delay_alu instid0(VALU_DEP_1) | instskip(SKIP_1) | instid1(VALU_DEP_1)
	v_fma_f64 v[23:24], -v[23:24], v[27:28], v[29:30]
	s_wait_alu 0xfffd
	v_div_fmas_f64 v[23:24], v[23:24], v[25:26], v[27:28]
	s_delay_alu instid0(VALU_DEP_1) | instskip(NEXT) | instid1(VALU_DEP_1)
	v_div_fixup_f64 v[23:24], v[23:24], v[21:22], 1.0
	v_cndmask_b32_e64 v22, v24, v22, s2
	s_delay_alu instid0(VALU_DEP_2) | instskip(NEXT) | instid1(VALU_DEP_1)
	v_cndmask_b32_e64 v21, v23, v21, s2
	v_mul_f64_e32 v[12:13], v[12:13], v[21:22]
	ds_store_b64 v18, v[12:13]
.LBB117_25:                             ;   in Loop: Header=BB117_23 Depth=2
	s_wait_alu 0xfffe
	s_or_b32 exec_lo, exec_lo, s44
	s_delay_alu instid0(SALU_CYCLE_1)
	s_mov_b32 s44, exec_lo
	s_wait_loadcnt_dscnt 0x0
	s_barrier_signal -1
	s_barrier_wait -1
	global_inv scope:SCOPE_SE
	v_cmpx_gt_i64_e64 s[38:39], v[2:3]
	s_cbranch_execz .LBB117_22
; %bb.26:                               ;   in Loop: Header=BB117_23 Depth=2
	flat_load_b64 v[21:22], v[14:15]
	ds_load_b64 v[23:24], v18
	s_wait_loadcnt_dscnt 0x0
	v_fma_f64 v[12:13], -v[21:22], v[23:24], v[12:13]
	s_branch .LBB117_22
.LBB117_27:                             ;   in Loop: Header=BB117_4 Depth=1
	s_and_saveexec_b32 s36, s0
	s_cbranch_execz .LBB117_2
; %bb.28:                               ;   in Loop: Header=BB117_4 Depth=1
	s_add_nc_u64 s[30:31], s[30:31], s[34:35]
	s_wait_alu 0xfffe
	v_mad_co_u64_u32 v[14:15], null, s30, v2, 0
	s_delay_alu instid0(VALU_DEP_1) | instskip(NEXT) | instid1(VALU_DEP_1)
	v_mad_co_u64_u32 v[15:16], null, s31, v2, v[15:16]
	v_lshlrev_b64_e32 v[14:15], 3, v[14:15]
	s_delay_alu instid0(VALU_DEP_1) | instskip(SKIP_1) | instid1(VALU_DEP_2)
	v_add_co_u32 v10, vcc_lo, v10, v14
	s_wait_alu 0xfffd
	v_add_co_ci_u32_e64 v11, null, v11, v15, vcc_lo
	flat_load_b64 v[10:11], v[10:11]
	s_wait_loadcnt_dscnt 0x0
	v_div_scale_f64 v[14:15], null, v[10:11], v[10:11], 1.0
	v_div_scale_f64 v[23:24], vcc_lo, 1.0, v[10:11], 1.0
	s_delay_alu instid0(VALU_DEP_2) | instskip(NEXT) | instid1(TRANS32_DEP_1)
	v_rcp_f64_e32 v[16:17], v[14:15]
	v_fma_f64 v[21:22], -v[14:15], v[16:17], 1.0
	s_delay_alu instid0(VALU_DEP_1) | instskip(NEXT) | instid1(VALU_DEP_1)
	v_fma_f64 v[16:17], v[16:17], v[21:22], v[16:17]
	v_fma_f64 v[21:22], -v[14:15], v[16:17], 1.0
	s_delay_alu instid0(VALU_DEP_1) | instskip(NEXT) | instid1(VALU_DEP_1)
	v_fma_f64 v[16:17], v[16:17], v[21:22], v[16:17]
	v_mul_f64_e32 v[21:22], v[23:24], v[16:17]
	s_delay_alu instid0(VALU_DEP_1) | instskip(SKIP_1) | instid1(VALU_DEP_1)
	v_fma_f64 v[14:15], -v[14:15], v[21:22], v[23:24]
	s_wait_alu 0xfffd
	v_div_fmas_f64 v[14:15], v[14:15], v[16:17], v[21:22]
	s_delay_alu instid0(VALU_DEP_1) | instskip(NEXT) | instid1(VALU_DEP_1)
	v_div_fixup_f64 v[14:15], v[14:15], v[10:11], 1.0
	v_cndmask_b32_e64 v11, v15, v11, s2
	s_delay_alu instid0(VALU_DEP_2) | instskip(NEXT) | instid1(VALU_DEP_1)
	v_cndmask_b32_e64 v10, v14, v10, s2
	v_mul_f64_e32 v[12:13], v[12:13], v[10:11]
	s_branch .LBB117_2
.LBB117_29:
	s_endpgm
	.section	.rodata,"a",@progbits
	.p2align	6, 0x0
	.amdhsa_kernel _ZL40rocblas_trsm_block_backward_substitutionIddPKPKdPKPdLb0ELb1ELb0EEv18rocblas_operation_llT0_T1_lllT2_lllib
		.amdhsa_group_segment_fixed_size 0
		.amdhsa_private_segment_fixed_size 0
		.amdhsa_kernarg_size 360
		.amdhsa_user_sgpr_count 2
		.amdhsa_user_sgpr_dispatch_ptr 0
		.amdhsa_user_sgpr_queue_ptr 0
		.amdhsa_user_sgpr_kernarg_segment_ptr 1
		.amdhsa_user_sgpr_dispatch_id 0
		.amdhsa_user_sgpr_private_segment_size 0
		.amdhsa_wavefront_size32 1
		.amdhsa_uses_dynamic_stack 0
		.amdhsa_enable_private_segment 0
		.amdhsa_system_sgpr_workgroup_id_x 1
		.amdhsa_system_sgpr_workgroup_id_y 1
		.amdhsa_system_sgpr_workgroup_id_z 1
		.amdhsa_system_sgpr_workgroup_info 0
		.amdhsa_system_vgpr_workitem_id 1
		.amdhsa_next_free_vgpr 31
		.amdhsa_next_free_sgpr 46
		.amdhsa_reserve_vcc 1
		.amdhsa_float_round_mode_32 0
		.amdhsa_float_round_mode_16_64 0
		.amdhsa_float_denorm_mode_32 3
		.amdhsa_float_denorm_mode_16_64 3
		.amdhsa_fp16_overflow 0
		.amdhsa_workgroup_processor_mode 1
		.amdhsa_memory_ordered 1
		.amdhsa_forward_progress 1
		.amdhsa_inst_pref_size 15
		.amdhsa_round_robin_scheduling 0
		.amdhsa_exception_fp_ieee_invalid_op 0
		.amdhsa_exception_fp_denorm_src 0
		.amdhsa_exception_fp_ieee_div_zero 0
		.amdhsa_exception_fp_ieee_overflow 0
		.amdhsa_exception_fp_ieee_underflow 0
		.amdhsa_exception_fp_ieee_inexact 0
		.amdhsa_exception_int_div_zero 0
	.end_amdhsa_kernel
	.section	.text._ZL40rocblas_trsm_block_backward_substitutionIddPKPKdPKPdLb0ELb1ELb0EEv18rocblas_operation_llT0_T1_lllT2_lllib,"axG",@progbits,_ZL40rocblas_trsm_block_backward_substitutionIddPKPKdPKPdLb0ELb1ELb0EEv18rocblas_operation_llT0_T1_lllT2_lllib,comdat
.Lfunc_end117:
	.size	_ZL40rocblas_trsm_block_backward_substitutionIddPKPKdPKPdLb0ELb1ELb0EEv18rocblas_operation_llT0_T1_lllT2_lllib, .Lfunc_end117-_ZL40rocblas_trsm_block_backward_substitutionIddPKPKdPKPdLb0ELb1ELb0EEv18rocblas_operation_llT0_T1_lllT2_lllib
                                        ; -- End function
	.set _ZL40rocblas_trsm_block_backward_substitutionIddPKPKdPKPdLb0ELb1ELb0EEv18rocblas_operation_llT0_T1_lllT2_lllib.num_vgpr, 31
	.set _ZL40rocblas_trsm_block_backward_substitutionIddPKPKdPKPdLb0ELb1ELb0EEv18rocblas_operation_llT0_T1_lllT2_lllib.num_agpr, 0
	.set _ZL40rocblas_trsm_block_backward_substitutionIddPKPKdPKPdLb0ELb1ELb0EEv18rocblas_operation_llT0_T1_lllT2_lllib.numbered_sgpr, 46
	.set _ZL40rocblas_trsm_block_backward_substitutionIddPKPKdPKPdLb0ELb1ELb0EEv18rocblas_operation_llT0_T1_lllT2_lllib.num_named_barrier, 0
	.set _ZL40rocblas_trsm_block_backward_substitutionIddPKPKdPKPdLb0ELb1ELb0EEv18rocblas_operation_llT0_T1_lllT2_lllib.private_seg_size, 0
	.set _ZL40rocblas_trsm_block_backward_substitutionIddPKPKdPKPdLb0ELb1ELb0EEv18rocblas_operation_llT0_T1_lllT2_lllib.uses_vcc, 1
	.set _ZL40rocblas_trsm_block_backward_substitutionIddPKPKdPKPdLb0ELb1ELb0EEv18rocblas_operation_llT0_T1_lllT2_lllib.uses_flat_scratch, 0
	.set _ZL40rocblas_trsm_block_backward_substitutionIddPKPKdPKPdLb0ELb1ELb0EEv18rocblas_operation_llT0_T1_lllT2_lllib.has_dyn_sized_stack, 0
	.set _ZL40rocblas_trsm_block_backward_substitutionIddPKPKdPKPdLb0ELb1ELb0EEv18rocblas_operation_llT0_T1_lllT2_lllib.has_recursion, 0
	.set _ZL40rocblas_trsm_block_backward_substitutionIddPKPKdPKPdLb0ELb1ELb0EEv18rocblas_operation_llT0_T1_lllT2_lllib.has_indirect_call, 0
	.section	.AMDGPU.csdata,"",@progbits
; Kernel info:
; codeLenInByte = 1852
; TotalNumSgprs: 48
; NumVgprs: 31
; ScratchSize: 0
; MemoryBound: 1
; FloatMode: 240
; IeeeMode: 1
; LDSByteSize: 0 bytes/workgroup (compile time only)
; SGPRBlocks: 0
; VGPRBlocks: 3
; NumSGPRsForWavesPerEU: 48
; NumVGPRsForWavesPerEU: 31
; Occupancy: 16
; WaveLimiterHint : 1
; COMPUTE_PGM_RSRC2:SCRATCH_EN: 0
; COMPUTE_PGM_RSRC2:USER_SGPR: 2
; COMPUTE_PGM_RSRC2:TRAP_HANDLER: 0
; COMPUTE_PGM_RSRC2:TGID_X_EN: 1
; COMPUTE_PGM_RSRC2:TGID_Y_EN: 1
; COMPUTE_PGM_RSRC2:TGID_Z_EN: 1
; COMPUTE_PGM_RSRC2:TIDIG_COMP_CNT: 1
	.section	.text._ZL39rocblas_trsm_block_forward_substitutionIddPKPKdPKPdLb0ELb1ELb1EEv18rocblas_operation_llT0_T1_lllT2_lllib,"axG",@progbits,_ZL39rocblas_trsm_block_forward_substitutionIddPKPKdPKPdLb0ELb1ELb1EEv18rocblas_operation_llT0_T1_lllT2_lllib,comdat
	.globl	_ZL39rocblas_trsm_block_forward_substitutionIddPKPKdPKPdLb0ELb1ELb1EEv18rocblas_operation_llT0_T1_lllT2_lllib ; -- Begin function _ZL39rocblas_trsm_block_forward_substitutionIddPKPKdPKPdLb0ELb1ELb1EEv18rocblas_operation_llT0_T1_lllT2_lllib
	.p2align	8
	.type	_ZL39rocblas_trsm_block_forward_substitutionIddPKPKdPKPdLb0ELb1ELb1EEv18rocblas_operation_llT0_T1_lllT2_lllib,@function
_ZL39rocblas_trsm_block_forward_substitutionIddPKPKdPKPdLb0ELb1ELb1EEv18rocblas_operation_llT0_T1_lllT2_lllib: ; @_ZL39rocblas_trsm_block_forward_substitutionIddPKPKdPKPdLb0ELb1ELb1EEv18rocblas_operation_llT0_T1_lllT2_lllib
; %bb.0:
	s_load_b64 s[2:3], s[0:1], 0x60
	s_lshr_b32 s20, ttmp7, 16
	s_wait_kmcnt 0x0
	s_cmp_ge_u32 s20, s2
	s_cbranch_scc1 .LBB118_19
; %bb.1:
	s_clause 0x1
	s_load_b64 s[26:27], s[0:1], 0x50
	s_load_u16 s30, s[0:1], 0x76
	v_dual_mov_b32 v2, 0 :: v_dual_and_b32 v1, 0x3ff, v0
	s_clause 0x2
	s_load_b256 s[4:11], s[0:1], 0x8
	s_load_b128 s[16:19], s[0:1], 0x28
	s_load_b128 s[12:15], s[0:1], 0x40
	v_bfe_u32 v0, v0, 10, 10
	s_bitcmp1_b32 s3, 0
	s_add_nc_u64 s[22:23], s[0:1], 0x68
	s_cselect_b32 s1, -1, 0
	s_and_b32 s0, ttmp7, 0xffff
	s_mov_b64 s[24:25], src_shared_base
	v_lshl_add_u32 v13, v0, 3, 0
	s_mov_b32 s21, 0
	v_lshlrev_b32_e32 v15, 3, v1
	s_wait_kmcnt 0x0
	v_mad_co_u64_u32 v[5:6], null, s26, v1, 0
	v_mad_co_u64_u32 v[7:8], null, s0, s30, v[0:1]
	v_mov_b32_e32 v8, v2
	s_lshl_b32 s3, s30, 3
	v_cmp_gt_i64_e64 s0, s[4:5], v[1:2]
	s_add_co_i32 s24, s3, 0
	v_mov_b32_e32 v3, v6
	v_cmp_gt_i64_e64 s3, s[4:5], 0
	v_cmp_gt_i64_e32 vcc_lo, s[6:7], v[7:8]
	v_cmp_gt_i64_e64 s33, s[4:5], 1
	v_lshl_add_u32 v14, v1, 3, s24
	v_mad_co_u64_u32 v[3:4], null, s27, v1, v[3:4]
	s_add_nc_u64 s[6:7], s[4:5], -1
	s_and_b32 s31, vcc_lo, s0
	s_lshl_b64 s[16:17], s[16:17], 3
	s_lshl_b64 s[14:15], s[14:15], 3
	v_mov_b32_e32 v6, v3
	v_lshlrev_b64_e32 v[3:4], 3, v[7:8]
	s_delay_alu instid0(VALU_DEP_2)
	v_lshlrev_b64_e32 v[5:6], 3, v[5:6]
	s_branch .LBB118_4
.LBB118_2:                              ;   in Loop: Header=BB118_4 Depth=1
	flat_store_b64 v[7:8], v[9:10]
.LBB118_3:                              ;   in Loop: Header=BB118_4 Depth=1
	s_or_b32 exec_lo, exec_lo, s34
	s_add_co_i32 s20, s20, 0x10000
	s_delay_alu instid0(SALU_CYCLE_1)
	s_cmp_lt_u32 s20, s2
	s_cbranch_scc0 .LBB118_19
.LBB118_4:                              ; =>This Loop Header: Depth=1
                                        ;     Child Loop BB118_9 Depth 2
                                        ;     Child Loop BB118_15 Depth 2
	s_lshl_b64 s[26:27], s[20:21], 3
	s_wait_alu 0xfffe
	s_add_nc_u64 s[28:29], s[10:11], s[26:27]
	s_add_nc_u64 s[26:27], s[12:13], s[26:27]
	global_load_b64 v[9:10], v2, s[28:29]
	s_wait_loadcnt 0x1
	global_load_b64 v[7:8], v2, s[26:27]
	s_wait_loadcnt 0x1
	v_add_co_u32 v11, vcc_lo, v9, s16
	s_wait_alu 0xfffd
	v_add_co_ci_u32_e64 v12, null, s17, v10, vcc_lo
	s_and_not1_b32 vcc_lo, exec_lo, s1
	s_wait_alu 0xfffe
	s_cbranch_vccz .LBB118_6
; %bb.5:                                ;   in Loop: Header=BB118_4 Depth=1
	s_and_saveexec_b32 s34, s31
	s_cbranch_execz .LBB118_3
	s_branch .LBB118_12
.LBB118_6:                              ;   in Loop: Header=BB118_4 Depth=1
	s_and_not1_b32 vcc_lo, exec_lo, s3
	s_wait_alu 0xfffe
	s_cbranch_vccnz .LBB118_11
; %bb.7:                                ;   in Loop: Header=BB118_4 Depth=1
	v_add_co_u32 v9, vcc_lo, v11, v15
	s_wait_alu 0xfffd
	v_add_co_ci_u32_e64 v10, null, 0, v12, vcc_lo
	s_mov_b32 s26, 0
	s_branch .LBB118_9
.LBB118_8:                              ;   in Loop: Header=BB118_9 Depth=2
	s_wait_alu 0xfffe
	s_or_b32 exec_lo, exec_lo, s27
	s_add_co_i32 s26, s26, s30
	s_wait_alu 0xfffe
	s_ashr_i32 s27, s26, 31
	s_wait_alu 0xfffe
	v_cmp_le_i64_e64 s27, s[4:5], s[26:27]
	s_and_b32 vcc_lo, exec_lo, s27
	s_wait_alu 0xfffe
	s_cbranch_vccnz .LBB118_11
.LBB118_9:                              ;   Parent Loop BB118_4 Depth=1
                                        ; =>  This Inner Loop Header: Depth=2
	s_wait_alu 0xfffe
	v_add_nc_u32_e32 v11, s26, v0
	s_delay_alu instid0(VALU_DEP_1)
	v_cmp_gt_i32_e32 vcc_lo, v1, v11
	s_and_b32 s28, s0, vcc_lo
	s_wait_alu 0xfffe
	s_and_saveexec_b32 s27, s28
	s_cbranch_execz .LBB118_8
; %bb.10:                               ;   in Loop: Header=BB118_9 Depth=2
	v_ashrrev_i32_e32 v12, 31, v11
	v_mul_lo_u32 v18, s19, v11
	v_mad_co_u64_u32 v[16:17], null, s18, v11, 0
	s_load_b32 s28, s[22:23], 0xc
	v_mul_lo_u32 v12, s18, v12
	s_delay_alu instid0(VALU_DEP_1) | instskip(NEXT) | instid1(VALU_DEP_1)
	v_add3_u32 v17, v17, v12, v18
	v_lshlrev_b64_e32 v[16:17], 3, v[16:17]
	s_wait_kmcnt 0x0
	s_and_b32 s28, s28, 0xffff
	s_delay_alu instid0(VALU_DEP_1) | instskip(SKIP_1) | instid1(VALU_DEP_2)
	v_add_co_u32 v16, vcc_lo, v9, v16
	s_wait_alu 0xfffd
	v_add_co_ci_u32_e64 v17, null, v10, v17, vcc_lo
	s_wait_alu 0xfffe
	v_mul_lo_u32 v11, v11, s28
	flat_load_b64 v[16:17], v[16:17]
	v_lshl_add_u32 v11, v11, 3, v14
	s_wait_loadcnt_dscnt 0x0
	ds_store_b64 v11, v[16:17]
	s_branch .LBB118_8
.LBB118_11:                             ;   in Loop: Header=BB118_4 Depth=1
	s_load_b32 s18, s[22:23], 0xc
	v_dual_mov_b32 v11, s24 :: v_dual_mov_b32 v12, s25
	s_mov_b32 s19, s21
	s_wait_kmcnt 0x0
	s_and_b32 s18, s18, 0xffff
	s_and_saveexec_b32 s34, s31
	s_cbranch_execz .LBB118_3
.LBB118_12:                             ;   in Loop: Header=BB118_4 Depth=1
	s_wait_loadcnt 0x0
	v_add_co_u32 v7, vcc_lo, v7, s14
	s_wait_alu 0xfffd
	v_add_co_ci_u32_e64 v8, null, s15, v8, vcc_lo
	s_delay_alu instid0(VALU_DEP_2) | instskip(SKIP_1) | instid1(VALU_DEP_2)
	v_add_co_u32 v7, vcc_lo, v7, v5
	s_wait_alu 0xfffd
	v_add_co_ci_u32_e64 v8, null, v8, v6, vcc_lo
	s_delay_alu instid0(VALU_DEP_2) | instskip(SKIP_1) | instid1(VALU_DEP_2)
	v_add_co_u32 v7, vcc_lo, v7, v3
	s_wait_alu 0xfffd
	v_add_co_ci_u32_e64 v8, null, v8, v4, vcc_lo
	s_and_not1_b32 vcc_lo, exec_lo, s33
	flat_load_b64 v[9:10], v[7:8]
	s_wait_loadcnt_dscnt 0x0
	v_mul_f64_e32 v[9:10], s[8:9], v[9:10]
	s_wait_alu 0xfffe
	s_cbranch_vccnz .LBB118_2
; %bb.13:                               ;   in Loop: Header=BB118_4 Depth=1
	v_add_co_u32 v11, vcc_lo, v11, v15
	s_wait_alu 0xfffd
	v_add_co_ci_u32_e64 v12, null, 0, v12, vcc_lo
	s_lshl_b64 s[26:27], s[18:19], 3
	s_mov_b64 s[28:29], 0
	s_branch .LBB118_15
.LBB118_14:                             ;   in Loop: Header=BB118_15 Depth=2
	s_or_b32 exec_lo, exec_lo, s35
	v_add_co_u32 v11, vcc_lo, v11, s26
	s_wait_alu 0xfffd
	v_add_co_ci_u32_e64 v12, null, s27, v12, vcc_lo
	s_add_nc_u64 s[28:29], s[28:29], 1
	s_wait_alu 0xfffe
	s_cmp_eq_u64 s[6:7], s[28:29]
	s_cbranch_scc1 .LBB118_2
.LBB118_15:                             ;   Parent Loop BB118_4 Depth=1
                                        ; =>  This Inner Loop Header: Depth=2
	s_mov_b32 s35, exec_lo
	s_barrier_signal -1
	s_barrier_wait -1
	global_inv scope:SCOPE_SE
	s_wait_alu 0xfffe
	v_cmpx_eq_u64_e64 s[28:29], v[1:2]
; %bb.16:                               ;   in Loop: Header=BB118_15 Depth=2
	ds_store_b64 v13, v[9:10]
; %bb.17:                               ;   in Loop: Header=BB118_15 Depth=2
	s_or_b32 exec_lo, exec_lo, s35
	s_delay_alu instid0(SALU_CYCLE_1)
	s_mov_b32 s35, exec_lo
	s_wait_loadcnt_dscnt 0x0
	s_barrier_signal -1
	s_barrier_wait -1
	global_inv scope:SCOPE_SE
	v_cmpx_lt_u64_e64 s[28:29], v[1:2]
	s_cbranch_execz .LBB118_14
; %bb.18:                               ;   in Loop: Header=BB118_15 Depth=2
	flat_load_b64 v[16:17], v[11:12]
	ds_load_b64 v[18:19], v13
	s_wait_loadcnt_dscnt 0x0
	v_fma_f64 v[9:10], -v[16:17], v[18:19], v[9:10]
	s_branch .LBB118_14
.LBB118_19:
	s_endpgm
	.section	.rodata,"a",@progbits
	.p2align	6, 0x0
	.amdhsa_kernel _ZL39rocblas_trsm_block_forward_substitutionIddPKPKdPKPdLb0ELb1ELb1EEv18rocblas_operation_llT0_T1_lllT2_lllib
		.amdhsa_group_segment_fixed_size 0
		.amdhsa_private_segment_fixed_size 0
		.amdhsa_kernarg_size 360
		.amdhsa_user_sgpr_count 2
		.amdhsa_user_sgpr_dispatch_ptr 0
		.amdhsa_user_sgpr_queue_ptr 0
		.amdhsa_user_sgpr_kernarg_segment_ptr 1
		.amdhsa_user_sgpr_dispatch_id 0
		.amdhsa_user_sgpr_private_segment_size 0
		.amdhsa_wavefront_size32 1
		.amdhsa_uses_dynamic_stack 0
		.amdhsa_enable_private_segment 0
		.amdhsa_system_sgpr_workgroup_id_x 1
		.amdhsa_system_sgpr_workgroup_id_y 1
		.amdhsa_system_sgpr_workgroup_id_z 1
		.amdhsa_system_sgpr_workgroup_info 0
		.amdhsa_system_vgpr_workitem_id 1
		.amdhsa_next_free_vgpr 20
		.amdhsa_next_free_sgpr 36
		.amdhsa_reserve_vcc 1
		.amdhsa_float_round_mode_32 0
		.amdhsa_float_round_mode_16_64 0
		.amdhsa_float_denorm_mode_32 3
		.amdhsa_float_denorm_mode_16_64 3
		.amdhsa_fp16_overflow 0
		.amdhsa_workgroup_processor_mode 1
		.amdhsa_memory_ordered 1
		.amdhsa_forward_progress 1
		.amdhsa_inst_pref_size 8
		.amdhsa_round_robin_scheduling 0
		.amdhsa_exception_fp_ieee_invalid_op 0
		.amdhsa_exception_fp_denorm_src 0
		.amdhsa_exception_fp_ieee_div_zero 0
		.amdhsa_exception_fp_ieee_overflow 0
		.amdhsa_exception_fp_ieee_underflow 0
		.amdhsa_exception_fp_ieee_inexact 0
		.amdhsa_exception_int_div_zero 0
	.end_amdhsa_kernel
	.section	.text._ZL39rocblas_trsm_block_forward_substitutionIddPKPKdPKPdLb0ELb1ELb1EEv18rocblas_operation_llT0_T1_lllT2_lllib,"axG",@progbits,_ZL39rocblas_trsm_block_forward_substitutionIddPKPKdPKPdLb0ELb1ELb1EEv18rocblas_operation_llT0_T1_lllT2_lllib,comdat
.Lfunc_end118:
	.size	_ZL39rocblas_trsm_block_forward_substitutionIddPKPKdPKPdLb0ELb1ELb1EEv18rocblas_operation_llT0_T1_lllT2_lllib, .Lfunc_end118-_ZL39rocblas_trsm_block_forward_substitutionIddPKPKdPKPdLb0ELb1ELb1EEv18rocblas_operation_llT0_T1_lllT2_lllib
                                        ; -- End function
	.set _ZL39rocblas_trsm_block_forward_substitutionIddPKPKdPKPdLb0ELb1ELb1EEv18rocblas_operation_llT0_T1_lllT2_lllib.num_vgpr, 20
	.set _ZL39rocblas_trsm_block_forward_substitutionIddPKPKdPKPdLb0ELb1ELb1EEv18rocblas_operation_llT0_T1_lllT2_lllib.num_agpr, 0
	.set _ZL39rocblas_trsm_block_forward_substitutionIddPKPKdPKPdLb0ELb1ELb1EEv18rocblas_operation_llT0_T1_lllT2_lllib.numbered_sgpr, 36
	.set _ZL39rocblas_trsm_block_forward_substitutionIddPKPKdPKPdLb0ELb1ELb1EEv18rocblas_operation_llT0_T1_lllT2_lllib.num_named_barrier, 0
	.set _ZL39rocblas_trsm_block_forward_substitutionIddPKPKdPKPdLb0ELb1ELb1EEv18rocblas_operation_llT0_T1_lllT2_lllib.private_seg_size, 0
	.set _ZL39rocblas_trsm_block_forward_substitutionIddPKPKdPKPdLb0ELb1ELb1EEv18rocblas_operation_llT0_T1_lllT2_lllib.uses_vcc, 1
	.set _ZL39rocblas_trsm_block_forward_substitutionIddPKPKdPKPdLb0ELb1ELb1EEv18rocblas_operation_llT0_T1_lllT2_lllib.uses_flat_scratch, 0
	.set _ZL39rocblas_trsm_block_forward_substitutionIddPKPKdPKPdLb0ELb1ELb1EEv18rocblas_operation_llT0_T1_lllT2_lllib.has_dyn_sized_stack, 0
	.set _ZL39rocblas_trsm_block_forward_substitutionIddPKPKdPKPdLb0ELb1ELb1EEv18rocblas_operation_llT0_T1_lllT2_lllib.has_recursion, 0
	.set _ZL39rocblas_trsm_block_forward_substitutionIddPKPKdPKPdLb0ELb1ELb1EEv18rocblas_operation_llT0_T1_lllT2_lllib.has_indirect_call, 0
	.section	.AMDGPU.csdata,"",@progbits
; Kernel info:
; codeLenInByte = 980
; TotalNumSgprs: 38
; NumVgprs: 20
; ScratchSize: 0
; MemoryBound: 0
; FloatMode: 240
; IeeeMode: 1
; LDSByteSize: 0 bytes/workgroup (compile time only)
; SGPRBlocks: 0
; VGPRBlocks: 2
; NumSGPRsForWavesPerEU: 38
; NumVGPRsForWavesPerEU: 20
; Occupancy: 16
; WaveLimiterHint : 1
; COMPUTE_PGM_RSRC2:SCRATCH_EN: 0
; COMPUTE_PGM_RSRC2:USER_SGPR: 2
; COMPUTE_PGM_RSRC2:TRAP_HANDLER: 0
; COMPUTE_PGM_RSRC2:TGID_X_EN: 1
; COMPUTE_PGM_RSRC2:TGID_Y_EN: 1
; COMPUTE_PGM_RSRC2:TGID_Z_EN: 1
; COMPUTE_PGM_RSRC2:TIDIG_COMP_CNT: 1
	.section	.text._ZL40rocblas_trsm_block_backward_substitutionIddPKPKdPKPdLb0ELb1ELb1EEv18rocblas_operation_llT0_T1_lllT2_lllib,"axG",@progbits,_ZL40rocblas_trsm_block_backward_substitutionIddPKPKdPKPdLb0ELb1ELb1EEv18rocblas_operation_llT0_T1_lllT2_lllib,comdat
	.globl	_ZL40rocblas_trsm_block_backward_substitutionIddPKPKdPKPdLb0ELb1ELb1EEv18rocblas_operation_llT0_T1_lllT2_lllib ; -- Begin function _ZL40rocblas_trsm_block_backward_substitutionIddPKPKdPKPdLb0ELb1ELb1EEv18rocblas_operation_llT0_T1_lllT2_lllib
	.p2align	8
	.type	_ZL40rocblas_trsm_block_backward_substitutionIddPKPKdPKPdLb0ELb1ELb1EEv18rocblas_operation_llT0_T1_lllT2_lllib,@function
_ZL40rocblas_trsm_block_backward_substitutionIddPKPKdPKPdLb0ELb1ELb1EEv18rocblas_operation_llT0_T1_lllT2_lllib: ; @_ZL40rocblas_trsm_block_backward_substitutionIddPKPKdPKPdLb0ELb1ELb1EEv18rocblas_operation_llT0_T1_lllT2_lllib
; %bb.0:
	s_load_b64 s[2:3], s[0:1], 0x60
	s_lshr_b32 s20, ttmp7, 16
	s_wait_kmcnt 0x0
	s_cmp_ge_u32 s20, s2
	s_cbranch_scc1 .LBB119_19
; %bb.1:
	s_clause 0x2
	s_load_u16 s33, s[0:1], 0x76
	s_load_b128 s[12:15], s[0:1], 0x28
	s_load_b64 s[26:27], s[0:1], 0x50
	v_bfe_u32 v1, v0, 10, 10
	s_bitcmp1_b32 s3, 0
	s_add_nc_u64 s[22:23], s[0:1], 0x68
	s_cselect_b32 s3, -1, 0
	s_and_b32 s4, ttmp7, 0xffff
	s_mov_b64 s[24:25], src_shared_base
	v_lshl_add_u32 v14, v1, 3, 0
	s_mov_b32 s21, 0
	v_mov_b32_e32 v3, 0
	s_wait_kmcnt 0x0
	v_mad_co_u64_u32 v[4:5], null, s4, s33, v[1:2]
	v_and_b32_e32 v2, 0x3ff, v0
	s_clause 0x1
	s_load_b256 s[4:11], s[0:1], 0x8
	s_load_b128 s[16:19], s[0:1], 0x40
	s_lshl_b32 s1, s33, 3
	s_lshl_b64 s[12:13], s[12:13], 3
	s_add_co_i32 s24, s1, 0
	v_mad_co_u64_u32 v[6:7], null, s14, v2, 0
	v_mad_co_u64_u32 v[8:9], null, s26, v4, 0
	v_lshlrev_b32_e32 v0, 3, v2
	s_delay_alu instid0(VALU_DEP_3) | instskip(NEXT) | instid1(VALU_DEP_2)
	v_dual_mov_b32 v5, v7 :: v_dual_lshlrev_b32 v16, 3, v2
	v_add_nc_u32_e32 v15, s24, v0
	s_delay_alu instid0(VALU_DEP_4) | instskip(NEXT) | instid1(VALU_DEP_3)
	v_mov_b32_e32 v7, v9
	v_mad_co_u64_u32 v[9:10], null, s15, v2, v[5:6]
	s_delay_alu instid0(VALU_DEP_2)
	v_mad_co_u64_u32 v[10:11], null, s27, v4, v[7:8]
	v_mov_b32_e32 v5, v3
	s_wait_kmcnt 0x0
	v_cmp_gt_i64_e64 s0, s[4:5], v[2:3]
	v_cmp_gt_i64_e64 s34, s[4:5], 0
	;; [unrolled: 1-line block ×3, first 2 shown]
	v_mov_b32_e32 v7, v9
	v_cmp_gt_i64_e32 vcc_lo, s[6:7], v[4:5]
	v_mov_b32_e32 v9, v10
	s_add_nc_u64 s[26:27], s[4:5], -1
	s_lshl_b64 s[18:19], s[18:19], 3
	v_lshlrev_b64_e32 v[4:5], 3, v[6:7]
	s_wait_alu 0xfffe
	s_lshl_b64 s[6:7], s[26:27], 3
	v_lshlrev_b64_e32 v[6:7], 3, v[8:9]
	s_and_b32 s35, vcc_lo, s0
	s_branch .LBB119_4
.LBB119_2:                              ;   in Loop: Header=BB119_4 Depth=1
	flat_store_b64 v[8:9], v[10:11]
.LBB119_3:                              ;   in Loop: Header=BB119_4 Depth=1
	s_or_b32 exec_lo, exec_lo, s1
	s_add_co_i32 s20, s20, 0x10000
	s_delay_alu instid0(SALU_CYCLE_1)
	s_cmp_lt_u32 s20, s2
	s_cbranch_scc0 .LBB119_19
.LBB119_4:                              ; =>This Loop Header: Depth=1
                                        ;     Child Loop BB119_9 Depth 2
                                        ;     Child Loop BB119_15 Depth 2
	s_lshl_b64 s[28:29], s[20:21], 3
	s_wait_alu 0xfffe
	s_add_nc_u64 s[30:31], s[10:11], s[28:29]
	s_add_nc_u64 s[28:29], s[16:17], s[28:29]
	global_load_b64 v[10:11], v3, s[30:31]
	s_wait_loadcnt 0x1
	global_load_b64 v[8:9], v3, s[28:29]
	s_mov_b64 s[28:29], 1
	s_mov_b64 s[30:31], s[14:15]
	s_wait_loadcnt 0x1
	v_add_co_u32 v12, vcc_lo, v10, s12
	s_wait_alu 0xfffd
	v_add_co_ci_u32_e64 v13, null, s13, v11, vcc_lo
	s_and_not1_b32 vcc_lo, exec_lo, s3
	s_wait_alu 0xfffe
	s_cbranch_vccz .LBB119_6
; %bb.5:                                ;   in Loop: Header=BB119_4 Depth=1
	s_and_saveexec_b32 s1, s35
	s_cbranch_execz .LBB119_3
	s_branch .LBB119_12
.LBB119_6:                              ;   in Loop: Header=BB119_4 Depth=1
	s_and_not1_b32 vcc_lo, exec_lo, s34
	s_wait_alu 0xfffe
	s_cbranch_vccnz .LBB119_11
; %bb.7:                                ;   in Loop: Header=BB119_4 Depth=1
	v_add_co_u32 v12, vcc_lo, v12, v4
	s_wait_alu 0xfffd
	v_add_co_ci_u32_e64 v13, null, v13, v5, vcc_lo
	s_mov_b32 s28, 0
	s_branch .LBB119_9
.LBB119_8:                              ;   in Loop: Header=BB119_9 Depth=2
	s_or_b32 exec_lo, exec_lo, s1
	s_add_co_i32 s28, s28, s33
	s_wait_alu 0xfffe
	s_ashr_i32 s29, s28, 31
	s_wait_alu 0xfffe
	v_cmp_le_i64_e64 s1, s[4:5], s[28:29]
	s_and_b32 vcc_lo, exec_lo, s1
	s_wait_alu 0xfffe
	s_cbranch_vccnz .LBB119_11
.LBB119_9:                              ;   Parent Loop BB119_4 Depth=1
                                        ; =>  This Inner Loop Header: Depth=2
	s_wait_alu 0xfffe
	v_add_nc_u32_e32 v10, s28, v1
	s_delay_alu instid0(VALU_DEP_1) | instskip(SKIP_1) | instid1(VALU_DEP_2)
	v_ashrrev_i32_e32 v11, 31, v10
	v_cmp_lt_i32_e64 s1, v2, v10
	v_cmp_gt_i64_e32 vcc_lo, s[4:5], v[10:11]
	s_and_b32 s1, s1, vcc_lo
	s_delay_alu instid0(SALU_CYCLE_1)
	s_and_b32 s29, s0, s1
	s_wait_alu 0xfffe
	s_and_saveexec_b32 s1, s29
	s_cbranch_execz .LBB119_8
; %bb.10:                               ;   in Loop: Header=BB119_9 Depth=2
	v_lshlrev_b64_e32 v[17:18], 3, v[10:11]
	s_load_b32 s29, s[22:23], 0xc
	s_delay_alu instid0(VALU_DEP_1) | instskip(SKIP_1) | instid1(VALU_DEP_2)
	v_add_co_u32 v17, vcc_lo, v12, v17
	s_wait_alu 0xfffd
	v_add_co_ci_u32_e64 v18, null, v13, v18, vcc_lo
	flat_load_b64 v[17:18], v[17:18]
	s_wait_kmcnt 0x0
	s_and_b32 s29, s29, 0xffff
	s_wait_alu 0xfffe
	v_mul_lo_u32 v10, v10, s29
	s_delay_alu instid0(VALU_DEP_1)
	v_lshl_add_u32 v10, v10, 3, v15
	s_wait_loadcnt_dscnt 0x0
	ds_store_b64 v10, v[17:18]
	s_branch .LBB119_8
.LBB119_11:                             ;   in Loop: Header=BB119_4 Depth=1
	s_load_b32 s1, s[22:23], 0xc
	v_dual_mov_b32 v12, s24 :: v_dual_mov_b32 v13, s25
	s_mov_b32 s29, s21
	s_mov_b64 s[30:31], 1
	s_wait_kmcnt 0x0
	s_and_b32 s28, s1, 0xffff
	s_and_saveexec_b32 s1, s35
	s_cbranch_execz .LBB119_3
.LBB119_12:                             ;   in Loop: Header=BB119_4 Depth=1
	s_wait_loadcnt 0x0
	v_add_co_u32 v8, vcc_lo, v8, s18
	s_wait_alu 0xfffd
	v_add_co_ci_u32_e64 v9, null, s19, v9, vcc_lo
	s_delay_alu instid0(VALU_DEP_2) | instskip(SKIP_1) | instid1(VALU_DEP_2)
	v_add_co_u32 v8, vcc_lo, v8, v6
	s_wait_alu 0xfffd
	v_add_co_ci_u32_e64 v9, null, v9, v7, vcc_lo
	s_delay_alu instid0(VALU_DEP_2) | instskip(SKIP_1) | instid1(VALU_DEP_2)
	v_add_co_u32 v8, vcc_lo, v8, v16
	s_wait_alu 0xfffd
	v_add_co_ci_u32_e64 v9, null, 0, v9, vcc_lo
	s_and_not1_b32 vcc_lo, exec_lo, s36
	flat_load_b64 v[10:11], v[8:9]
	s_wait_loadcnt_dscnt 0x0
	v_mul_f64_e32 v[10:11], s[8:9], v[10:11]
	s_wait_alu 0xfffe
	s_cbranch_vccnz .LBB119_2
; %bb.13:                               ;   in Loop: Header=BB119_4 Depth=1
	s_mul_u64 s[38:39], s[6:7], s[28:29]
	s_lshl_b32 s28, s28, 3
	s_wait_alu 0xfffe
	v_add_co_u32 v12, vcc_lo, v12, s38
	s_wait_alu 0xfffd
	v_add_co_ci_u32_e64 v13, null, s39, v13, vcc_lo
	s_mov_b32 s29, s21
	s_wait_alu 0xfffe
	s_sub_nc_u64 s[28:29], 0, s[28:29]
	v_mad_co_u64_u32 v[12:13], null, v0, s30, v[12:13]
	s_delay_alu instid0(VALU_DEP_1)
	v_mad_co_u64_u32 v[17:18], null, v0, s31, v[13:14]
	s_mov_b64 s[30:31], s[26:27]
	v_mov_b32_e32 v13, v17
	s_branch .LBB119_15
.LBB119_14:                             ;   in Loop: Header=BB119_15 Depth=2
	s_or_b32 exec_lo, exec_lo, s37
	s_add_nc_u64 s[38:39], s[30:31], 1
	v_add_co_u32 v12, vcc_lo, v12, s28
	s_wait_alu 0xfffe
	v_cmp_lt_u64_e64 s37, s[38:39], 3
	s_wait_alu 0xfffd
	v_add_co_ci_u32_e64 v13, null, s29, v13, vcc_lo
	s_add_nc_u64 s[30:31], s[30:31], -1
	s_and_b32 vcc_lo, exec_lo, s37
	s_wait_alu 0xfffe
	s_cbranch_vccnz .LBB119_2
.LBB119_15:                             ;   Parent Loop BB119_4 Depth=1
                                        ; =>  This Inner Loop Header: Depth=2
	s_mov_b32 s37, exec_lo
	s_barrier_signal -1
	s_barrier_wait -1
	global_inv scope:SCOPE_SE
	s_wait_alu 0xfffe
	v_cmpx_eq_u64_e64 s[30:31], v[2:3]
; %bb.16:                               ;   in Loop: Header=BB119_15 Depth=2
	ds_store_b64 v14, v[10:11]
; %bb.17:                               ;   in Loop: Header=BB119_15 Depth=2
	s_or_b32 exec_lo, exec_lo, s37
	s_delay_alu instid0(SALU_CYCLE_1)
	s_mov_b32 s37, exec_lo
	s_wait_loadcnt_dscnt 0x0
	s_barrier_signal -1
	s_barrier_wait -1
	global_inv scope:SCOPE_SE
	v_cmpx_gt_i64_e64 s[30:31], v[2:3]
	s_cbranch_execz .LBB119_14
; %bb.18:                               ;   in Loop: Header=BB119_15 Depth=2
	flat_load_b64 v[17:18], v[12:13]
	ds_load_b64 v[19:20], v14
	s_wait_loadcnt_dscnt 0x0
	v_fma_f64 v[10:11], -v[17:18], v[19:20], v[10:11]
	s_branch .LBB119_14
.LBB119_19:
	s_endpgm
	.section	.rodata,"a",@progbits
	.p2align	6, 0x0
	.amdhsa_kernel _ZL40rocblas_trsm_block_backward_substitutionIddPKPKdPKPdLb0ELb1ELb1EEv18rocblas_operation_llT0_T1_lllT2_lllib
		.amdhsa_group_segment_fixed_size 0
		.amdhsa_private_segment_fixed_size 0
		.amdhsa_kernarg_size 360
		.amdhsa_user_sgpr_count 2
		.amdhsa_user_sgpr_dispatch_ptr 0
		.amdhsa_user_sgpr_queue_ptr 0
		.amdhsa_user_sgpr_kernarg_segment_ptr 1
		.amdhsa_user_sgpr_dispatch_id 0
		.amdhsa_user_sgpr_private_segment_size 0
		.amdhsa_wavefront_size32 1
		.amdhsa_uses_dynamic_stack 0
		.amdhsa_enable_private_segment 0
		.amdhsa_system_sgpr_workgroup_id_x 1
		.amdhsa_system_sgpr_workgroup_id_y 1
		.amdhsa_system_sgpr_workgroup_id_z 1
		.amdhsa_system_sgpr_workgroup_info 0
		.amdhsa_system_vgpr_workitem_id 1
		.amdhsa_next_free_vgpr 21
		.amdhsa_next_free_sgpr 40
		.amdhsa_reserve_vcc 1
		.amdhsa_float_round_mode_32 0
		.amdhsa_float_round_mode_16_64 0
		.amdhsa_float_denorm_mode_32 3
		.amdhsa_float_denorm_mode_16_64 3
		.amdhsa_fp16_overflow 0
		.amdhsa_workgroup_processor_mode 1
		.amdhsa_memory_ordered 1
		.amdhsa_forward_progress 1
		.amdhsa_inst_pref_size 9
		.amdhsa_round_robin_scheduling 0
		.amdhsa_exception_fp_ieee_invalid_op 0
		.amdhsa_exception_fp_denorm_src 0
		.amdhsa_exception_fp_ieee_div_zero 0
		.amdhsa_exception_fp_ieee_overflow 0
		.amdhsa_exception_fp_ieee_underflow 0
		.amdhsa_exception_fp_ieee_inexact 0
		.amdhsa_exception_int_div_zero 0
	.end_amdhsa_kernel
	.section	.text._ZL40rocblas_trsm_block_backward_substitutionIddPKPKdPKPdLb0ELb1ELb1EEv18rocblas_operation_llT0_T1_lllT2_lllib,"axG",@progbits,_ZL40rocblas_trsm_block_backward_substitutionIddPKPKdPKPdLb0ELb1ELb1EEv18rocblas_operation_llT0_T1_lllT2_lllib,comdat
.Lfunc_end119:
	.size	_ZL40rocblas_trsm_block_backward_substitutionIddPKPKdPKPdLb0ELb1ELb1EEv18rocblas_operation_llT0_T1_lllT2_lllib, .Lfunc_end119-_ZL40rocblas_trsm_block_backward_substitutionIddPKPKdPKPdLb0ELb1ELb1EEv18rocblas_operation_llT0_T1_lllT2_lllib
                                        ; -- End function
	.set _ZL40rocblas_trsm_block_backward_substitutionIddPKPKdPKPdLb0ELb1ELb1EEv18rocblas_operation_llT0_T1_lllT2_lllib.num_vgpr, 21
	.set _ZL40rocblas_trsm_block_backward_substitutionIddPKPKdPKPdLb0ELb1ELb1EEv18rocblas_operation_llT0_T1_lllT2_lllib.num_agpr, 0
	.set _ZL40rocblas_trsm_block_backward_substitutionIddPKPKdPKPdLb0ELb1ELb1EEv18rocblas_operation_llT0_T1_lllT2_lllib.numbered_sgpr, 40
	.set _ZL40rocblas_trsm_block_backward_substitutionIddPKPKdPKPdLb0ELb1ELb1EEv18rocblas_operation_llT0_T1_lllT2_lllib.num_named_barrier, 0
	.set _ZL40rocblas_trsm_block_backward_substitutionIddPKPKdPKPdLb0ELb1ELb1EEv18rocblas_operation_llT0_T1_lllT2_lllib.private_seg_size, 0
	.set _ZL40rocblas_trsm_block_backward_substitutionIddPKPKdPKPdLb0ELb1ELb1EEv18rocblas_operation_llT0_T1_lllT2_lllib.uses_vcc, 1
	.set _ZL40rocblas_trsm_block_backward_substitutionIddPKPKdPKPdLb0ELb1ELb1EEv18rocblas_operation_llT0_T1_lllT2_lllib.uses_flat_scratch, 0
	.set _ZL40rocblas_trsm_block_backward_substitutionIddPKPKdPKPdLb0ELb1ELb1EEv18rocblas_operation_llT0_T1_lllT2_lllib.has_dyn_sized_stack, 0
	.set _ZL40rocblas_trsm_block_backward_substitutionIddPKPKdPKPdLb0ELb1ELb1EEv18rocblas_operation_llT0_T1_lllT2_lllib.has_recursion, 0
	.set _ZL40rocblas_trsm_block_backward_substitutionIddPKPKdPKPdLb0ELb1ELb1EEv18rocblas_operation_llT0_T1_lllT2_lllib.has_indirect_call, 0
	.section	.AMDGPU.csdata,"",@progbits
; Kernel info:
; codeLenInByte = 1076
; TotalNumSgprs: 42
; NumVgprs: 21
; ScratchSize: 0
; MemoryBound: 0
; FloatMode: 240
; IeeeMode: 1
; LDSByteSize: 0 bytes/workgroup (compile time only)
; SGPRBlocks: 0
; VGPRBlocks: 2
; NumSGPRsForWavesPerEU: 42
; NumVGPRsForWavesPerEU: 21
; Occupancy: 16
; WaveLimiterHint : 1
; COMPUTE_PGM_RSRC2:SCRATCH_EN: 0
; COMPUTE_PGM_RSRC2:USER_SGPR: 2
; COMPUTE_PGM_RSRC2:TRAP_HANDLER: 0
; COMPUTE_PGM_RSRC2:TGID_X_EN: 1
; COMPUTE_PGM_RSRC2:TGID_Y_EN: 1
; COMPUTE_PGM_RSRC2:TGID_Z_EN: 1
; COMPUTE_PGM_RSRC2:TIDIG_COMP_CNT: 1
	.section	.text._ZL39rocblas_trsm_block_forward_substitutionIddPKPKdPKPdLb1ELb1ELb0EEv18rocblas_operation_llT0_T1_lllT2_lllib,"axG",@progbits,_ZL39rocblas_trsm_block_forward_substitutionIddPKPKdPKPdLb1ELb1ELb0EEv18rocblas_operation_llT0_T1_lllT2_lllib,comdat
	.globl	_ZL39rocblas_trsm_block_forward_substitutionIddPKPKdPKPdLb1ELb1ELb0EEv18rocblas_operation_llT0_T1_lllT2_lllib ; -- Begin function _ZL39rocblas_trsm_block_forward_substitutionIddPKPKdPKPdLb1ELb1ELb0EEv18rocblas_operation_llT0_T1_lllT2_lllib
	.p2align	8
	.type	_ZL39rocblas_trsm_block_forward_substitutionIddPKPKdPKPdLb1ELb1ELb0EEv18rocblas_operation_llT0_T1_lllT2_lllib,@function
_ZL39rocblas_trsm_block_forward_substitutionIddPKPKdPKPdLb1ELb1ELb0EEv18rocblas_operation_llT0_T1_lllT2_lllib: ; @_ZL39rocblas_trsm_block_forward_substitutionIddPKPKdPKPdLb1ELb1ELb0EEv18rocblas_operation_llT0_T1_lllT2_lllib
; %bb.0:
	s_load_b64 s[20:21], s[0:1], 0x60
	s_lshr_b32 s22, ttmp7, 16
	s_wait_kmcnt 0x0
	s_cmp_ge_u32 s22, s20
	s_cbranch_scc1 .LBB120_27
; %bb.1:
	s_clause 0x4
	s_load_b64 s[2:3], s[0:1], 0x50
	s_load_u16 s33, s[0:1], 0x76
	s_load_b256 s[4:11], s[0:1], 0x8
	s_load_b128 s[16:19], s[0:1], 0x28
	s_load_b128 s[12:15], s[0:1], 0x40
	v_dual_mov_b32 v2, 0 :: v_dual_and_b32 v1, 0x3ff, v0
	v_bfe_u32 v0, v0, 10, 10
	s_bitcmp1_b32 s21, 0
	s_add_nc_u64 s[24:25], s[0:1], 0x68
	s_cselect_b32 s0, -1, 0
	s_and_b32 s1, ttmp7, 0xffff
	s_mov_b64 s[26:27], src_shared_base
	v_lshl_add_u32 v17, v0, 3, 0
	s_mov_b32 s23, 0
	s_mov_b64 s[28:29], 1
	s_wait_kmcnt 0x0
	v_mad_co_u64_u32 v[5:6], null, s2, v1, 0
	v_mad_co_u64_u32 v[7:8], null, s1, s33, v[0:1]
	s_lshl_b32 s1, s33, 3
	v_cmp_le_i64_e32 vcc_lo, s[4:5], v[1:2]
	v_cmp_gt_i64_e64 s2, s[4:5], v[1:2]
	s_add_nc_u64 s[30:31], s[4:5], -1
	v_dual_mov_b32 v3, v6 :: v_dual_mov_b32 v8, v2
	s_wait_alu 0xfffe
	s_add_co_i32 s26, s1, 0
	v_cmp_gt_i64_e64 s21, s[4:5], 0
	v_cmp_eq_u64_e64 s1, s[30:31], v[1:2]
	v_mad_co_u64_u32 v[3:4], null, s3, v1, v[3:4]
	v_cmp_gt_i64_e64 s3, s[6:7], v[7:8]
	v_cmp_gt_i64_e64 s35, s[4:5], 1
	v_lshl_add_u32 v18, v1, 3, s26
	s_lshl_b64 s[6:7], s[14:15], 3
	s_xor_b32 s36, vcc_lo, -1
	s_and_b32 s34, s3, s2
	v_mov_b32_e32 v6, v3
	v_lshlrev_b64_e32 v[3:4], 3, v[7:8]
	s_lshl_b64 s[2:3], s[16:17], 3
	s_delay_alu instid0(VALU_DEP_2)
	v_lshlrev_b64_e32 v[5:6], 3, v[5:6]
	s_branch .LBB120_4
.LBB120_2:                              ;   in Loop: Header=BB120_4 Depth=1
	s_wait_alu 0xfffe
	s_or_b32 exec_lo, exec_lo, s14
	flat_store_b64 v[9:10], v[11:12]
.LBB120_3:                              ;   in Loop: Header=BB120_4 Depth=1
	s_or_b32 exec_lo, exec_lo, s37
	s_add_co_i32 s22, s22, 0x10000
	s_delay_alu instid0(SALU_CYCLE_1)
	s_cmp_lt_u32 s22, s20
	s_cbranch_scc0 .LBB120_27
.LBB120_4:                              ; =>This Loop Header: Depth=1
                                        ;     Child Loop BB120_9 Depth 2
                                        ;     Child Loop BB120_21 Depth 2
	s_lshl_b64 s[14:15], s[22:23], 3
	s_wait_alu 0xfffe
	s_add_nc_u64 s[16:17], s[10:11], s[14:15]
	s_add_nc_u64 s[14:15], s[12:13], s[14:15]
	global_load_b64 v[7:8], v2, s[16:17]
	s_wait_loadcnt 0x1
	global_load_b64 v[9:10], v2, s[14:15]
	s_wait_loadcnt 0x1
	v_add_co_u32 v7, vcc_lo, v7, s2
	s_wait_alu 0xfffd
	v_add_co_ci_u32_e64 v8, null, s3, v8, vcc_lo
	s_and_not1_b32 vcc_lo, exec_lo, s0
	s_wait_alu 0xfffe
	s_cbranch_vccz .LBB120_6
; %bb.5:                                ;   in Loop: Header=BB120_4 Depth=1
	s_and_saveexec_b32 s37, s34
	s_cbranch_execz .LBB120_3
	s_branch .LBB120_18
.LBB120_6:                              ;   in Loop: Header=BB120_4 Depth=1
	s_and_not1_b32 vcc_lo, exec_lo, s21
	s_wait_alu 0xfffe
	s_cbranch_vccnz .LBB120_17
; %bb.7:                                ;   in Loop: Header=BB120_4 Depth=1
	s_wait_dscnt 0x0
	v_mad_co_u64_u32 v[11:12], null, s18, v1, 0
	v_mul_hi_u32_u24_e32 v14, s28, v1
	s_mov_b32 s14, s33
	s_delay_alu instid0(VALU_DEP_2) | instskip(SKIP_1) | instid1(VALU_DEP_1)
	v_mad_co_u64_u32 v[12:13], null, s19, v1, v[12:13]
	v_mul_u32_u24_e32 v13, s28, v1
	v_lshlrev_b64_e32 v[15:16], 3, v[13:14]
	s_delay_alu instid0(VALU_DEP_3) | instskip(NEXT) | instid1(VALU_DEP_1)
	v_lshlrev_b64_e32 v[11:12], 3, v[11:12]
	v_add_co_u32 v13, vcc_lo, v7, v11
	s_wait_alu 0xfffd
	s_delay_alu instid0(VALU_DEP_2) | instskip(NEXT) | instid1(VALU_DEP_2)
	v_add_co_ci_u32_e64 v14, null, v8, v12, vcc_lo
	v_add_co_u32 v7, vcc_lo, v13, v15
	s_wait_alu 0xfffd
	s_delay_alu instid0(VALU_DEP_2)
	v_add_co_ci_u32_e64 v8, null, v14, v16, vcc_lo
	v_mov_b32_e32 v15, v0
	s_branch .LBB120_9
.LBB120_8:                              ;   in Loop: Header=BB120_9 Depth=2
	s_wait_alu 0xfffe
	s_or_b32 exec_lo, exec_lo, s16
	s_ashr_i32 s15, s14, 31
	v_add_nc_u32_e32 v15, s33, v15
	s_wait_alu 0xfffe
	v_cmp_le_i64_e64 s15, s[4:5], s[14:15]
	s_add_co_i32 s14, s14, s33
	s_and_b32 vcc_lo, exec_lo, s15
	s_wait_alu 0xfffe
	s_cbranch_vccnz .LBB120_17
.LBB120_9:                              ;   Parent Loop BB120_4 Depth=1
                                        ; =>  This Inner Loop Header: Depth=2
	s_delay_alu instid0(VALU_DEP_1)
	v_cmp_gt_i32_e32 vcc_lo, v1, v15
	s_mov_b32 s15, 0
                                        ; implicit-def: $vgpr11_vgpr12
	s_and_b32 s16, s36, vcc_lo
	s_wait_alu 0xfffe
	s_and_saveexec_b32 s17, s16
	s_wait_alu 0xfffe
	s_xor_b32 s16, exec_lo, s17
	s_cbranch_execnz .LBB120_12
; %bb.10:                               ;   in Loop: Header=BB120_9 Depth=2
	s_wait_alu 0xfffe
	s_or_saveexec_b32 s16, s16
	v_mov_b32_e32 v16, v15
	s_wait_alu 0xfffe
	s_xor_b32 exec_lo, exec_lo, s16
	s_cbranch_execnz .LBB120_13
.LBB120_11:                             ;   in Loop: Header=BB120_9 Depth=2
	s_or_b32 exec_lo, exec_lo, s16
	s_wait_alu 0xfffe
	s_and_saveexec_b32 s16, s15
	s_cbranch_execz .LBB120_8
	s_branch .LBB120_16
.LBB120_12:                             ;   in Loop: Header=BB120_9 Depth=2
	v_ashrrev_i32_e32 v16, 31, v15
	v_mul_lo_u32 v19, s29, v15
	s_wait_loadcnt_dscnt 0x0
	v_mad_co_u64_u32 v[11:12], null, s28, v15, 0
	s_mov_b32 s15, exec_lo
	v_mul_lo_u32 v16, s28, v16
	s_delay_alu instid0(VALU_DEP_1) | instskip(NEXT) | instid1(VALU_DEP_1)
	v_add3_u32 v12, v12, v16, v19
	v_lshlrev_b64_e32 v[11:12], 3, v[11:12]
	s_delay_alu instid0(VALU_DEP_1) | instskip(SKIP_1) | instid1(VALU_DEP_2)
	v_add_co_u32 v11, vcc_lo, v13, v11
	s_wait_alu 0xfffd
	v_add_co_ci_u32_e64 v12, null, v14, v12, vcc_lo
	flat_load_b64 v[11:12], v[11:12]
	s_wait_alu 0xfffe
	s_or_saveexec_b32 s16, s16
	v_mov_b32_e32 v16, v15
	s_wait_alu 0xfffe
	s_xor_b32 exec_lo, exec_lo, s16
	s_cbranch_execz .LBB120_11
.LBB120_13:                             ;   in Loop: Header=BB120_9 Depth=2
	v_cmp_eq_u32_e32 vcc_lo, v1, v15
	s_wait_alu 0xfffe
	s_mov_b32 s18, s15
                                        ; implicit-def: $vgpr11_vgpr12
	s_and_b32 s19, s36, vcc_lo
	s_wait_alu 0xfffe
	s_and_saveexec_b32 s17, s19
	s_cbranch_execz .LBB120_15
; %bb.14:                               ;   in Loop: Header=BB120_9 Depth=2
	s_wait_loadcnt_dscnt 0x0
	flat_load_b64 v[11:12], v[7:8]
	s_or_b32 s18, s15, exec_lo
	s_wait_loadcnt_dscnt 0x0
	v_div_scale_f64 v[19:20], null, v[11:12], v[11:12], 1.0
	s_delay_alu instid0(VALU_DEP_1) | instskip(NEXT) | instid1(TRANS32_DEP_1)
	v_rcp_f64_e32 v[21:22], v[19:20]
	v_fma_f64 v[23:24], -v[19:20], v[21:22], 1.0
	s_delay_alu instid0(VALU_DEP_1) | instskip(NEXT) | instid1(VALU_DEP_1)
	v_fma_f64 v[21:22], v[21:22], v[23:24], v[21:22]
	v_fma_f64 v[23:24], -v[19:20], v[21:22], 1.0
	s_delay_alu instid0(VALU_DEP_1) | instskip(SKIP_1) | instid1(VALU_DEP_1)
	v_fma_f64 v[21:22], v[21:22], v[23:24], v[21:22]
	v_div_scale_f64 v[23:24], vcc_lo, 1.0, v[11:12], 1.0
	v_mul_f64_e32 v[25:26], v[23:24], v[21:22]
	s_delay_alu instid0(VALU_DEP_1) | instskip(SKIP_1) | instid1(VALU_DEP_1)
	v_fma_f64 v[19:20], -v[19:20], v[25:26], v[23:24]
	s_wait_alu 0xfffd
	v_div_fmas_f64 v[19:20], v[19:20], v[21:22], v[25:26]
	s_delay_alu instid0(VALU_DEP_1)
	v_div_fixup_f64 v[11:12], v[19:20], v[11:12], 1.0
.LBB120_15:                             ;   in Loop: Header=BB120_9 Depth=2
	s_wait_alu 0xfffe
	s_or_b32 exec_lo, exec_lo, s17
	v_mov_b32_e32 v16, v1
	s_and_not1_b32 s15, s15, exec_lo
	s_and_b32 s17, s18, exec_lo
	s_wait_alu 0xfffe
	s_or_b32 s15, s15, s17
	s_or_b32 exec_lo, exec_lo, s16
	s_wait_alu 0xfffe
	s_and_saveexec_b32 s16, s15
	s_cbranch_execz .LBB120_8
.LBB120_16:                             ;   in Loop: Header=BB120_9 Depth=2
	s_load_b32 s15, s[24:25], 0xc
	s_wait_kmcnt 0x0
	s_and_b32 s15, s15, 0xffff
	s_wait_alu 0xfffe
	v_mul_lo_u32 v16, v16, s15
	s_delay_alu instid0(VALU_DEP_1)
	v_lshl_add_u32 v16, v16, 3, v18
	s_wait_loadcnt_dscnt 0x0
	ds_store_b64 v16, v[11:12]
	s_branch .LBB120_8
.LBB120_17:                             ;   in Loop: Header=BB120_4 Depth=1
	s_load_b32 s14, s[24:25], 0xc
	v_dual_mov_b32 v7, s26 :: v_dual_mov_b32 v8, s27
	s_mov_b32 s29, s23
	s_mov_b64 s[18:19], 1
	s_wait_kmcnt 0x0
	s_and_b32 s28, s14, 0xffff
	s_and_saveexec_b32 s37, s34
	s_cbranch_execz .LBB120_3
.LBB120_18:                             ;   in Loop: Header=BB120_4 Depth=1
	s_wait_loadcnt 0x0
	v_add_co_u32 v9, vcc_lo, v9, s6
	s_wait_alu 0xfffd
	v_add_co_ci_u32_e64 v10, null, s7, v10, vcc_lo
	s_delay_alu instid0(VALU_DEP_2) | instskip(SKIP_1) | instid1(VALU_DEP_2)
	v_add_co_u32 v9, vcc_lo, v9, v5
	s_wait_alu 0xfffd
	v_add_co_ci_u32_e64 v10, null, v10, v6, vcc_lo
	s_delay_alu instid0(VALU_DEP_2) | instskip(SKIP_1) | instid1(VALU_DEP_2)
	v_add_co_u32 v9, vcc_lo, v9, v3
	s_wait_alu 0xfffd
	v_add_co_ci_u32_e64 v10, null, v10, v4, vcc_lo
	s_and_not1_b32 vcc_lo, exec_lo, s35
	s_wait_dscnt 0x0
	flat_load_b64 v[11:12], v[9:10]
	s_wait_loadcnt_dscnt 0x0
	v_mul_f64_e32 v[11:12], s[8:9], v[11:12]
	s_wait_alu 0xfffe
	s_cbranch_vccnz .LBB120_25
; %bb.19:                               ;   in Loop: Header=BB120_4 Depth=1
	s_add_nc_u64 s[14:15], s[28:29], s[18:19]
	v_mad_co_u64_u32 v[15:16], null, s18, v1, 0
	s_wait_alu 0xfffe
	v_mad_co_u64_u32 v[13:14], null, s14, v1, 0
	s_mov_b64 s[16:17], 0
	v_mad_co_u64_u32 v[19:20], null, s15, v1, v[14:15]
	v_mad_co_u64_u32 v[20:21], null, s19, v1, v[16:17]
	s_lshl_b64 s[14:15], s[28:29], 3
	v_mov_b32_e32 v14, v19
	v_mov_b32_e32 v16, v20
	s_delay_alu instid0(VALU_DEP_2) | instskip(NEXT) | instid1(VALU_DEP_2)
	v_lshlrev_b64_e32 v[13:14], 3, v[13:14]
	v_lshlrev_b64_e32 v[15:16], 3, v[15:16]
	s_delay_alu instid0(VALU_DEP_2) | instskip(SKIP_1) | instid1(VALU_DEP_3)
	v_add_co_u32 v13, vcc_lo, v7, v13
	s_wait_alu 0xfffd
	v_add_co_ci_u32_e64 v14, null, v8, v14, vcc_lo
	s_delay_alu instid0(VALU_DEP_3)
	v_add_co_u32 v15, vcc_lo, v7, v15
	s_wait_alu 0xfffd
	v_add_co_ci_u32_e64 v16, null, v8, v16, vcc_lo
	s_branch .LBB120_21
.LBB120_20:                             ;   in Loop: Header=BB120_21 Depth=2
	s_or_b32 exec_lo, exec_lo, s38
	s_wait_alu 0xfffe
	v_add_co_u32 v15, vcc_lo, v15, s14
	s_wait_alu 0xfffd
	v_add_co_ci_u32_e64 v16, null, s15, v16, vcc_lo
	s_add_nc_u64 s[16:17], s[16:17], 1
	s_wait_alu 0xfffe
	s_cmp_eq_u64 s[30:31], s[16:17]
	s_cbranch_scc1 .LBB120_25
.LBB120_21:                             ;   Parent Loop BB120_4 Depth=1
                                        ; =>  This Inner Loop Header: Depth=2
	s_mov_b32 s38, exec_lo
	s_barrier_signal -1
	s_barrier_wait -1
	global_inv scope:SCOPE_SE
	s_wait_alu 0xfffe
	v_cmpx_eq_u64_e64 s[16:17], v[1:2]
	s_cbranch_execz .LBB120_23
; %bb.22:                               ;   in Loop: Header=BB120_21 Depth=2
	flat_load_b64 v[19:20], v[13:14]
	s_wait_loadcnt_dscnt 0x0
	v_div_scale_f64 v[21:22], null, v[19:20], v[19:20], 1.0
	v_div_scale_f64 v[27:28], vcc_lo, 1.0, v[19:20], 1.0
	s_delay_alu instid0(VALU_DEP_2) | instskip(NEXT) | instid1(TRANS32_DEP_1)
	v_rcp_f64_e32 v[23:24], v[21:22]
	v_fma_f64 v[25:26], -v[21:22], v[23:24], 1.0
	s_delay_alu instid0(VALU_DEP_1) | instskip(NEXT) | instid1(VALU_DEP_1)
	v_fma_f64 v[23:24], v[23:24], v[25:26], v[23:24]
	v_fma_f64 v[25:26], -v[21:22], v[23:24], 1.0
	s_delay_alu instid0(VALU_DEP_1) | instskip(NEXT) | instid1(VALU_DEP_1)
	v_fma_f64 v[23:24], v[23:24], v[25:26], v[23:24]
	v_mul_f64_e32 v[25:26], v[27:28], v[23:24]
	s_delay_alu instid0(VALU_DEP_1) | instskip(SKIP_1) | instid1(VALU_DEP_1)
	v_fma_f64 v[21:22], -v[21:22], v[25:26], v[27:28]
	s_wait_alu 0xfffd
	v_div_fmas_f64 v[21:22], v[21:22], v[23:24], v[25:26]
	s_delay_alu instid0(VALU_DEP_1) | instskip(NEXT) | instid1(VALU_DEP_1)
	v_div_fixup_f64 v[21:22], v[21:22], v[19:20], 1.0
	v_cndmask_b32_e64 v20, v22, v20, s0
	s_delay_alu instid0(VALU_DEP_2) | instskip(NEXT) | instid1(VALU_DEP_1)
	v_cndmask_b32_e64 v19, v21, v19, s0
	v_mul_f64_e32 v[11:12], v[11:12], v[19:20]
	ds_store_b64 v17, v[11:12]
.LBB120_23:                             ;   in Loop: Header=BB120_21 Depth=2
	s_or_b32 exec_lo, exec_lo, s38
	s_delay_alu instid0(SALU_CYCLE_1)
	s_mov_b32 s38, exec_lo
	s_wait_loadcnt_dscnt 0x0
	s_barrier_signal -1
	s_barrier_wait -1
	global_inv scope:SCOPE_SE
	v_cmpx_lt_u64_e64 s[16:17], v[1:2]
	s_cbranch_execz .LBB120_20
; %bb.24:                               ;   in Loop: Header=BB120_21 Depth=2
	flat_load_b64 v[19:20], v[15:16]
	ds_load_b64 v[21:22], v17
	s_wait_loadcnt_dscnt 0x0
	v_fma_f64 v[11:12], -v[19:20], v[21:22], v[11:12]
	s_branch .LBB120_20
.LBB120_25:                             ;   in Loop: Header=BB120_4 Depth=1
	s_and_saveexec_b32 s14, s1
	s_cbranch_execz .LBB120_2
; %bb.26:                               ;   in Loop: Header=BB120_4 Depth=1
	s_add_nc_u64 s[16:17], s[28:29], s[18:19]
	s_wait_alu 0xfffe
	v_mad_co_u64_u32 v[13:14], null, s16, v1, 0
	s_delay_alu instid0(VALU_DEP_1) | instskip(NEXT) | instid1(VALU_DEP_1)
	v_mad_co_u64_u32 v[14:15], null, s17, v1, v[14:15]
	v_lshlrev_b64_e32 v[13:14], 3, v[13:14]
	s_delay_alu instid0(VALU_DEP_1) | instskip(SKIP_1) | instid1(VALU_DEP_2)
	v_add_co_u32 v7, vcc_lo, v7, v13
	s_wait_alu 0xfffd
	v_add_co_ci_u32_e64 v8, null, v8, v14, vcc_lo
	flat_load_b64 v[7:8], v[7:8]
	s_wait_loadcnt_dscnt 0x0
	v_div_scale_f64 v[13:14], null, v[7:8], v[7:8], 1.0
	v_div_scale_f64 v[21:22], vcc_lo, 1.0, v[7:8], 1.0
	s_delay_alu instid0(VALU_DEP_2) | instskip(NEXT) | instid1(TRANS32_DEP_1)
	v_rcp_f64_e32 v[15:16], v[13:14]
	v_fma_f64 v[19:20], -v[13:14], v[15:16], 1.0
	s_delay_alu instid0(VALU_DEP_1) | instskip(NEXT) | instid1(VALU_DEP_1)
	v_fma_f64 v[15:16], v[15:16], v[19:20], v[15:16]
	v_fma_f64 v[19:20], -v[13:14], v[15:16], 1.0
	s_delay_alu instid0(VALU_DEP_1) | instskip(NEXT) | instid1(VALU_DEP_1)
	v_fma_f64 v[15:16], v[15:16], v[19:20], v[15:16]
	v_mul_f64_e32 v[19:20], v[21:22], v[15:16]
	s_delay_alu instid0(VALU_DEP_1) | instskip(SKIP_1) | instid1(VALU_DEP_1)
	v_fma_f64 v[13:14], -v[13:14], v[19:20], v[21:22]
	s_wait_alu 0xfffd
	v_div_fmas_f64 v[13:14], v[13:14], v[15:16], v[19:20]
	s_delay_alu instid0(VALU_DEP_1) | instskip(NEXT) | instid1(VALU_DEP_1)
	v_div_fixup_f64 v[13:14], v[13:14], v[7:8], 1.0
	v_cndmask_b32_e64 v8, v14, v8, s0
	s_delay_alu instid0(VALU_DEP_2) | instskip(NEXT) | instid1(VALU_DEP_1)
	v_cndmask_b32_e64 v7, v13, v7, s0
	v_mul_f64_e32 v[11:12], v[11:12], v[7:8]
	s_branch .LBB120_2
.LBB120_27:
	s_endpgm
	.section	.rodata,"a",@progbits
	.p2align	6, 0x0
	.amdhsa_kernel _ZL39rocblas_trsm_block_forward_substitutionIddPKPKdPKPdLb1ELb1ELb0EEv18rocblas_operation_llT0_T1_lllT2_lllib
		.amdhsa_group_segment_fixed_size 0
		.amdhsa_private_segment_fixed_size 0
		.amdhsa_kernarg_size 360
		.amdhsa_user_sgpr_count 2
		.amdhsa_user_sgpr_dispatch_ptr 0
		.amdhsa_user_sgpr_queue_ptr 0
		.amdhsa_user_sgpr_kernarg_segment_ptr 1
		.amdhsa_user_sgpr_dispatch_id 0
		.amdhsa_user_sgpr_private_segment_size 0
		.amdhsa_wavefront_size32 1
		.amdhsa_uses_dynamic_stack 0
		.amdhsa_enable_private_segment 0
		.amdhsa_system_sgpr_workgroup_id_x 1
		.amdhsa_system_sgpr_workgroup_id_y 1
		.amdhsa_system_sgpr_workgroup_id_z 1
		.amdhsa_system_sgpr_workgroup_info 0
		.amdhsa_system_vgpr_workitem_id 1
		.amdhsa_next_free_vgpr 29
		.amdhsa_next_free_sgpr 39
		.amdhsa_reserve_vcc 1
		.amdhsa_float_round_mode_32 0
		.amdhsa_float_round_mode_16_64 0
		.amdhsa_float_denorm_mode_32 3
		.amdhsa_float_denorm_mode_16_64 3
		.amdhsa_fp16_overflow 0
		.amdhsa_workgroup_processor_mode 1
		.amdhsa_memory_ordered 1
		.amdhsa_forward_progress 1
		.amdhsa_inst_pref_size 15
		.amdhsa_round_robin_scheduling 0
		.amdhsa_exception_fp_ieee_invalid_op 0
		.amdhsa_exception_fp_denorm_src 0
		.amdhsa_exception_fp_ieee_div_zero 0
		.amdhsa_exception_fp_ieee_overflow 0
		.amdhsa_exception_fp_ieee_underflow 0
		.amdhsa_exception_fp_ieee_inexact 0
		.amdhsa_exception_int_div_zero 0
	.end_amdhsa_kernel
	.section	.text._ZL39rocblas_trsm_block_forward_substitutionIddPKPKdPKPdLb1ELb1ELb0EEv18rocblas_operation_llT0_T1_lllT2_lllib,"axG",@progbits,_ZL39rocblas_trsm_block_forward_substitutionIddPKPKdPKPdLb1ELb1ELb0EEv18rocblas_operation_llT0_T1_lllT2_lllib,comdat
.Lfunc_end120:
	.size	_ZL39rocblas_trsm_block_forward_substitutionIddPKPKdPKPdLb1ELb1ELb0EEv18rocblas_operation_llT0_T1_lllT2_lllib, .Lfunc_end120-_ZL39rocblas_trsm_block_forward_substitutionIddPKPKdPKPdLb1ELb1ELb0EEv18rocblas_operation_llT0_T1_lllT2_lllib
                                        ; -- End function
	.set _ZL39rocblas_trsm_block_forward_substitutionIddPKPKdPKPdLb1ELb1ELb0EEv18rocblas_operation_llT0_T1_lllT2_lllib.num_vgpr, 29
	.set _ZL39rocblas_trsm_block_forward_substitutionIddPKPKdPKPdLb1ELb1ELb0EEv18rocblas_operation_llT0_T1_lllT2_lllib.num_agpr, 0
	.set _ZL39rocblas_trsm_block_forward_substitutionIddPKPKdPKPdLb1ELb1ELb0EEv18rocblas_operation_llT0_T1_lllT2_lllib.numbered_sgpr, 39
	.set _ZL39rocblas_trsm_block_forward_substitutionIddPKPKdPKPdLb1ELb1ELb0EEv18rocblas_operation_llT0_T1_lllT2_lllib.num_named_barrier, 0
	.set _ZL39rocblas_trsm_block_forward_substitutionIddPKPKdPKPdLb1ELb1ELb0EEv18rocblas_operation_llT0_T1_lllT2_lllib.private_seg_size, 0
	.set _ZL39rocblas_trsm_block_forward_substitutionIddPKPKdPKPdLb1ELb1ELb0EEv18rocblas_operation_llT0_T1_lllT2_lllib.uses_vcc, 1
	.set _ZL39rocblas_trsm_block_forward_substitutionIddPKPKdPKPdLb1ELb1ELb0EEv18rocblas_operation_llT0_T1_lllT2_lllib.uses_flat_scratch, 0
	.set _ZL39rocblas_trsm_block_forward_substitutionIddPKPKdPKPdLb1ELb1ELb0EEv18rocblas_operation_llT0_T1_lllT2_lllib.has_dyn_sized_stack, 0
	.set _ZL39rocblas_trsm_block_forward_substitutionIddPKPKdPKPdLb1ELb1ELb0EEv18rocblas_operation_llT0_T1_lllT2_lllib.has_recursion, 0
	.set _ZL39rocblas_trsm_block_forward_substitutionIddPKPKdPKPdLb1ELb1ELb0EEv18rocblas_operation_llT0_T1_lllT2_lllib.has_indirect_call, 0
	.section	.AMDGPU.csdata,"",@progbits
; Kernel info:
; codeLenInByte = 1828
; TotalNumSgprs: 41
; NumVgprs: 29
; ScratchSize: 0
; MemoryBound: 1
; FloatMode: 240
; IeeeMode: 1
; LDSByteSize: 0 bytes/workgroup (compile time only)
; SGPRBlocks: 0
; VGPRBlocks: 3
; NumSGPRsForWavesPerEU: 41
; NumVGPRsForWavesPerEU: 29
; Occupancy: 16
; WaveLimiterHint : 1
; COMPUTE_PGM_RSRC2:SCRATCH_EN: 0
; COMPUTE_PGM_RSRC2:USER_SGPR: 2
; COMPUTE_PGM_RSRC2:TRAP_HANDLER: 0
; COMPUTE_PGM_RSRC2:TGID_X_EN: 1
; COMPUTE_PGM_RSRC2:TGID_Y_EN: 1
; COMPUTE_PGM_RSRC2:TGID_Z_EN: 1
; COMPUTE_PGM_RSRC2:TIDIG_COMP_CNT: 1
	.section	.text._ZL40rocblas_trsm_block_backward_substitutionIddPKPKdPKPdLb1ELb1ELb0EEv18rocblas_operation_llT0_T1_lllT2_lllib,"axG",@progbits,_ZL40rocblas_trsm_block_backward_substitutionIddPKPKdPKPdLb1ELb1ELb0EEv18rocblas_operation_llT0_T1_lllT2_lllib,comdat
	.globl	_ZL40rocblas_trsm_block_backward_substitutionIddPKPKdPKPdLb1ELb1ELb0EEv18rocblas_operation_llT0_T1_lllT2_lllib ; -- Begin function _ZL40rocblas_trsm_block_backward_substitutionIddPKPKdPKPdLb1ELb1ELb0EEv18rocblas_operation_llT0_T1_lllT2_lllib
	.p2align	8
	.type	_ZL40rocblas_trsm_block_backward_substitutionIddPKPKdPKPdLb1ELb1ELb0EEv18rocblas_operation_llT0_T1_lllT2_lllib,@function
_ZL40rocblas_trsm_block_backward_substitutionIddPKPKdPKPdLb1ELb1ELb0EEv18rocblas_operation_llT0_T1_lllT2_lllib: ; @_ZL40rocblas_trsm_block_backward_substitutionIddPKPKdPKPdLb1ELb1ELb0EEv18rocblas_operation_llT0_T1_lllT2_lllib
; %bb.0:
	s_load_b64 s[20:21], s[0:1], 0x60
	s_lshr_b32 s22, ttmp7, 16
	s_wait_kmcnt 0x0
	s_cmp_ge_u32 s22, s20
	s_cbranch_scc1 .LBB121_29
; %bb.1:
	s_clause 0x4
	s_load_u16 s33, s[0:1], 0x76
	s_load_b128 s[12:15], s[0:1], 0x28
	s_load_b64 s[28:29], s[0:1], 0x50
	s_load_b256 s[4:11], s[0:1], 0x8
	s_load_b128 s[16:19], s[0:1], 0x40
	v_bfe_u32 v1, v0, 10, 10
	v_dual_mov_b32 v3, 0 :: v_dual_and_b32 v2, 0x3ff, v0
	s_bitcmp1_b32 s21, 0
	s_mov_b64 s[26:27], src_shared_base
	s_cselect_b32 s2, -1, 0
	s_and_b32 s3, ttmp7, 0xffff
	v_lshlrev_b32_e32 v0, 3, v2
	s_add_nc_u64 s[24:25], s[0:1], 0x68
	v_lshl_add_u32 v18, v1, 3, 0
	v_cmp_eq_u32_e64 s0, 0, v2
	s_mov_b32 s23, 0
	v_lshlrev_b32_e32 v20, 3, v2
	s_wait_kmcnt 0x0
	v_mad_co_u64_u32 v[4:5], null, s3, s33, v[1:2]
	v_mad_co_u64_u32 v[6:7], null, s14, v2, 0
	v_mov_b32_e32 v5, v3
	s_lshl_b32 s3, s33, 3
	v_cmp_le_i64_e64 s21, s[4:5], v[2:3]
	v_cmp_gt_i64_e64 s1, s[4:5], v[2:3]
	v_mad_co_u64_u32 v[8:9], null, s28, v4, 0
	v_cmp_gt_i64_e32 vcc_lo, s[6:7], v[4:5]
	s_wait_alu 0xfffe
	s_add_co_i32 s26, s3, 0
	v_cmp_gt_i64_e64 s38, s[4:5], 0
	v_cmp_gt_i64_e64 s40, s[4:5], 1
	v_add_nc_u32_e32 v19, s26, v0
	s_lshl_b64 s[12:13], s[12:13], 3
	v_mad_co_u64_u32 v[10:11], null, s15, v2, v[7:8]
	s_and_b32 s39, vcc_lo, s1
	s_xor_b32 s41, s21, -1
	s_lshl_b64 s[18:19], s[18:19], 3
	v_mad_co_u64_u32 v[11:12], null, s29, v4, v[9:10]
	v_mov_b32_e32 v7, v10
	s_add_nc_u64 s[28:29], s[4:5], -1
	s_wait_alu 0xfffe
	s_lshl_b64 s[6:7], s[28:29], 3
	s_delay_alu instid0(VALU_DEP_1) | instskip(NEXT) | instid1(VALU_DEP_3)
	v_lshlrev_b64_e32 v[4:5], 3, v[6:7]
	v_mov_b32_e32 v9, v11
	s_delay_alu instid0(VALU_DEP_1)
	v_lshlrev_b64_e32 v[6:7], 3, v[8:9]
	s_branch .LBB121_4
.LBB121_2:                              ;   in Loop: Header=BB121_4 Depth=1
	s_wait_alu 0xfffe
	s_or_b32 exec_lo, exec_lo, s34
	flat_store_b64 v[8:9], v[12:13]
.LBB121_3:                              ;   in Loop: Header=BB121_4 Depth=1
	s_wait_alu 0xfffe
	s_or_b32 exec_lo, exec_lo, s3
	s_add_co_i32 s22, s22, 0x10000
	s_delay_alu instid0(SALU_CYCLE_1)
	s_cmp_lt_u32 s22, s20
	s_cbranch_scc0 .LBB121_29
.LBB121_4:                              ; =>This Loop Header: Depth=1
                                        ;     Child Loop BB121_9 Depth 2
                                        ;     Child Loop BB121_23 Depth 2
	s_lshl_b64 s[30:31], s[22:23], 3
	s_wait_alu 0xfffe
	s_add_nc_u64 s[34:35], s[10:11], s[30:31]
	s_add_nc_u64 s[30:31], s[16:17], s[30:31]
	global_load_b64 v[10:11], v3, s[34:35]
	s_wait_loadcnt 0x1
	global_load_b64 v[8:9], v3, s[30:31]
	s_mov_b64 s[30:31], s[14:15]
	s_wait_loadcnt 0x1
	v_add_co_u32 v10, vcc_lo, v10, s12
	s_wait_alu 0xfffd
	v_add_co_ci_u32_e64 v11, null, s13, v11, vcc_lo
	s_and_not1_b32 vcc_lo, exec_lo, s2
	s_wait_alu 0xfffe
	s_cbranch_vccz .LBB121_6
; %bb.5:                                ;   in Loop: Header=BB121_4 Depth=1
	s_and_saveexec_b32 s3, s39
	s_cbranch_execz .LBB121_3
	s_branch .LBB121_20
.LBB121_6:                              ;   in Loop: Header=BB121_4 Depth=1
	s_and_not1_b32 vcc_lo, exec_lo, s38
	s_wait_alu 0xfffe
	s_cbranch_vccnz .LBB121_19
; %bb.7:                                ;   in Loop: Header=BB121_4 Depth=1
	v_add_co_u32 v16, vcc_lo, v10, v20
	s_wait_alu 0xfffd
	v_add_co_ci_u32_e64 v17, null, 0, v11, vcc_lo
	v_mov_b32_e32 v12, v1
	s_delay_alu instid0(VALU_DEP_3) | instskip(SKIP_1) | instid1(VALU_DEP_3)
	v_add_co_u32 v10, vcc_lo, v16, v4
	s_wait_alu 0xfffd
	v_add_co_ci_u32_e64 v11, null, v17, v5, vcc_lo
	s_mov_b32 s30, s33
	s_branch .LBB121_9
.LBB121_8:                              ;   in Loop: Header=BB121_9 Depth=2
	s_wait_alu 0xfffe
	s_or_b32 exec_lo, exec_lo, s31
	s_ashr_i32 s31, s30, 31
	v_add_nc_u32_e32 v12, s33, v12
	s_wait_alu 0xfffe
	v_cmp_le_i64_e64 s3, s[4:5], s[30:31]
	s_add_co_i32 s30, s30, s33
	s_and_b32 vcc_lo, exec_lo, s3
	s_wait_alu 0xfffe
	s_cbranch_vccnz .LBB121_19
.LBB121_9:                              ;   Parent Loop BB121_4 Depth=1
                                        ; =>  This Inner Loop Header: Depth=2
	s_mov_b32 s3, 0
	s_mov_b32 s34, s21
                                        ; implicit-def: $vgpr14_vgpr15
	s_and_saveexec_b32 s31, s1
	s_cbranch_execnz .LBB121_12
; %bb.10:                               ;   in Loop: Header=BB121_9 Depth=2
	s_wait_alu 0xfffe
	s_or_b32 exec_lo, exec_lo, s31
	v_mov_b32_e32 v13, v12
	s_and_saveexec_b32 s31, s34
	s_cbranch_execnz .LBB121_15
.LBB121_11:                             ;   in Loop: Header=BB121_9 Depth=2
	s_wait_alu 0xfffe
	s_or_b32 exec_lo, exec_lo, s31
	s_and_saveexec_b32 s31, s3
	s_cbranch_execz .LBB121_8
	s_branch .LBB121_18
.LBB121_12:                             ;   in Loop: Header=BB121_9 Depth=2
	v_ashrrev_i32_e32 v13, 31, v12
	v_cmp_lt_i32_e64 s3, v2, v12
	s_mov_b32 s35, -1
                                        ; implicit-def: $vgpr14_vgpr15
	v_cmp_gt_i64_e32 vcc_lo, s[4:5], v[12:13]
	s_wait_alu 0xfffe
	s_and_b32 s36, s3, vcc_lo
	s_mov_b32 s3, 0
	s_wait_alu 0xfffe
	s_and_saveexec_b32 s34, s36
	s_cbranch_execz .LBB121_14
; %bb.13:                               ;   in Loop: Header=BB121_9 Depth=2
	s_wait_loadcnt_dscnt 0x0
	v_mul_lo_u32 v15, s15, v12
	v_mul_lo_u32 v21, s14, v13
	v_mad_co_u64_u32 v[13:14], null, s14, v12, 0
	s_mov_b32 s3, exec_lo
	s_xor_b32 s35, exec_lo, -1
	v_add3_u32 v14, v14, v21, v15
	s_delay_alu instid0(VALU_DEP_1) | instskip(NEXT) | instid1(VALU_DEP_1)
	v_lshlrev_b64_e32 v[13:14], 3, v[13:14]
	v_add_co_u32 v13, vcc_lo, v16, v13
	s_wait_alu 0xfffd
	s_delay_alu instid0(VALU_DEP_2)
	v_add_co_ci_u32_e64 v14, null, v17, v14, vcc_lo
	flat_load_b64 v[14:15], v[13:14]
.LBB121_14:                             ;   in Loop: Header=BB121_9 Depth=2
	s_wait_alu 0xfffe
	s_or_b32 exec_lo, exec_lo, s34
	s_delay_alu instid0(SALU_CYCLE_1)
	s_and_not1_b32 s34, s21, exec_lo
	s_and_b32 s35, s35, exec_lo
	s_and_b32 s3, s3, exec_lo
	s_wait_alu 0xfffe
	s_or_b32 s34, s34, s35
	s_or_b32 exec_lo, exec_lo, s31
	v_mov_b32_e32 v13, v12
	s_wait_alu 0xfffe
	s_and_saveexec_b32 s31, s34
	s_cbranch_execz .LBB121_11
.LBB121_15:                             ;   in Loop: Header=BB121_9 Depth=2
	v_cmp_eq_u32_e32 vcc_lo, v2, v12
	s_wait_alu 0xfffe
	s_mov_b32 s35, s3
                                        ; implicit-def: $vgpr14_vgpr15
	s_and_b32 s36, s41, vcc_lo
	s_wait_alu 0xfffe
	s_and_saveexec_b32 s34, s36
	s_cbranch_execz .LBB121_17
; %bb.16:                               ;   in Loop: Header=BB121_9 Depth=2
	s_wait_loadcnt_dscnt 0x0
	flat_load_b64 v[13:14], v[10:11]
	s_or_b32 s35, s3, exec_lo
	s_wait_loadcnt_dscnt 0x0
	v_div_scale_f64 v[21:22], null, v[13:14], v[13:14], 1.0
	s_delay_alu instid0(VALU_DEP_1) | instskip(NEXT) | instid1(TRANS32_DEP_1)
	v_rcp_f64_e32 v[23:24], v[21:22]
	v_fma_f64 v[25:26], -v[21:22], v[23:24], 1.0
	s_delay_alu instid0(VALU_DEP_1) | instskip(NEXT) | instid1(VALU_DEP_1)
	v_fma_f64 v[23:24], v[23:24], v[25:26], v[23:24]
	v_fma_f64 v[25:26], -v[21:22], v[23:24], 1.0
	s_delay_alu instid0(VALU_DEP_1) | instskip(SKIP_1) | instid1(VALU_DEP_1)
	v_fma_f64 v[23:24], v[23:24], v[25:26], v[23:24]
	v_div_scale_f64 v[25:26], vcc_lo, 1.0, v[13:14], 1.0
	v_mul_f64_e32 v[27:28], v[25:26], v[23:24]
	s_delay_alu instid0(VALU_DEP_1) | instskip(SKIP_1) | instid1(VALU_DEP_1)
	v_fma_f64 v[21:22], -v[21:22], v[27:28], v[25:26]
	s_wait_alu 0xfffd
	v_div_fmas_f64 v[21:22], v[21:22], v[23:24], v[27:28]
	s_delay_alu instid0(VALU_DEP_1)
	v_div_fixup_f64 v[14:15], v[21:22], v[13:14], 1.0
.LBB121_17:                             ;   in Loop: Header=BB121_9 Depth=2
	s_wait_alu 0xfffe
	s_or_b32 exec_lo, exec_lo, s34
	v_mov_b32_e32 v13, v2
	s_and_not1_b32 s3, s3, exec_lo
	s_and_b32 s34, s35, exec_lo
	s_wait_alu 0xfffe
	s_or_b32 s3, s3, s34
	s_or_b32 exec_lo, exec_lo, s31
	s_wait_alu 0xfffe
	s_and_saveexec_b32 s31, s3
	s_cbranch_execz .LBB121_8
.LBB121_18:                             ;   in Loop: Header=BB121_9 Depth=2
	s_load_b32 s3, s[24:25], 0xc
	s_wait_kmcnt 0x0
	s_and_b32 s3, s3, 0xffff
	s_wait_alu 0xfffe
	v_mul_lo_u32 v13, v13, s3
	s_delay_alu instid0(VALU_DEP_1)
	v_lshl_add_u32 v13, v13, 3, v19
	s_wait_loadcnt_dscnt 0x0
	ds_store_b64 v13, v[14:15]
	s_branch .LBB121_8
.LBB121_19:                             ;   in Loop: Header=BB121_4 Depth=1
	s_load_b32 s3, s[24:25], 0xc
	v_dual_mov_b32 v10, s26 :: v_dual_mov_b32 v11, s27
	s_mov_b32 s31, s23
	s_wait_kmcnt 0x0
	s_and_b32 s30, s3, 0xffff
	s_and_saveexec_b32 s3, s39
	s_cbranch_execz .LBB121_3
.LBB121_20:                             ;   in Loop: Header=BB121_4 Depth=1
	s_wait_loadcnt 0x0
	v_add_co_u32 v8, vcc_lo, v8, s18
	s_wait_alu 0xfffd
	v_add_co_ci_u32_e64 v9, null, s19, v9, vcc_lo
	s_delay_alu instid0(VALU_DEP_2) | instskip(SKIP_1) | instid1(VALU_DEP_2)
	v_add_co_u32 v8, vcc_lo, v8, v6
	s_wait_alu 0xfffd
	v_add_co_ci_u32_e64 v9, null, v9, v7, vcc_lo
	s_delay_alu instid0(VALU_DEP_2) | instskip(SKIP_1) | instid1(VALU_DEP_2)
	v_add_co_u32 v8, vcc_lo, v8, v20
	s_wait_alu 0xfffd
	v_add_co_ci_u32_e64 v9, null, 0, v9, vcc_lo
	s_and_not1_b32 vcc_lo, exec_lo, s40
	flat_load_b64 v[12:13], v[8:9]
	s_wait_loadcnt_dscnt 0x0
	v_mul_f64_e32 v[12:13], s[8:9], v[12:13]
	s_wait_alu 0xfffe
	s_cbranch_vccnz .LBB121_27
; %bb.21:                               ;   in Loop: Header=BB121_4 Depth=1
	v_mad_co_u64_u32 v[16:17], null, v2, s30, v[2:3]
	v_add_co_u32 v21, vcc_lo, v10, v0
	s_wait_alu 0xfffd
	v_add_co_ci_u32_e64 v22, null, 0, v11, vcc_lo
	s_mul_i32 s34, s7, s30
	s_mul_i32 s35, s6, s31
	v_mov_b32_e32 v14, v17
	s_mov_b64 s[36:37], s[28:29]
	s_delay_alu instid0(VALU_DEP_1) | instskip(NEXT) | instid1(VALU_DEP_1)
	v_mad_co_u64_u32 v[14:15], null, v2, s31, v[14:15]
	v_mov_b32_e32 v17, v14
	v_mad_co_u64_u32 v[14:15], null, s6, s30, v[21:22]
	s_delay_alu instid0(VALU_DEP_2) | instskip(SKIP_1) | instid1(VALU_DEP_2)
	v_lshlrev_b64_e32 v[16:17], 3, v[16:17]
	s_wait_alu 0xfffe
	v_add3_u32 v15, s35, s34, v15
	s_lshl_b64 s[34:35], s[30:31], 3
	s_delay_alu instid0(VALU_DEP_2)
	v_add_co_u32 v16, vcc_lo, v10, v16
	s_wait_alu 0xfffd
	v_add_co_ci_u32_e64 v17, null, v11, v17, vcc_lo
	s_wait_alu 0xfffe
	s_sub_nc_u64 s[34:35], 0, s[34:35]
	s_branch .LBB121_23
.LBB121_22:                             ;   in Loop: Header=BB121_23 Depth=2
	s_wait_alu 0xfffe
	s_or_b32 exec_lo, exec_lo, s42
	s_add_nc_u64 s[42:43], s[36:37], 1
	v_add_co_u32 v14, vcc_lo, v14, s34
	s_wait_alu 0xfffe
	v_cmp_lt_u64_e64 s42, s[42:43], 3
	s_wait_alu 0xfffd
	v_add_co_ci_u32_e64 v15, null, s35, v15, vcc_lo
	s_add_nc_u64 s[36:37], s[36:37], -1
	s_and_b32 vcc_lo, exec_lo, s42
	s_wait_alu 0xfffe
	s_cbranch_vccnz .LBB121_27
.LBB121_23:                             ;   Parent Loop BB121_4 Depth=1
                                        ; =>  This Inner Loop Header: Depth=2
	s_mov_b32 s42, exec_lo
	s_barrier_signal -1
	s_barrier_wait -1
	global_inv scope:SCOPE_SE
	v_cmpx_eq_u64_e64 s[36:37], v[2:3]
	s_cbranch_execz .LBB121_25
; %bb.24:                               ;   in Loop: Header=BB121_23 Depth=2
	flat_load_b64 v[21:22], v[16:17]
	s_wait_loadcnt_dscnt 0x0
	v_div_scale_f64 v[23:24], null, v[21:22], v[21:22], 1.0
	v_div_scale_f64 v[29:30], vcc_lo, 1.0, v[21:22], 1.0
	s_delay_alu instid0(VALU_DEP_2) | instskip(NEXT) | instid1(TRANS32_DEP_1)
	v_rcp_f64_e32 v[25:26], v[23:24]
	v_fma_f64 v[27:28], -v[23:24], v[25:26], 1.0
	s_delay_alu instid0(VALU_DEP_1) | instskip(NEXT) | instid1(VALU_DEP_1)
	v_fma_f64 v[25:26], v[25:26], v[27:28], v[25:26]
	v_fma_f64 v[27:28], -v[23:24], v[25:26], 1.0
	s_delay_alu instid0(VALU_DEP_1) | instskip(NEXT) | instid1(VALU_DEP_1)
	v_fma_f64 v[25:26], v[25:26], v[27:28], v[25:26]
	v_mul_f64_e32 v[27:28], v[29:30], v[25:26]
	s_delay_alu instid0(VALU_DEP_1) | instskip(SKIP_1) | instid1(VALU_DEP_1)
	v_fma_f64 v[23:24], -v[23:24], v[27:28], v[29:30]
	s_wait_alu 0xfffd
	v_div_fmas_f64 v[23:24], v[23:24], v[25:26], v[27:28]
	s_delay_alu instid0(VALU_DEP_1) | instskip(NEXT) | instid1(VALU_DEP_1)
	v_div_fixup_f64 v[23:24], v[23:24], v[21:22], 1.0
	v_cndmask_b32_e64 v22, v24, v22, s2
	s_delay_alu instid0(VALU_DEP_2) | instskip(NEXT) | instid1(VALU_DEP_1)
	v_cndmask_b32_e64 v21, v23, v21, s2
	v_mul_f64_e32 v[12:13], v[12:13], v[21:22]
	ds_store_b64 v18, v[12:13]
.LBB121_25:                             ;   in Loop: Header=BB121_23 Depth=2
	s_wait_alu 0xfffe
	s_or_b32 exec_lo, exec_lo, s42
	s_delay_alu instid0(SALU_CYCLE_1)
	s_mov_b32 s42, exec_lo
	s_wait_loadcnt_dscnt 0x0
	s_barrier_signal -1
	s_barrier_wait -1
	global_inv scope:SCOPE_SE
	v_cmpx_gt_i64_e64 s[36:37], v[2:3]
	s_cbranch_execz .LBB121_22
; %bb.26:                               ;   in Loop: Header=BB121_23 Depth=2
	flat_load_b64 v[21:22], v[14:15]
	ds_load_b64 v[23:24], v18
	s_wait_loadcnt_dscnt 0x0
	v_fma_f64 v[12:13], -v[21:22], v[23:24], v[12:13]
	s_branch .LBB121_22
.LBB121_27:                             ;   in Loop: Header=BB121_4 Depth=1
	s_and_saveexec_b32 s34, s0
	s_cbranch_execz .LBB121_2
; %bb.28:                               ;   in Loop: Header=BB121_4 Depth=1
	v_mad_co_u64_u32 v[14:15], null, v2, s30, v[2:3]
	s_delay_alu instid0(VALU_DEP_1) | instskip(NEXT) | instid1(VALU_DEP_1)
	v_mad_co_u64_u32 v[15:16], null, v2, s31, v[15:16]
	v_lshlrev_b64_e32 v[14:15], 3, v[14:15]
	s_delay_alu instid0(VALU_DEP_1) | instskip(SKIP_1) | instid1(VALU_DEP_2)
	v_add_co_u32 v10, vcc_lo, v10, v14
	s_wait_alu 0xfffd
	v_add_co_ci_u32_e64 v11, null, v11, v15, vcc_lo
	flat_load_b64 v[10:11], v[10:11]
	s_wait_loadcnt_dscnt 0x0
	v_div_scale_f64 v[14:15], null, v[10:11], v[10:11], 1.0
	v_div_scale_f64 v[23:24], vcc_lo, 1.0, v[10:11], 1.0
	s_delay_alu instid0(VALU_DEP_2) | instskip(NEXT) | instid1(TRANS32_DEP_1)
	v_rcp_f64_e32 v[16:17], v[14:15]
	v_fma_f64 v[21:22], -v[14:15], v[16:17], 1.0
	s_delay_alu instid0(VALU_DEP_1) | instskip(NEXT) | instid1(VALU_DEP_1)
	v_fma_f64 v[16:17], v[16:17], v[21:22], v[16:17]
	v_fma_f64 v[21:22], -v[14:15], v[16:17], 1.0
	s_delay_alu instid0(VALU_DEP_1) | instskip(NEXT) | instid1(VALU_DEP_1)
	v_fma_f64 v[16:17], v[16:17], v[21:22], v[16:17]
	v_mul_f64_e32 v[21:22], v[23:24], v[16:17]
	s_delay_alu instid0(VALU_DEP_1) | instskip(SKIP_1) | instid1(VALU_DEP_1)
	v_fma_f64 v[14:15], -v[14:15], v[21:22], v[23:24]
	s_wait_alu 0xfffd
	v_div_fmas_f64 v[14:15], v[14:15], v[16:17], v[21:22]
	s_delay_alu instid0(VALU_DEP_1) | instskip(NEXT) | instid1(VALU_DEP_1)
	v_div_fixup_f64 v[14:15], v[14:15], v[10:11], 1.0
	v_cndmask_b32_e64 v11, v15, v11, s2
	s_delay_alu instid0(VALU_DEP_2) | instskip(NEXT) | instid1(VALU_DEP_1)
	v_cndmask_b32_e64 v10, v14, v10, s2
	v_mul_f64_e32 v[12:13], v[12:13], v[10:11]
	s_branch .LBB121_2
.LBB121_29:
	s_endpgm
	.section	.rodata,"a",@progbits
	.p2align	6, 0x0
	.amdhsa_kernel _ZL40rocblas_trsm_block_backward_substitutionIddPKPKdPKPdLb1ELb1ELb0EEv18rocblas_operation_llT0_T1_lllT2_lllib
		.amdhsa_group_segment_fixed_size 0
		.amdhsa_private_segment_fixed_size 0
		.amdhsa_kernarg_size 360
		.amdhsa_user_sgpr_count 2
		.amdhsa_user_sgpr_dispatch_ptr 0
		.amdhsa_user_sgpr_queue_ptr 0
		.amdhsa_user_sgpr_kernarg_segment_ptr 1
		.amdhsa_user_sgpr_dispatch_id 0
		.amdhsa_user_sgpr_private_segment_size 0
		.amdhsa_wavefront_size32 1
		.amdhsa_uses_dynamic_stack 0
		.amdhsa_enable_private_segment 0
		.amdhsa_system_sgpr_workgroup_id_x 1
		.amdhsa_system_sgpr_workgroup_id_y 1
		.amdhsa_system_sgpr_workgroup_id_z 1
		.amdhsa_system_sgpr_workgroup_info 0
		.amdhsa_system_vgpr_workitem_id 1
		.amdhsa_next_free_vgpr 31
		.amdhsa_next_free_sgpr 44
		.amdhsa_reserve_vcc 1
		.amdhsa_float_round_mode_32 0
		.amdhsa_float_round_mode_16_64 0
		.amdhsa_float_denorm_mode_32 3
		.amdhsa_float_denorm_mode_16_64 3
		.amdhsa_fp16_overflow 0
		.amdhsa_workgroup_processor_mode 1
		.amdhsa_memory_ordered 1
		.amdhsa_forward_progress 1
		.amdhsa_inst_pref_size 15
		.amdhsa_round_robin_scheduling 0
		.amdhsa_exception_fp_ieee_invalid_op 0
		.amdhsa_exception_fp_denorm_src 0
		.amdhsa_exception_fp_ieee_div_zero 0
		.amdhsa_exception_fp_ieee_overflow 0
		.amdhsa_exception_fp_ieee_underflow 0
		.amdhsa_exception_fp_ieee_inexact 0
		.amdhsa_exception_int_div_zero 0
	.end_amdhsa_kernel
	.section	.text._ZL40rocblas_trsm_block_backward_substitutionIddPKPKdPKPdLb1ELb1ELb0EEv18rocblas_operation_llT0_T1_lllT2_lllib,"axG",@progbits,_ZL40rocblas_trsm_block_backward_substitutionIddPKPKdPKPdLb1ELb1ELb0EEv18rocblas_operation_llT0_T1_lllT2_lllib,comdat
.Lfunc_end121:
	.size	_ZL40rocblas_trsm_block_backward_substitutionIddPKPKdPKPdLb1ELb1ELb0EEv18rocblas_operation_llT0_T1_lllT2_lllib, .Lfunc_end121-_ZL40rocblas_trsm_block_backward_substitutionIddPKPKdPKPdLb1ELb1ELb0EEv18rocblas_operation_llT0_T1_lllT2_lllib
                                        ; -- End function
	.set _ZL40rocblas_trsm_block_backward_substitutionIddPKPKdPKPdLb1ELb1ELb0EEv18rocblas_operation_llT0_T1_lllT2_lllib.num_vgpr, 31
	.set _ZL40rocblas_trsm_block_backward_substitutionIddPKPKdPKPdLb1ELb1ELb0EEv18rocblas_operation_llT0_T1_lllT2_lllib.num_agpr, 0
	.set _ZL40rocblas_trsm_block_backward_substitutionIddPKPKdPKPdLb1ELb1ELb0EEv18rocblas_operation_llT0_T1_lllT2_lllib.numbered_sgpr, 44
	.set _ZL40rocblas_trsm_block_backward_substitutionIddPKPKdPKPdLb1ELb1ELb0EEv18rocblas_operation_llT0_T1_lllT2_lllib.num_named_barrier, 0
	.set _ZL40rocblas_trsm_block_backward_substitutionIddPKPKdPKPdLb1ELb1ELb0EEv18rocblas_operation_llT0_T1_lllT2_lllib.private_seg_size, 0
	.set _ZL40rocblas_trsm_block_backward_substitutionIddPKPKdPKPdLb1ELb1ELb0EEv18rocblas_operation_llT0_T1_lllT2_lllib.uses_vcc, 1
	.set _ZL40rocblas_trsm_block_backward_substitutionIddPKPKdPKPdLb1ELb1ELb0EEv18rocblas_operation_llT0_T1_lllT2_lllib.uses_flat_scratch, 0
	.set _ZL40rocblas_trsm_block_backward_substitutionIddPKPKdPKPdLb1ELb1ELb0EEv18rocblas_operation_llT0_T1_lllT2_lllib.has_dyn_sized_stack, 0
	.set _ZL40rocblas_trsm_block_backward_substitutionIddPKPKdPKPdLb1ELb1ELb0EEv18rocblas_operation_llT0_T1_lllT2_lllib.has_recursion, 0
	.set _ZL40rocblas_trsm_block_backward_substitutionIddPKPKdPKPdLb1ELb1ELb0EEv18rocblas_operation_llT0_T1_lllT2_lllib.has_indirect_call, 0
	.section	.AMDGPU.csdata,"",@progbits
; Kernel info:
; codeLenInByte = 1872
; TotalNumSgprs: 46
; NumVgprs: 31
; ScratchSize: 0
; MemoryBound: 1
; FloatMode: 240
; IeeeMode: 1
; LDSByteSize: 0 bytes/workgroup (compile time only)
; SGPRBlocks: 0
; VGPRBlocks: 3
; NumSGPRsForWavesPerEU: 46
; NumVGPRsForWavesPerEU: 31
; Occupancy: 16
; WaveLimiterHint : 1
; COMPUTE_PGM_RSRC2:SCRATCH_EN: 0
; COMPUTE_PGM_RSRC2:USER_SGPR: 2
; COMPUTE_PGM_RSRC2:TRAP_HANDLER: 0
; COMPUTE_PGM_RSRC2:TGID_X_EN: 1
; COMPUTE_PGM_RSRC2:TGID_Y_EN: 1
; COMPUTE_PGM_RSRC2:TGID_Z_EN: 1
; COMPUTE_PGM_RSRC2:TIDIG_COMP_CNT: 1
	.section	.text._ZL39rocblas_trsm_block_forward_substitutionIddPKPKdPKPdLb1ELb1ELb1EEv18rocblas_operation_llT0_T1_lllT2_lllib,"axG",@progbits,_ZL39rocblas_trsm_block_forward_substitutionIddPKPKdPKPdLb1ELb1ELb1EEv18rocblas_operation_llT0_T1_lllT2_lllib,comdat
	.globl	_ZL39rocblas_trsm_block_forward_substitutionIddPKPKdPKPdLb1ELb1ELb1EEv18rocblas_operation_llT0_T1_lllT2_lllib ; -- Begin function _ZL39rocblas_trsm_block_forward_substitutionIddPKPKdPKPdLb1ELb1ELb1EEv18rocblas_operation_llT0_T1_lllT2_lllib
	.p2align	8
	.type	_ZL39rocblas_trsm_block_forward_substitutionIddPKPKdPKPdLb1ELb1ELb1EEv18rocblas_operation_llT0_T1_lllT2_lllib,@function
_ZL39rocblas_trsm_block_forward_substitutionIddPKPKdPKPdLb1ELb1ELb1EEv18rocblas_operation_llT0_T1_lllT2_lllib: ; @_ZL39rocblas_trsm_block_forward_substitutionIddPKPKdPKPdLb1ELb1ELb1EEv18rocblas_operation_llT0_T1_lllT2_lllib
; %bb.0:
	s_load_b64 s[2:3], s[0:1], 0x60
	s_lshr_b32 s20, ttmp7, 16
	s_wait_kmcnt 0x0
	s_cmp_ge_u32 s20, s2
	s_cbranch_scc1 .LBB122_19
; %bb.1:
	s_clause 0x2
	s_load_b64 s[28:29], s[0:1], 0x50
	s_load_u16 s33, s[0:1], 0x76
	s_load_b256 s[4:11], s[0:1], 0x8
	v_dual_mov_b32 v2, 0 :: v_dual_and_b32 v1, 0x3ff, v0
	v_bfe_u32 v0, v0, 10, 10
	s_bitcmp1_b32 s3, 0
	s_clause 0x1
	s_load_b128 s[16:19], s[0:1], 0x28
	s_load_b128 s[12:15], s[0:1], 0x40
	s_add_nc_u64 s[22:23], s[0:1], 0x68
	s_cselect_b32 s1, -1, 0
	s_and_b32 s0, ttmp7, 0xffff
	s_mov_b64 s[24:25], src_shared_base
	v_lshl_add_u32 v13, v0, 3, 0
	s_mov_b32 s21, 0
	s_mov_b64 s[26:27], 1
	s_wait_kmcnt 0x0
	v_mad_co_u64_u32 v[5:6], null, s28, v1, 0
	v_mad_co_u64_u32 v[7:8], null, s0, s33, v[0:1]
	s_lshl_b32 s3, s33, 3
	v_cmp_gt_i64_e64 s0, s[4:5], v[1:2]
	s_add_co_i32 s24, s3, 0
	v_cmp_gt_i64_e64 s3, s[4:5], 0
	v_dual_mov_b32 v3, v6 :: v_dual_mov_b32 v8, v2
	v_cmp_gt_i64_e64 s35, s[4:5], 1
	v_lshl_add_u32 v14, v1, 3, s24
	s_lshl_b64 s[16:17], s[16:17], 3
	v_mad_co_u64_u32 v[3:4], null, s29, v1, v[3:4]
	v_cmp_gt_i64_e32 vcc_lo, s[6:7], v[7:8]
	s_add_nc_u64 s[6:7], s[4:5], -1
	s_lshl_b64 s[14:15], s[14:15], 3
	s_and_b32 s34, vcc_lo, s0
	s_delay_alu instid0(VALU_DEP_2) | instskip(SKIP_1) | instid1(VALU_DEP_2)
	v_mov_b32_e32 v6, v3
	v_lshlrev_b64_e32 v[3:4], 3, v[7:8]
	v_lshlrev_b64_e32 v[5:6], 3, v[5:6]
	s_branch .LBB122_4
.LBB122_2:                              ;   in Loop: Header=BB122_4 Depth=1
	flat_store_b64 v[7:8], v[9:10]
.LBB122_3:                              ;   in Loop: Header=BB122_4 Depth=1
	s_or_b32 exec_lo, exec_lo, s36
	s_add_co_i32 s20, s20, 0x10000
	s_delay_alu instid0(SALU_CYCLE_1)
	s_cmp_lt_u32 s20, s2
	s_cbranch_scc0 .LBB122_19
.LBB122_4:                              ; =>This Loop Header: Depth=1
                                        ;     Child Loop BB122_9 Depth 2
                                        ;     Child Loop BB122_15 Depth 2
	s_lshl_b64 s[28:29], s[20:21], 3
	s_wait_alu 0xfffe
	s_add_nc_u64 s[30:31], s[10:11], s[28:29]
	s_add_nc_u64 s[28:29], s[12:13], s[28:29]
	global_load_b64 v[9:10], v2, s[30:31]
	s_wait_loadcnt 0x1
	global_load_b64 v[7:8], v2, s[28:29]
	s_wait_loadcnt 0x1
	v_add_co_u32 v11, vcc_lo, v9, s16
	s_wait_alu 0xfffd
	v_add_co_ci_u32_e64 v12, null, s17, v10, vcc_lo
	s_and_not1_b32 vcc_lo, exec_lo, s1
	s_wait_alu 0xfffe
	s_cbranch_vccz .LBB122_6
; %bb.5:                                ;   in Loop: Header=BB122_4 Depth=1
	s_and_saveexec_b32 s36, s34
	s_cbranch_execz .LBB122_3
	s_branch .LBB122_12
.LBB122_6:                              ;   in Loop: Header=BB122_4 Depth=1
	s_and_not1_b32 vcc_lo, exec_lo, s3
	s_wait_alu 0xfffe
	s_cbranch_vccnz .LBB122_11
; %bb.7:                                ;   in Loop: Header=BB122_4 Depth=1
	v_mad_co_u64_u32 v[9:10], null, s18, v1, 0
	s_mov_b32 s18, 0
	v_mad_co_u64_u32 v[15:16], null, s19, v1, v[10:11]
	s_delay_alu instid0(VALU_DEP_1) | instskip(NEXT) | instid1(VALU_DEP_1)
	v_mov_b32_e32 v10, v15
	v_lshlrev_b64_e32 v[9:10], 3, v[9:10]
	s_delay_alu instid0(VALU_DEP_1) | instskip(SKIP_1) | instid1(VALU_DEP_2)
	v_add_co_u32 v9, vcc_lo, v11, v9
	s_wait_alu 0xfffd
	v_add_co_ci_u32_e64 v10, null, v12, v10, vcc_lo
	s_branch .LBB122_9
.LBB122_8:                              ;   in Loop: Header=BB122_9 Depth=2
	s_wait_alu 0xfffe
	s_or_b32 exec_lo, exec_lo, s19
	s_add_co_i32 s18, s18, s33
	s_wait_alu 0xfffe
	s_ashr_i32 s19, s18, 31
	s_wait_alu 0xfffe
	v_cmp_le_i64_e64 s19, s[4:5], s[18:19]
	s_and_b32 vcc_lo, exec_lo, s19
	s_wait_alu 0xfffe
	s_cbranch_vccnz .LBB122_11
.LBB122_9:                              ;   Parent Loop BB122_4 Depth=1
                                        ; =>  This Inner Loop Header: Depth=2
	s_wait_alu 0xfffe
	v_add_nc_u32_e32 v11, s18, v0
	s_delay_alu instid0(VALU_DEP_1)
	v_cmp_gt_i32_e32 vcc_lo, v1, v11
	s_and_b32 s28, s0, vcc_lo
	s_wait_alu 0xfffe
	s_and_saveexec_b32 s19, s28
	s_cbranch_execz .LBB122_8
; %bb.10:                               ;   in Loop: Header=BB122_9 Depth=2
	v_ashrrev_i32_e32 v12, 31, v11
	v_mul_lo_u32 v17, s27, v11
	v_mad_co_u64_u32 v[15:16], null, s26, v11, 0
	s_load_b32 s28, s[22:23], 0xc
	v_mul_lo_u32 v12, s26, v12
	s_delay_alu instid0(VALU_DEP_1) | instskip(NEXT) | instid1(VALU_DEP_1)
	v_add3_u32 v16, v16, v12, v17
	v_lshlrev_b64_e32 v[15:16], 3, v[15:16]
	s_wait_kmcnt 0x0
	s_and_b32 s28, s28, 0xffff
	s_delay_alu instid0(VALU_DEP_1) | instskip(SKIP_1) | instid1(VALU_DEP_2)
	v_add_co_u32 v15, vcc_lo, v9, v15
	s_wait_alu 0xfffd
	v_add_co_ci_u32_e64 v16, null, v10, v16, vcc_lo
	s_wait_alu 0xfffe
	v_mul_lo_u32 v11, v11, s28
	flat_load_b64 v[15:16], v[15:16]
	v_lshl_add_u32 v11, v11, 3, v14
	s_wait_loadcnt_dscnt 0x0
	ds_store_b64 v11, v[15:16]
	s_branch .LBB122_8
.LBB122_11:                             ;   in Loop: Header=BB122_4 Depth=1
	s_load_b32 s18, s[22:23], 0xc
	v_dual_mov_b32 v11, s24 :: v_dual_mov_b32 v12, s25
	s_mov_b32 s27, s21
	s_wait_kmcnt 0x0
	s_and_b32 s26, s18, 0xffff
	s_mov_b64 s[18:19], 1
	s_and_saveexec_b32 s36, s34
	s_cbranch_execz .LBB122_3
.LBB122_12:                             ;   in Loop: Header=BB122_4 Depth=1
	s_wait_loadcnt 0x0
	v_add_co_u32 v7, vcc_lo, v7, s14
	s_wait_alu 0xfffd
	v_add_co_ci_u32_e64 v8, null, s15, v8, vcc_lo
	s_delay_alu instid0(VALU_DEP_2) | instskip(SKIP_1) | instid1(VALU_DEP_2)
	v_add_co_u32 v7, vcc_lo, v7, v5
	s_wait_alu 0xfffd
	v_add_co_ci_u32_e64 v8, null, v8, v6, vcc_lo
	s_delay_alu instid0(VALU_DEP_2) | instskip(SKIP_1) | instid1(VALU_DEP_2)
	v_add_co_u32 v7, vcc_lo, v7, v3
	s_wait_alu 0xfffd
	v_add_co_ci_u32_e64 v8, null, v8, v4, vcc_lo
	s_and_not1_b32 vcc_lo, exec_lo, s35
	flat_load_b64 v[9:10], v[7:8]
	s_wait_loadcnt_dscnt 0x0
	v_mul_f64_e32 v[9:10], s[8:9], v[9:10]
	s_wait_alu 0xfffe
	s_cbranch_vccnz .LBB122_2
; %bb.13:                               ;   in Loop: Header=BB122_4 Depth=1
	v_mad_co_u64_u32 v[15:16], null, s18, v1, 0
	s_lshl_b64 s[28:29], s[26:27], 3
	s_mov_b64 s[30:31], 0
	v_mad_co_u64_u32 v[16:17], null, s19, v1, v[16:17]
	s_delay_alu instid0(VALU_DEP_1) | instskip(NEXT) | instid1(VALU_DEP_1)
	v_lshlrev_b64_e32 v[15:16], 3, v[15:16]
	v_add_co_u32 v11, vcc_lo, v11, v15
	s_wait_alu 0xfffd
	s_delay_alu instid0(VALU_DEP_2)
	v_add_co_ci_u32_e64 v12, null, v12, v16, vcc_lo
	s_branch .LBB122_15
.LBB122_14:                             ;   in Loop: Header=BB122_15 Depth=2
	s_or_b32 exec_lo, exec_lo, s37
	s_wait_alu 0xfffe
	v_add_co_u32 v11, vcc_lo, v11, s28
	s_wait_alu 0xfffd
	v_add_co_ci_u32_e64 v12, null, s29, v12, vcc_lo
	s_add_nc_u64 s[30:31], s[30:31], 1
	s_wait_alu 0xfffe
	s_cmp_eq_u64 s[6:7], s[30:31]
	s_cbranch_scc1 .LBB122_2
.LBB122_15:                             ;   Parent Loop BB122_4 Depth=1
                                        ; =>  This Inner Loop Header: Depth=2
	s_mov_b32 s37, exec_lo
	s_barrier_signal -1
	s_barrier_wait -1
	global_inv scope:SCOPE_SE
	s_wait_alu 0xfffe
	v_cmpx_eq_u64_e64 s[30:31], v[1:2]
; %bb.16:                               ;   in Loop: Header=BB122_15 Depth=2
	ds_store_b64 v13, v[9:10]
; %bb.17:                               ;   in Loop: Header=BB122_15 Depth=2
	s_or_b32 exec_lo, exec_lo, s37
	s_delay_alu instid0(SALU_CYCLE_1)
	s_mov_b32 s37, exec_lo
	s_wait_loadcnt_dscnt 0x0
	s_barrier_signal -1
	s_barrier_wait -1
	global_inv scope:SCOPE_SE
	v_cmpx_lt_u64_e64 s[30:31], v[1:2]
	s_cbranch_execz .LBB122_14
; %bb.18:                               ;   in Loop: Header=BB122_15 Depth=2
	flat_load_b64 v[15:16], v[11:12]
	ds_load_b64 v[17:18], v13
	s_wait_loadcnt_dscnt 0x0
	v_fma_f64 v[9:10], -v[15:16], v[17:18], v[9:10]
	s_branch .LBB122_14
.LBB122_19:
	s_endpgm
	.section	.rodata,"a",@progbits
	.p2align	6, 0x0
	.amdhsa_kernel _ZL39rocblas_trsm_block_forward_substitutionIddPKPKdPKPdLb1ELb1ELb1EEv18rocblas_operation_llT0_T1_lllT2_lllib
		.amdhsa_group_segment_fixed_size 0
		.amdhsa_private_segment_fixed_size 0
		.amdhsa_kernarg_size 360
		.amdhsa_user_sgpr_count 2
		.amdhsa_user_sgpr_dispatch_ptr 0
		.amdhsa_user_sgpr_queue_ptr 0
		.amdhsa_user_sgpr_kernarg_segment_ptr 1
		.amdhsa_user_sgpr_dispatch_id 0
		.amdhsa_user_sgpr_private_segment_size 0
		.amdhsa_wavefront_size32 1
		.amdhsa_uses_dynamic_stack 0
		.amdhsa_enable_private_segment 0
		.amdhsa_system_sgpr_workgroup_id_x 1
		.amdhsa_system_sgpr_workgroup_id_y 1
		.amdhsa_system_sgpr_workgroup_id_z 1
		.amdhsa_system_sgpr_workgroup_info 0
		.amdhsa_system_vgpr_workitem_id 1
		.amdhsa_next_free_vgpr 19
		.amdhsa_next_free_sgpr 38
		.amdhsa_reserve_vcc 1
		.amdhsa_float_round_mode_32 0
		.amdhsa_float_round_mode_16_64 0
		.amdhsa_float_denorm_mode_32 3
		.amdhsa_float_denorm_mode_16_64 3
		.amdhsa_fp16_overflow 0
		.amdhsa_workgroup_processor_mode 1
		.amdhsa_memory_ordered 1
		.amdhsa_forward_progress 1
		.amdhsa_inst_pref_size 9
		.amdhsa_round_robin_scheduling 0
		.amdhsa_exception_fp_ieee_invalid_op 0
		.amdhsa_exception_fp_denorm_src 0
		.amdhsa_exception_fp_ieee_div_zero 0
		.amdhsa_exception_fp_ieee_overflow 0
		.amdhsa_exception_fp_ieee_underflow 0
		.amdhsa_exception_fp_ieee_inexact 0
		.amdhsa_exception_int_div_zero 0
	.end_amdhsa_kernel
	.section	.text._ZL39rocblas_trsm_block_forward_substitutionIddPKPKdPKPdLb1ELb1ELb1EEv18rocblas_operation_llT0_T1_lllT2_lllib,"axG",@progbits,_ZL39rocblas_trsm_block_forward_substitutionIddPKPKdPKPdLb1ELb1ELb1EEv18rocblas_operation_llT0_T1_lllT2_lllib,comdat
.Lfunc_end122:
	.size	_ZL39rocblas_trsm_block_forward_substitutionIddPKPKdPKPdLb1ELb1ELb1EEv18rocblas_operation_llT0_T1_lllT2_lllib, .Lfunc_end122-_ZL39rocblas_trsm_block_forward_substitutionIddPKPKdPKPdLb1ELb1ELb1EEv18rocblas_operation_llT0_T1_lllT2_lllib
                                        ; -- End function
	.set _ZL39rocblas_trsm_block_forward_substitutionIddPKPKdPKPdLb1ELb1ELb1EEv18rocblas_operation_llT0_T1_lllT2_lllib.num_vgpr, 19
	.set _ZL39rocblas_trsm_block_forward_substitutionIddPKPKdPKPdLb1ELb1ELb1EEv18rocblas_operation_llT0_T1_lllT2_lllib.num_agpr, 0
	.set _ZL39rocblas_trsm_block_forward_substitutionIddPKPKdPKPdLb1ELb1ELb1EEv18rocblas_operation_llT0_T1_lllT2_lllib.numbered_sgpr, 38
	.set _ZL39rocblas_trsm_block_forward_substitutionIddPKPKdPKPdLb1ELb1ELb1EEv18rocblas_operation_llT0_T1_lllT2_lllib.num_named_barrier, 0
	.set _ZL39rocblas_trsm_block_forward_substitutionIddPKPKdPKPdLb1ELb1ELb1EEv18rocblas_operation_llT0_T1_lllT2_lllib.private_seg_size, 0
	.set _ZL39rocblas_trsm_block_forward_substitutionIddPKPKdPKPdLb1ELb1ELb1EEv18rocblas_operation_llT0_T1_lllT2_lllib.uses_vcc, 1
	.set _ZL39rocblas_trsm_block_forward_substitutionIddPKPKdPKPdLb1ELb1ELb1EEv18rocblas_operation_llT0_T1_lllT2_lllib.uses_flat_scratch, 0
	.set _ZL39rocblas_trsm_block_forward_substitutionIddPKPKdPKPdLb1ELb1ELb1EEv18rocblas_operation_llT0_T1_lllT2_lllib.has_dyn_sized_stack, 0
	.set _ZL39rocblas_trsm_block_forward_substitutionIddPKPKdPKPdLb1ELb1ELb1EEv18rocblas_operation_llT0_T1_lllT2_lllib.has_recursion, 0
	.set _ZL39rocblas_trsm_block_forward_substitutionIddPKPKdPKPdLb1ELb1ELb1EEv18rocblas_operation_llT0_T1_lllT2_lllib.has_indirect_call, 0
	.section	.AMDGPU.csdata,"",@progbits
; Kernel info:
; codeLenInByte = 1048
; TotalNumSgprs: 40
; NumVgprs: 19
; ScratchSize: 0
; MemoryBound: 0
; FloatMode: 240
; IeeeMode: 1
; LDSByteSize: 0 bytes/workgroup (compile time only)
; SGPRBlocks: 0
; VGPRBlocks: 2
; NumSGPRsForWavesPerEU: 40
; NumVGPRsForWavesPerEU: 19
; Occupancy: 16
; WaveLimiterHint : 1
; COMPUTE_PGM_RSRC2:SCRATCH_EN: 0
; COMPUTE_PGM_RSRC2:USER_SGPR: 2
; COMPUTE_PGM_RSRC2:TRAP_HANDLER: 0
; COMPUTE_PGM_RSRC2:TGID_X_EN: 1
; COMPUTE_PGM_RSRC2:TGID_Y_EN: 1
; COMPUTE_PGM_RSRC2:TGID_Z_EN: 1
; COMPUTE_PGM_RSRC2:TIDIG_COMP_CNT: 1
	.section	.text._ZL40rocblas_trsm_block_backward_substitutionIddPKPKdPKPdLb1ELb1ELb1EEv18rocblas_operation_llT0_T1_lllT2_lllib,"axG",@progbits,_ZL40rocblas_trsm_block_backward_substitutionIddPKPKdPKPdLb1ELb1ELb1EEv18rocblas_operation_llT0_T1_lllT2_lllib,comdat
	.globl	_ZL40rocblas_trsm_block_backward_substitutionIddPKPKdPKPdLb1ELb1ELb1EEv18rocblas_operation_llT0_T1_lllT2_lllib ; -- Begin function _ZL40rocblas_trsm_block_backward_substitutionIddPKPKdPKPdLb1ELb1ELb1EEv18rocblas_operation_llT0_T1_lllT2_lllib
	.p2align	8
	.type	_ZL40rocblas_trsm_block_backward_substitutionIddPKPKdPKPdLb1ELb1ELb1EEv18rocblas_operation_llT0_T1_lllT2_lllib,@function
_ZL40rocblas_trsm_block_backward_substitutionIddPKPKdPKPdLb1ELb1ELb1EEv18rocblas_operation_llT0_T1_lllT2_lllib: ; @_ZL40rocblas_trsm_block_backward_substitutionIddPKPKdPKPdLb1ELb1ELb1EEv18rocblas_operation_llT0_T1_lllT2_lllib
; %bb.0:
	s_load_b64 s[2:3], s[0:1], 0x60
	s_lshr_b32 s20, ttmp7, 16
	s_wait_kmcnt 0x0
	s_cmp_ge_u32 s20, s2
	s_cbranch_scc1 .LBB123_19
; %bb.1:
	s_clause 0x1
	s_load_u16 s33, s[0:1], 0x76
	s_load_b64 s[26:27], s[0:1], 0x50
	v_bfe_u32 v1, v0, 10, 10
	s_bitcmp1_b32 s3, 0
	s_clause 0x1
	s_load_b128 s[12:15], s[0:1], 0x28
	s_load_b128 s[16:19], s[0:1], 0x40
	s_cselect_b32 s3, -1, 0
	s_and_b32 s4, ttmp7, 0xffff
	v_mov_b32_e32 v3, 0
	s_add_nc_u64 s[22:23], s[0:1], 0x68
	s_mov_b64 s[24:25], src_shared_base
	v_lshl_add_u32 v12, v1, 3, 0
	s_mov_b32 s21, 0
	s_wait_kmcnt 0x0
	v_mad_co_u64_u32 v[4:5], null, s4, s33, v[1:2]
	s_load_b256 s[4:11], s[0:1], 0x8
	v_and_b32_e32 v2, 0x3ff, v0
	s_lshl_b32 s1, s33, 3
	s_lshl_b64 s[12:13], s[12:13], 3
	s_add_co_i32 s24, s1, 0
	s_lshl_b64 s[18:19], s[18:19], 3
	v_mad_co_u64_u32 v[6:7], null, s26, v4, 0
	v_lshlrev_b32_e32 v0, 3, v2
	v_lshlrev_b32_e32 v14, 3, v2
	s_delay_alu instid0(VALU_DEP_2) | instskip(NEXT) | instid1(VALU_DEP_4)
	v_add_nc_u32_e32 v13, s24, v0
	v_mov_b32_e32 v5, v7
	s_delay_alu instid0(VALU_DEP_1)
	v_mad_co_u64_u32 v[7:8], null, s27, v4, v[5:6]
	v_mov_b32_e32 v5, v3
	s_wait_kmcnt 0x0
	v_cmp_gt_i64_e64 s0, s[4:5], v[2:3]
	v_cmp_gt_i64_e64 s34, s[4:5], 0
	;; [unrolled: 1-line block ×3, first 2 shown]
	s_add_nc_u64 s[26:27], s[4:5], -1
	v_cmp_gt_i64_e32 vcc_lo, s[6:7], v[4:5]
	v_lshlrev_b64_e32 v[4:5], 3, v[6:7]
	s_wait_alu 0xfffe
	s_lshl_b64 s[6:7], s[26:27], 3
	s_and_b32 s35, vcc_lo, s0
	s_branch .LBB123_4
.LBB123_2:                              ;   in Loop: Header=BB123_4 Depth=1
	flat_store_b64 v[6:7], v[8:9]
.LBB123_3:                              ;   in Loop: Header=BB123_4 Depth=1
	s_or_b32 exec_lo, exec_lo, s1
	s_add_co_i32 s20, s20, 0x10000
	s_delay_alu instid0(SALU_CYCLE_1)
	s_cmp_lt_u32 s20, s2
	s_cbranch_scc0 .LBB123_19
.LBB123_4:                              ; =>This Loop Header: Depth=1
                                        ;     Child Loop BB123_9 Depth 2
                                        ;     Child Loop BB123_15 Depth 2
	s_lshl_b64 s[28:29], s[20:21], 3
	s_wait_alu 0xfffe
	s_add_nc_u64 s[30:31], s[10:11], s[28:29]
	s_add_nc_u64 s[28:29], s[16:17], s[28:29]
	global_load_b64 v[8:9], v3, s[30:31]
	s_wait_loadcnt 0x1
	global_load_b64 v[6:7], v3, s[28:29]
	s_mov_b64 s[28:29], s[14:15]
	s_wait_loadcnt 0x1
	v_add_co_u32 v10, vcc_lo, v8, s12
	s_wait_alu 0xfffd
	v_add_co_ci_u32_e64 v11, null, s13, v9, vcc_lo
	s_and_not1_b32 vcc_lo, exec_lo, s3
	s_wait_alu 0xfffe
	s_cbranch_vccz .LBB123_6
; %bb.5:                                ;   in Loop: Header=BB123_4 Depth=1
	s_and_saveexec_b32 s1, s35
	s_cbranch_execz .LBB123_3
	s_branch .LBB123_12
.LBB123_6:                              ;   in Loop: Header=BB123_4 Depth=1
	s_and_not1_b32 vcc_lo, exec_lo, s34
	s_wait_alu 0xfffe
	s_cbranch_vccnz .LBB123_11
; %bb.7:                                ;   in Loop: Header=BB123_4 Depth=1
	v_add_co_u32 v10, vcc_lo, v10, v14
	s_wait_alu 0xfffd
	v_add_co_ci_u32_e64 v11, null, 0, v11, vcc_lo
	s_mov_b32 s28, 0
	s_branch .LBB123_9
.LBB123_8:                              ;   in Loop: Header=BB123_9 Depth=2
	s_or_b32 exec_lo, exec_lo, s1
	s_add_co_i32 s28, s28, s33
	s_wait_alu 0xfffe
	s_ashr_i32 s29, s28, 31
	s_wait_alu 0xfffe
	v_cmp_le_i64_e64 s1, s[4:5], s[28:29]
	s_and_b32 vcc_lo, exec_lo, s1
	s_wait_alu 0xfffe
	s_cbranch_vccnz .LBB123_11
.LBB123_9:                              ;   Parent Loop BB123_4 Depth=1
                                        ; =>  This Inner Loop Header: Depth=2
	s_wait_alu 0xfffe
	v_add_nc_u32_e32 v8, s28, v1
	s_delay_alu instid0(VALU_DEP_1) | instskip(SKIP_1) | instid1(VALU_DEP_2)
	v_ashrrev_i32_e32 v9, 31, v8
	v_cmp_lt_i32_e64 s1, v2, v8
	v_cmp_gt_i64_e32 vcc_lo, s[4:5], v[8:9]
	s_and_b32 s1, s1, vcc_lo
	s_delay_alu instid0(SALU_CYCLE_1)
	s_and_b32 s29, s0, s1
	s_wait_alu 0xfffe
	s_and_saveexec_b32 s1, s29
	s_cbranch_execz .LBB123_8
; %bb.10:                               ;   in Loop: Header=BB123_9 Depth=2
	v_mul_lo_u32 v17, s15, v8
	v_mul_lo_u32 v9, s14, v9
	v_mad_co_u64_u32 v[15:16], null, s14, v8, 0
	s_load_b32 s29, s[22:23], 0xc
	v_add3_u32 v16, v16, v9, v17
	s_delay_alu instid0(VALU_DEP_1) | instskip(NEXT) | instid1(VALU_DEP_1)
	v_lshlrev_b64_e32 v[15:16], 3, v[15:16]
	v_add_co_u32 v15, vcc_lo, v10, v15
	s_wait_alu 0xfffd
	s_delay_alu instid0(VALU_DEP_2)
	v_add_co_ci_u32_e64 v16, null, v11, v16, vcc_lo
	s_wait_kmcnt 0x0
	s_and_b32 s29, s29, 0xffff
	s_wait_alu 0xfffe
	v_mul_lo_u32 v8, v8, s29
	flat_load_b64 v[15:16], v[15:16]
	v_lshl_add_u32 v8, v8, 3, v13
	s_wait_loadcnt_dscnt 0x0
	ds_store_b64 v8, v[15:16]
	s_branch .LBB123_8
.LBB123_11:                             ;   in Loop: Header=BB123_4 Depth=1
	s_load_b32 s1, s[22:23], 0xc
	v_dual_mov_b32 v10, s24 :: v_dual_mov_b32 v11, s25
	s_mov_b32 s29, s21
	s_wait_kmcnt 0x0
	s_and_b32 s28, s1, 0xffff
	s_and_saveexec_b32 s1, s35
	s_cbranch_execz .LBB123_3
.LBB123_12:                             ;   in Loop: Header=BB123_4 Depth=1
	s_wait_loadcnt 0x0
	v_add_co_u32 v6, vcc_lo, v6, s18
	s_wait_alu 0xfffd
	v_add_co_ci_u32_e64 v7, null, s19, v7, vcc_lo
	s_delay_alu instid0(VALU_DEP_2) | instskip(SKIP_1) | instid1(VALU_DEP_2)
	v_add_co_u32 v6, vcc_lo, v6, v4
	s_wait_alu 0xfffd
	v_add_co_ci_u32_e64 v7, null, v7, v5, vcc_lo
	s_delay_alu instid0(VALU_DEP_2) | instskip(SKIP_1) | instid1(VALU_DEP_2)
	v_add_co_u32 v6, vcc_lo, v6, v14
	s_wait_alu 0xfffd
	v_add_co_ci_u32_e64 v7, null, 0, v7, vcc_lo
	s_and_not1_b32 vcc_lo, exec_lo, s36
	flat_load_b64 v[8:9], v[6:7]
	s_wait_loadcnt_dscnt 0x0
	v_mul_f64_e32 v[8:9], s[8:9], v[8:9]
	s_wait_alu 0xfffe
	s_cbranch_vccnz .LBB123_2
; %bb.13:                               ;   in Loop: Header=BB123_4 Depth=1
	v_add_co_u32 v10, vcc_lo, v10, v0
	s_wait_alu 0xfffd
	v_add_co_ci_u32_e64 v11, null, 0, v11, vcc_lo
	s_mul_i32 s30, s7, s28
	s_mul_i32 s31, s6, s29
	v_mad_co_u64_u32 v[10:11], null, s6, s28, v[10:11]
	s_lshl_b64 s[28:29], s[28:29], 3
	s_wait_alu 0xfffe
	s_sub_nc_u64 s[28:29], 0, s[28:29]
	v_add3_u32 v11, s31, s30, v11
	s_mov_b64 s[30:31], s[26:27]
	s_branch .LBB123_15
.LBB123_14:                             ;   in Loop: Header=BB123_15 Depth=2
	s_or_b32 exec_lo, exec_lo, s37
	s_add_nc_u64 s[38:39], s[30:31], 1
	v_add_co_u32 v10, vcc_lo, v10, s28
	s_wait_alu 0xfffe
	v_cmp_lt_u64_e64 s37, s[38:39], 3
	s_wait_alu 0xfffd
	v_add_co_ci_u32_e64 v11, null, s29, v11, vcc_lo
	s_add_nc_u64 s[30:31], s[30:31], -1
	s_and_b32 vcc_lo, exec_lo, s37
	s_wait_alu 0xfffe
	s_cbranch_vccnz .LBB123_2
.LBB123_15:                             ;   Parent Loop BB123_4 Depth=1
                                        ; =>  This Inner Loop Header: Depth=2
	s_mov_b32 s37, exec_lo
	s_barrier_signal -1
	s_barrier_wait -1
	global_inv scope:SCOPE_SE
	s_wait_alu 0xfffe
	v_cmpx_eq_u64_e64 s[30:31], v[2:3]
; %bb.16:                               ;   in Loop: Header=BB123_15 Depth=2
	ds_store_b64 v12, v[8:9]
; %bb.17:                               ;   in Loop: Header=BB123_15 Depth=2
	s_or_b32 exec_lo, exec_lo, s37
	s_delay_alu instid0(SALU_CYCLE_1)
	s_mov_b32 s37, exec_lo
	s_wait_loadcnt_dscnt 0x0
	s_barrier_signal -1
	s_barrier_wait -1
	global_inv scope:SCOPE_SE
	v_cmpx_gt_i64_e64 s[30:31], v[2:3]
	s_cbranch_execz .LBB123_14
; %bb.18:                               ;   in Loop: Header=BB123_15 Depth=2
	flat_load_b64 v[15:16], v[10:11]
	ds_load_b64 v[17:18], v12
	s_wait_loadcnt_dscnt 0x0
	v_fma_f64 v[8:9], -v[15:16], v[17:18], v[8:9]
	s_branch .LBB123_14
.LBB123_19:
	s_endpgm
	.section	.rodata,"a",@progbits
	.p2align	6, 0x0
	.amdhsa_kernel _ZL40rocblas_trsm_block_backward_substitutionIddPKPKdPKPdLb1ELb1ELb1EEv18rocblas_operation_llT0_T1_lllT2_lllib
		.amdhsa_group_segment_fixed_size 0
		.amdhsa_private_segment_fixed_size 0
		.amdhsa_kernarg_size 360
		.amdhsa_user_sgpr_count 2
		.amdhsa_user_sgpr_dispatch_ptr 0
		.amdhsa_user_sgpr_queue_ptr 0
		.amdhsa_user_sgpr_kernarg_segment_ptr 1
		.amdhsa_user_sgpr_dispatch_id 0
		.amdhsa_user_sgpr_private_segment_size 0
		.amdhsa_wavefront_size32 1
		.amdhsa_uses_dynamic_stack 0
		.amdhsa_enable_private_segment 0
		.amdhsa_system_sgpr_workgroup_id_x 1
		.amdhsa_system_sgpr_workgroup_id_y 1
		.amdhsa_system_sgpr_workgroup_id_z 1
		.amdhsa_system_sgpr_workgroup_info 0
		.amdhsa_system_vgpr_workitem_id 1
		.amdhsa_next_free_vgpr 19
		.amdhsa_next_free_sgpr 40
		.amdhsa_reserve_vcc 1
		.amdhsa_float_round_mode_32 0
		.amdhsa_float_round_mode_16_64 0
		.amdhsa_float_denorm_mode_32 3
		.amdhsa_float_denorm_mode_16_64 3
		.amdhsa_fp16_overflow 0
		.amdhsa_workgroup_processor_mode 1
		.amdhsa_memory_ordered 1
		.amdhsa_forward_progress 1
		.amdhsa_inst_pref_size 9
		.amdhsa_round_robin_scheduling 0
		.amdhsa_exception_fp_ieee_invalid_op 0
		.amdhsa_exception_fp_denorm_src 0
		.amdhsa_exception_fp_ieee_div_zero 0
		.amdhsa_exception_fp_ieee_overflow 0
		.amdhsa_exception_fp_ieee_underflow 0
		.amdhsa_exception_fp_ieee_inexact 0
		.amdhsa_exception_int_div_zero 0
	.end_amdhsa_kernel
	.section	.text._ZL40rocblas_trsm_block_backward_substitutionIddPKPKdPKPdLb1ELb1ELb1EEv18rocblas_operation_llT0_T1_lllT2_lllib,"axG",@progbits,_ZL40rocblas_trsm_block_backward_substitutionIddPKPKdPKPdLb1ELb1ELb1EEv18rocblas_operation_llT0_T1_lllT2_lllib,comdat
.Lfunc_end123:
	.size	_ZL40rocblas_trsm_block_backward_substitutionIddPKPKdPKPdLb1ELb1ELb1EEv18rocblas_operation_llT0_T1_lllT2_lllib, .Lfunc_end123-_ZL40rocblas_trsm_block_backward_substitutionIddPKPKdPKPdLb1ELb1ELb1EEv18rocblas_operation_llT0_T1_lllT2_lllib
                                        ; -- End function
	.set _ZL40rocblas_trsm_block_backward_substitutionIddPKPKdPKPdLb1ELb1ELb1EEv18rocblas_operation_llT0_T1_lllT2_lllib.num_vgpr, 19
	.set _ZL40rocblas_trsm_block_backward_substitutionIddPKPKdPKPdLb1ELb1ELb1EEv18rocblas_operation_llT0_T1_lllT2_lllib.num_agpr, 0
	.set _ZL40rocblas_trsm_block_backward_substitutionIddPKPKdPKPdLb1ELb1ELb1EEv18rocblas_operation_llT0_T1_lllT2_lllib.numbered_sgpr, 40
	.set _ZL40rocblas_trsm_block_backward_substitutionIddPKPKdPKPdLb1ELb1ELb1EEv18rocblas_operation_llT0_T1_lllT2_lllib.num_named_barrier, 0
	.set _ZL40rocblas_trsm_block_backward_substitutionIddPKPKdPKPdLb1ELb1ELb1EEv18rocblas_operation_llT0_T1_lllT2_lllib.private_seg_size, 0
	.set _ZL40rocblas_trsm_block_backward_substitutionIddPKPKdPKPdLb1ELb1ELb1EEv18rocblas_operation_llT0_T1_lllT2_lllib.uses_vcc, 1
	.set _ZL40rocblas_trsm_block_backward_substitutionIddPKPKdPKPdLb1ELb1ELb1EEv18rocblas_operation_llT0_T1_lllT2_lllib.uses_flat_scratch, 0
	.set _ZL40rocblas_trsm_block_backward_substitutionIddPKPKdPKPdLb1ELb1ELb1EEv18rocblas_operation_llT0_T1_lllT2_lllib.has_dyn_sized_stack, 0
	.set _ZL40rocblas_trsm_block_backward_substitutionIddPKPKdPKPdLb1ELb1ELb1EEv18rocblas_operation_llT0_T1_lllT2_lllib.has_recursion, 0
	.set _ZL40rocblas_trsm_block_backward_substitutionIddPKPKdPKPdLb1ELb1ELb1EEv18rocblas_operation_llT0_T1_lllT2_lllib.has_indirect_call, 0
	.section	.AMDGPU.csdata,"",@progbits
; Kernel info:
; codeLenInByte = 1052
; TotalNumSgprs: 42
; NumVgprs: 19
; ScratchSize: 0
; MemoryBound: 0
; FloatMode: 240
; IeeeMode: 1
; LDSByteSize: 0 bytes/workgroup (compile time only)
; SGPRBlocks: 0
; VGPRBlocks: 2
; NumSGPRsForWavesPerEU: 42
; NumVGPRsForWavesPerEU: 19
; Occupancy: 16
; WaveLimiterHint : 1
; COMPUTE_PGM_RSRC2:SCRATCH_EN: 0
; COMPUTE_PGM_RSRC2:USER_SGPR: 2
; COMPUTE_PGM_RSRC2:TRAP_HANDLER: 0
; COMPUTE_PGM_RSRC2:TGID_X_EN: 1
; COMPUTE_PGM_RSRC2:TGID_Y_EN: 1
; COMPUTE_PGM_RSRC2:TGID_Z_EN: 1
; COMPUTE_PGM_RSRC2:TIDIG_COMP_CNT: 1
	.section	.text._ZL39rocblas_trsm_block_forward_substitutionIddPKPKdPKPdLb1ELb0ELb0EEv18rocblas_operation_llT0_T1_lllT2_lllib,"axG",@progbits,_ZL39rocblas_trsm_block_forward_substitutionIddPKPKdPKPdLb1ELb0ELb0EEv18rocblas_operation_llT0_T1_lllT2_lllib,comdat
	.globl	_ZL39rocblas_trsm_block_forward_substitutionIddPKPKdPKPdLb1ELb0ELb0EEv18rocblas_operation_llT0_T1_lllT2_lllib ; -- Begin function _ZL39rocblas_trsm_block_forward_substitutionIddPKPKdPKPdLb1ELb0ELb0EEv18rocblas_operation_llT0_T1_lllT2_lllib
	.p2align	8
	.type	_ZL39rocblas_trsm_block_forward_substitutionIddPKPKdPKPdLb1ELb0ELb0EEv18rocblas_operation_llT0_T1_lllT2_lllib,@function
_ZL39rocblas_trsm_block_forward_substitutionIddPKPKdPKPdLb1ELb0ELb0EEv18rocblas_operation_llT0_T1_lllT2_lllib: ; @_ZL39rocblas_trsm_block_forward_substitutionIddPKPKdPKPdLb1ELb0ELb0EEv18rocblas_operation_llT0_T1_lllT2_lllib
; %bb.0:
	s_load_b64 s[20:21], s[0:1], 0x60
	s_lshr_b32 s22, ttmp7, 16
	s_wait_kmcnt 0x0
	s_cmp_ge_u32 s22, s20
	s_cbranch_scc1 .LBB124_27
; %bb.1:
	s_clause 0x1
	s_load_u16 s33, s[0:1], 0x76
	s_load_b64 s[30:31], s[0:1], 0x50
	v_bfe_u32 v1, v0, 10, 10
	s_bitcmp1_b32 s21, 0
	s_load_b256 s[4:11], s[0:1], 0x8
	s_cselect_b32 s2, -1, 0
	s_and_b32 s3, ttmp7, 0xffff
	s_clause 0x1
	s_load_b128 s[16:19], s[0:1], 0x28
	s_load_b128 s[12:15], s[0:1], 0x40
	s_add_nc_u64 s[24:25], s[0:1], 0x68
	s_mov_b64 s[26:27], src_shared_base
	s_mov_b32 s23, 0
	s_mov_b64 s[28:29], 1
	v_mov_b32_e32 v3, 0
	s_wait_kmcnt 0x0
	v_mad_co_u64_u32 v[4:5], null, s3, s33, v[1:2]
	v_and_b32_e32 v2, 0x3ff, v0
	s_lshl_b32 s0, s33, 3
	v_cmp_gt_i64_e64 s21, s[4:5], 0
	v_mov_b32_e32 v5, v3
	s_add_co_i32 s26, s0, 0
	v_cmp_gt_i64_e64 s1, s[4:5], v[2:3]
	v_mad_co_u64_u32 v[6:7], null, s30, v4, 0
	s_delay_alu instid0(VALU_DEP_3)
	v_cmp_gt_i64_e64 s3, s[6:7], v[4:5]
	v_cmp_le_i64_e32 vcc_lo, s[4:5], v[2:3]
	v_lshl_add_u32 v0, v1, 3, 0
	v_lshl_add_u32 v16, v2, 3, s26
	v_lshlrev_b32_e32 v17, 3, v2
	s_lshl_b64 s[6:7], s[16:17], 3
	v_mad_co_u64_u32 v[7:8], null, s31, v4, v[7:8]
	s_add_nc_u64 s[30:31], s[4:5], -1
	s_and_b32 s1, s3, s1
	s_wait_alu 0xfffe
	v_cmp_eq_u64_e64 s0, s[30:31], v[2:3]
	v_cmp_gt_i64_e64 s3, s[4:5], 1
	s_lshl_b64 s[14:15], s[14:15], 3
	s_xor_b32 s36, vcc_lo, -1
	v_lshlrev_b64_e32 v[4:5], 3, v[6:7]
	s_branch .LBB124_4
.LBB124_2:                              ;   in Loop: Header=BB124_4 Depth=1
	s_wait_alu 0xfffe
	s_or_b32 exec_lo, exec_lo, s16
	flat_store_b64 v[8:9], v[10:11]
.LBB124_3:                              ;   in Loop: Header=BB124_4 Depth=1
	s_or_b32 exec_lo, exec_lo, s37
	s_add_co_i32 s22, s22, 0x10000
	s_delay_alu instid0(SALU_CYCLE_1)
	s_cmp_lt_u32 s22, s20
	s_cbranch_scc0 .LBB124_27
.LBB124_4:                              ; =>This Loop Header: Depth=1
                                        ;     Child Loop BB124_9 Depth 2
                                        ;     Child Loop BB124_21 Depth 2
	s_lshl_b64 s[16:17], s[22:23], 3
	s_wait_alu 0xfffe
	s_add_nc_u64 s[34:35], s[10:11], s[16:17]
	s_add_nc_u64 s[16:17], s[12:13], s[16:17]
	global_load_b64 v[6:7], v3, s[34:35]
	s_wait_loadcnt 0x1
	global_load_b64 v[8:9], v3, s[16:17]
	s_wait_loadcnt 0x1
	v_add_co_u32 v6, vcc_lo, v6, s6
	s_wait_alu 0xfffd
	v_add_co_ci_u32_e64 v7, null, s7, v7, vcc_lo
	s_and_not1_b32 vcc_lo, exec_lo, s2
	s_wait_alu 0xfffe
	s_cbranch_vccz .LBB124_6
; %bb.5:                                ;   in Loop: Header=BB124_4 Depth=1
	s_and_saveexec_b32 s37, s1
	s_cbranch_execz .LBB124_3
	s_branch .LBB124_18
.LBB124_6:                              ;   in Loop: Header=BB124_4 Depth=1
	s_and_not1_b32 vcc_lo, exec_lo, s21
	s_wait_alu 0xfffe
	s_cbranch_vccnz .LBB124_17
; %bb.7:                                ;   in Loop: Header=BB124_4 Depth=1
	s_wait_dscnt 0x0
	v_mad_co_u64_u32 v[10:11], null, s18, v2, 0
	v_mul_hi_u32_u24_e32 v13, s28, v2
	s_mov_b32 s16, s33
	s_delay_alu instid0(VALU_DEP_2) | instskip(SKIP_1) | instid1(VALU_DEP_1)
	v_mad_co_u64_u32 v[11:12], null, s19, v2, v[11:12]
	v_mul_u32_u24_e32 v12, s28, v2
	v_lshlrev_b64_e32 v[14:15], 3, v[12:13]
	s_delay_alu instid0(VALU_DEP_3) | instskip(NEXT) | instid1(VALU_DEP_1)
	v_lshlrev_b64_e32 v[10:11], 3, v[10:11]
	v_add_co_u32 v12, vcc_lo, v6, v10
	s_wait_alu 0xfffd
	s_delay_alu instid0(VALU_DEP_2) | instskip(NEXT) | instid1(VALU_DEP_2)
	v_add_co_ci_u32_e64 v13, null, v7, v11, vcc_lo
	v_add_co_u32 v6, vcc_lo, v12, v14
	s_wait_alu 0xfffd
	s_delay_alu instid0(VALU_DEP_2)
	v_add_co_ci_u32_e64 v7, null, v13, v15, vcc_lo
	v_mov_b32_e32 v14, v1
	s_branch .LBB124_9
.LBB124_8:                              ;   in Loop: Header=BB124_9 Depth=2
	s_wait_alu 0xfffe
	s_or_b32 exec_lo, exec_lo, s18
	s_ashr_i32 s17, s16, 31
	v_add_nc_u32_e32 v14, s33, v14
	s_wait_alu 0xfffe
	v_cmp_le_i64_e64 s17, s[4:5], s[16:17]
	s_add_co_i32 s16, s16, s33
	s_and_b32 vcc_lo, exec_lo, s17
	s_wait_alu 0xfffe
	s_cbranch_vccnz .LBB124_17
.LBB124_9:                              ;   Parent Loop BB124_4 Depth=1
                                        ; =>  This Inner Loop Header: Depth=2
	s_delay_alu instid0(VALU_DEP_1)
	v_cmp_gt_i32_e32 vcc_lo, v2, v14
	s_mov_b32 s17, 0
                                        ; implicit-def: $vgpr10_vgpr11
	s_and_b32 s18, s36, vcc_lo
	s_wait_alu 0xfffe
	s_and_saveexec_b32 s19, s18
	s_wait_alu 0xfffe
	s_xor_b32 s18, exec_lo, s19
	s_cbranch_execnz .LBB124_12
; %bb.10:                               ;   in Loop: Header=BB124_9 Depth=2
	s_wait_alu 0xfffe
	s_or_saveexec_b32 s18, s18
	v_mov_b32_e32 v15, v14
	s_wait_alu 0xfffe
	s_xor_b32 exec_lo, exec_lo, s18
	s_cbranch_execnz .LBB124_13
.LBB124_11:                             ;   in Loop: Header=BB124_9 Depth=2
	s_or_b32 exec_lo, exec_lo, s18
	s_and_saveexec_b32 s18, s17
	s_cbranch_execz .LBB124_8
	s_branch .LBB124_16
.LBB124_12:                             ;   in Loop: Header=BB124_9 Depth=2
	v_ashrrev_i32_e32 v15, 31, v14
	v_mul_lo_u32 v18, s29, v14
	s_wait_loadcnt_dscnt 0x0
	v_mad_co_u64_u32 v[10:11], null, s28, v14, 0
	s_mov_b32 s17, exec_lo
	v_mul_lo_u32 v15, s28, v15
	s_delay_alu instid0(VALU_DEP_1) | instskip(NEXT) | instid1(VALU_DEP_1)
	v_add3_u32 v11, v11, v15, v18
	v_lshlrev_b64_e32 v[10:11], 3, v[10:11]
	s_delay_alu instid0(VALU_DEP_1) | instskip(SKIP_1) | instid1(VALU_DEP_2)
	v_add_co_u32 v10, vcc_lo, v12, v10
	s_wait_alu 0xfffd
	v_add_co_ci_u32_e64 v11, null, v13, v11, vcc_lo
	flat_load_b64 v[10:11], v[10:11]
	s_wait_alu 0xfffe
	s_or_saveexec_b32 s18, s18
	v_mov_b32_e32 v15, v14
	s_wait_alu 0xfffe
	s_xor_b32 exec_lo, exec_lo, s18
	s_cbranch_execz .LBB124_11
.LBB124_13:                             ;   in Loop: Header=BB124_9 Depth=2
	v_cmp_eq_u32_e32 vcc_lo, v2, v14
	s_mov_b32 s34, s17
                                        ; implicit-def: $vgpr10_vgpr11
	s_and_b32 s35, s36, vcc_lo
	s_wait_alu 0xfffe
	s_and_saveexec_b32 s19, s35
	s_cbranch_execz .LBB124_15
; %bb.14:                               ;   in Loop: Header=BB124_9 Depth=2
	s_wait_loadcnt_dscnt 0x0
	flat_load_b64 v[10:11], v[6:7]
	s_or_b32 s34, s17, exec_lo
	s_wait_loadcnt_dscnt 0x0
	v_div_scale_f64 v[18:19], null, v[10:11], v[10:11], 1.0
	s_delay_alu instid0(VALU_DEP_1) | instskip(NEXT) | instid1(TRANS32_DEP_1)
	v_rcp_f64_e32 v[20:21], v[18:19]
	v_fma_f64 v[22:23], -v[18:19], v[20:21], 1.0
	s_delay_alu instid0(VALU_DEP_1) | instskip(NEXT) | instid1(VALU_DEP_1)
	v_fma_f64 v[20:21], v[20:21], v[22:23], v[20:21]
	v_fma_f64 v[22:23], -v[18:19], v[20:21], 1.0
	s_delay_alu instid0(VALU_DEP_1) | instskip(SKIP_1) | instid1(VALU_DEP_1)
	v_fma_f64 v[20:21], v[20:21], v[22:23], v[20:21]
	v_div_scale_f64 v[22:23], vcc_lo, 1.0, v[10:11], 1.0
	v_mul_f64_e32 v[24:25], v[22:23], v[20:21]
	s_delay_alu instid0(VALU_DEP_1) | instskip(SKIP_1) | instid1(VALU_DEP_1)
	v_fma_f64 v[18:19], -v[18:19], v[24:25], v[22:23]
	s_wait_alu 0xfffd
	v_div_fmas_f64 v[18:19], v[18:19], v[20:21], v[24:25]
	s_delay_alu instid0(VALU_DEP_1)
	v_div_fixup_f64 v[10:11], v[18:19], v[10:11], 1.0
.LBB124_15:                             ;   in Loop: Header=BB124_9 Depth=2
	s_wait_alu 0xfffe
	s_or_b32 exec_lo, exec_lo, s19
	v_mov_b32_e32 v15, v2
	s_and_not1_b32 s17, s17, exec_lo
	s_and_b32 s19, s34, exec_lo
	s_wait_alu 0xfffe
	s_or_b32 s17, s17, s19
	s_or_b32 exec_lo, exec_lo, s18
	s_wait_alu 0xfffe
	s_and_saveexec_b32 s18, s17
	s_cbranch_execz .LBB124_8
.LBB124_16:                             ;   in Loop: Header=BB124_9 Depth=2
	s_load_b32 s17, s[24:25], 0xc
	s_wait_kmcnt 0x0
	s_and_b32 s17, s17, 0xffff
	s_wait_alu 0xfffe
	v_mul_lo_u32 v15, v15, s17
	s_delay_alu instid0(VALU_DEP_1)
	v_lshl_add_u32 v15, v15, 3, v16
	s_wait_loadcnt_dscnt 0x0
	ds_store_b64 v15, v[10:11]
	s_branch .LBB124_8
.LBB124_17:                             ;   in Loop: Header=BB124_4 Depth=1
	s_load_b32 s16, s[24:25], 0xc
	v_dual_mov_b32 v6, s26 :: v_dual_mov_b32 v7, s27
	s_mov_b32 s29, s23
	s_mov_b64 s[18:19], 1
	s_wait_kmcnt 0x0
	s_and_b32 s28, s16, 0xffff
	s_and_saveexec_b32 s37, s1
	s_cbranch_execz .LBB124_3
.LBB124_18:                             ;   in Loop: Header=BB124_4 Depth=1
	s_wait_loadcnt 0x0
	v_add_co_u32 v8, vcc_lo, v8, s14
	s_wait_alu 0xfffd
	v_add_co_ci_u32_e64 v9, null, s15, v9, vcc_lo
	s_delay_alu instid0(VALU_DEP_2) | instskip(SKIP_1) | instid1(VALU_DEP_2)
	v_add_co_u32 v8, vcc_lo, v8, v4
	s_wait_alu 0xfffd
	v_add_co_ci_u32_e64 v9, null, v9, v5, vcc_lo
	s_delay_alu instid0(VALU_DEP_2) | instskip(SKIP_1) | instid1(VALU_DEP_2)
	v_add_co_u32 v8, vcc_lo, v8, v17
	s_wait_alu 0xfffd
	v_add_co_ci_u32_e64 v9, null, 0, v9, vcc_lo
	s_and_not1_b32 vcc_lo, exec_lo, s3
	s_wait_dscnt 0x0
	flat_load_b64 v[10:11], v[8:9]
	s_wait_loadcnt_dscnt 0x0
	v_mul_f64_e32 v[10:11], s[8:9], v[10:11]
	s_wait_alu 0xfffe
	s_cbranch_vccnz .LBB124_25
; %bb.19:                               ;   in Loop: Header=BB124_4 Depth=1
	s_add_nc_u64 s[16:17], s[28:29], s[18:19]
	v_mad_co_u64_u32 v[14:15], null, s18, v2, 0
	s_wait_alu 0xfffe
	v_mad_co_u64_u32 v[12:13], null, s16, v2, 0
	s_mov_b64 s[34:35], 0
	v_mad_co_u64_u32 v[18:19], null, s17, v2, v[13:14]
	v_mad_co_u64_u32 v[19:20], null, s19, v2, v[15:16]
	s_lshl_b64 s[16:17], s[28:29], 3
	v_mov_b32_e32 v13, v18
	v_mov_b32_e32 v15, v19
	s_delay_alu instid0(VALU_DEP_2) | instskip(NEXT) | instid1(VALU_DEP_2)
	v_lshlrev_b64_e32 v[12:13], 3, v[12:13]
	v_lshlrev_b64_e32 v[14:15], 3, v[14:15]
	s_delay_alu instid0(VALU_DEP_2) | instskip(SKIP_1) | instid1(VALU_DEP_3)
	v_add_co_u32 v12, vcc_lo, v6, v12
	s_wait_alu 0xfffd
	v_add_co_ci_u32_e64 v13, null, v7, v13, vcc_lo
	s_delay_alu instid0(VALU_DEP_3)
	v_add_co_u32 v14, vcc_lo, v6, v14
	s_wait_alu 0xfffd
	v_add_co_ci_u32_e64 v15, null, v7, v15, vcc_lo
	s_branch .LBB124_21
.LBB124_20:                             ;   in Loop: Header=BB124_21 Depth=2
	s_or_b32 exec_lo, exec_lo, s38
	s_wait_alu 0xfffe
	v_add_co_u32 v14, vcc_lo, v14, s16
	s_wait_alu 0xfffd
	v_add_co_ci_u32_e64 v15, null, s17, v15, vcc_lo
	s_add_nc_u64 s[34:35], s[34:35], 1
	s_wait_alu 0xfffe
	s_cmp_eq_u64 s[30:31], s[34:35]
	s_cbranch_scc1 .LBB124_25
.LBB124_21:                             ;   Parent Loop BB124_4 Depth=1
                                        ; =>  This Inner Loop Header: Depth=2
	s_mov_b32 s38, exec_lo
	s_barrier_signal -1
	s_barrier_wait -1
	global_inv scope:SCOPE_SE
	s_wait_alu 0xfffe
	v_cmpx_eq_u64_e64 s[34:35], v[2:3]
	s_cbranch_execz .LBB124_23
; %bb.22:                               ;   in Loop: Header=BB124_21 Depth=2
	flat_load_b64 v[18:19], v[12:13]
	s_wait_loadcnt_dscnt 0x0
	v_div_scale_f64 v[20:21], null, v[18:19], v[18:19], 1.0
	v_div_scale_f64 v[26:27], vcc_lo, 1.0, v[18:19], 1.0
	s_delay_alu instid0(VALU_DEP_2) | instskip(NEXT) | instid1(TRANS32_DEP_1)
	v_rcp_f64_e32 v[22:23], v[20:21]
	v_fma_f64 v[24:25], -v[20:21], v[22:23], 1.0
	s_delay_alu instid0(VALU_DEP_1) | instskip(NEXT) | instid1(VALU_DEP_1)
	v_fma_f64 v[22:23], v[22:23], v[24:25], v[22:23]
	v_fma_f64 v[24:25], -v[20:21], v[22:23], 1.0
	s_delay_alu instid0(VALU_DEP_1) | instskip(NEXT) | instid1(VALU_DEP_1)
	v_fma_f64 v[22:23], v[22:23], v[24:25], v[22:23]
	v_mul_f64_e32 v[24:25], v[26:27], v[22:23]
	s_delay_alu instid0(VALU_DEP_1) | instskip(SKIP_1) | instid1(VALU_DEP_1)
	v_fma_f64 v[20:21], -v[20:21], v[24:25], v[26:27]
	s_wait_alu 0xfffd
	v_div_fmas_f64 v[20:21], v[20:21], v[22:23], v[24:25]
	s_delay_alu instid0(VALU_DEP_1) | instskip(NEXT) | instid1(VALU_DEP_1)
	v_div_fixup_f64 v[20:21], v[20:21], v[18:19], 1.0
	v_cndmask_b32_e64 v19, v21, v19, s2
	s_delay_alu instid0(VALU_DEP_2) | instskip(NEXT) | instid1(VALU_DEP_1)
	v_cndmask_b32_e64 v18, v20, v18, s2
	v_mul_f64_e32 v[10:11], v[10:11], v[18:19]
	ds_store_b64 v0, v[10:11]
.LBB124_23:                             ;   in Loop: Header=BB124_21 Depth=2
	s_or_b32 exec_lo, exec_lo, s38
	s_delay_alu instid0(SALU_CYCLE_1)
	s_mov_b32 s38, exec_lo
	s_wait_loadcnt_dscnt 0x0
	s_barrier_signal -1
	s_barrier_wait -1
	global_inv scope:SCOPE_SE
	v_cmpx_lt_u64_e64 s[34:35], v[2:3]
	s_cbranch_execz .LBB124_20
; %bb.24:                               ;   in Loop: Header=BB124_21 Depth=2
	flat_load_b64 v[18:19], v[14:15]
	ds_load_b64 v[20:21], v0
	s_wait_loadcnt_dscnt 0x0
	v_fma_f64 v[10:11], -v[18:19], v[20:21], v[10:11]
	s_branch .LBB124_20
.LBB124_25:                             ;   in Loop: Header=BB124_4 Depth=1
	s_and_saveexec_b32 s16, s0
	s_cbranch_execz .LBB124_2
; %bb.26:                               ;   in Loop: Header=BB124_4 Depth=1
	s_add_nc_u64 s[34:35], s[28:29], s[18:19]
	s_wait_alu 0xfffe
	v_mad_co_u64_u32 v[12:13], null, s34, v2, 0
	s_delay_alu instid0(VALU_DEP_1) | instskip(NEXT) | instid1(VALU_DEP_1)
	v_mad_co_u64_u32 v[13:14], null, s35, v2, v[13:14]
	v_lshlrev_b64_e32 v[12:13], 3, v[12:13]
	s_delay_alu instid0(VALU_DEP_1) | instskip(SKIP_1) | instid1(VALU_DEP_2)
	v_add_co_u32 v6, vcc_lo, v6, v12
	s_wait_alu 0xfffd
	v_add_co_ci_u32_e64 v7, null, v7, v13, vcc_lo
	flat_load_b64 v[6:7], v[6:7]
	s_wait_loadcnt_dscnt 0x0
	v_div_scale_f64 v[12:13], null, v[6:7], v[6:7], 1.0
	v_div_scale_f64 v[20:21], vcc_lo, 1.0, v[6:7], 1.0
	s_delay_alu instid0(VALU_DEP_2) | instskip(NEXT) | instid1(TRANS32_DEP_1)
	v_rcp_f64_e32 v[14:15], v[12:13]
	v_fma_f64 v[18:19], -v[12:13], v[14:15], 1.0
	s_delay_alu instid0(VALU_DEP_1) | instskip(NEXT) | instid1(VALU_DEP_1)
	v_fma_f64 v[14:15], v[14:15], v[18:19], v[14:15]
	v_fma_f64 v[18:19], -v[12:13], v[14:15], 1.0
	s_delay_alu instid0(VALU_DEP_1) | instskip(NEXT) | instid1(VALU_DEP_1)
	v_fma_f64 v[14:15], v[14:15], v[18:19], v[14:15]
	v_mul_f64_e32 v[18:19], v[20:21], v[14:15]
	s_delay_alu instid0(VALU_DEP_1) | instskip(SKIP_1) | instid1(VALU_DEP_1)
	v_fma_f64 v[12:13], -v[12:13], v[18:19], v[20:21]
	s_wait_alu 0xfffd
	v_div_fmas_f64 v[12:13], v[12:13], v[14:15], v[18:19]
	s_delay_alu instid0(VALU_DEP_1) | instskip(NEXT) | instid1(VALU_DEP_1)
	v_div_fixup_f64 v[12:13], v[12:13], v[6:7], 1.0
	v_cndmask_b32_e64 v7, v13, v7, s2
	s_delay_alu instid0(VALU_DEP_2) | instskip(NEXT) | instid1(VALU_DEP_1)
	v_cndmask_b32_e64 v6, v12, v6, s2
	v_mul_f64_e32 v[10:11], v[10:11], v[6:7]
	s_branch .LBB124_2
.LBB124_27:
	s_endpgm
	.section	.rodata,"a",@progbits
	.p2align	6, 0x0
	.amdhsa_kernel _ZL39rocblas_trsm_block_forward_substitutionIddPKPKdPKPdLb1ELb0ELb0EEv18rocblas_operation_llT0_T1_lllT2_lllib
		.amdhsa_group_segment_fixed_size 0
		.amdhsa_private_segment_fixed_size 0
		.amdhsa_kernarg_size 360
		.amdhsa_user_sgpr_count 2
		.amdhsa_user_sgpr_dispatch_ptr 0
		.amdhsa_user_sgpr_queue_ptr 0
		.amdhsa_user_sgpr_kernarg_segment_ptr 1
		.amdhsa_user_sgpr_dispatch_id 0
		.amdhsa_user_sgpr_private_segment_size 0
		.amdhsa_wavefront_size32 1
		.amdhsa_uses_dynamic_stack 0
		.amdhsa_enable_private_segment 0
		.amdhsa_system_sgpr_workgroup_id_x 1
		.amdhsa_system_sgpr_workgroup_id_y 1
		.amdhsa_system_sgpr_workgroup_id_z 1
		.amdhsa_system_sgpr_workgroup_info 0
		.amdhsa_system_vgpr_workitem_id 1
		.amdhsa_next_free_vgpr 28
		.amdhsa_next_free_sgpr 39
		.amdhsa_reserve_vcc 1
		.amdhsa_float_round_mode_32 0
		.amdhsa_float_round_mode_16_64 0
		.amdhsa_float_denorm_mode_32 3
		.amdhsa_float_denorm_mode_16_64 3
		.amdhsa_fp16_overflow 0
		.amdhsa_workgroup_processor_mode 1
		.amdhsa_memory_ordered 1
		.amdhsa_forward_progress 1
		.amdhsa_inst_pref_size 15
		.amdhsa_round_robin_scheduling 0
		.amdhsa_exception_fp_ieee_invalid_op 0
		.amdhsa_exception_fp_denorm_src 0
		.amdhsa_exception_fp_ieee_div_zero 0
		.amdhsa_exception_fp_ieee_overflow 0
		.amdhsa_exception_fp_ieee_underflow 0
		.amdhsa_exception_fp_ieee_inexact 0
		.amdhsa_exception_int_div_zero 0
	.end_amdhsa_kernel
	.section	.text._ZL39rocblas_trsm_block_forward_substitutionIddPKPKdPKPdLb1ELb0ELb0EEv18rocblas_operation_llT0_T1_lllT2_lllib,"axG",@progbits,_ZL39rocblas_trsm_block_forward_substitutionIddPKPKdPKPdLb1ELb0ELb0EEv18rocblas_operation_llT0_T1_lllT2_lllib,comdat
.Lfunc_end124:
	.size	_ZL39rocblas_trsm_block_forward_substitutionIddPKPKdPKPdLb1ELb0ELb0EEv18rocblas_operation_llT0_T1_lllT2_lllib, .Lfunc_end124-_ZL39rocblas_trsm_block_forward_substitutionIddPKPKdPKPdLb1ELb0ELb0EEv18rocblas_operation_llT0_T1_lllT2_lllib
                                        ; -- End function
	.set _ZL39rocblas_trsm_block_forward_substitutionIddPKPKdPKPdLb1ELb0ELb0EEv18rocblas_operation_llT0_T1_lllT2_lllib.num_vgpr, 28
	.set _ZL39rocblas_trsm_block_forward_substitutionIddPKPKdPKPdLb1ELb0ELb0EEv18rocblas_operation_llT0_T1_lllT2_lllib.num_agpr, 0
	.set _ZL39rocblas_trsm_block_forward_substitutionIddPKPKdPKPdLb1ELb0ELb0EEv18rocblas_operation_llT0_T1_lllT2_lllib.numbered_sgpr, 39
	.set _ZL39rocblas_trsm_block_forward_substitutionIddPKPKdPKPdLb1ELb0ELb0EEv18rocblas_operation_llT0_T1_lllT2_lllib.num_named_barrier, 0
	.set _ZL39rocblas_trsm_block_forward_substitutionIddPKPKdPKPdLb1ELb0ELb0EEv18rocblas_operation_llT0_T1_lllT2_lllib.private_seg_size, 0
	.set _ZL39rocblas_trsm_block_forward_substitutionIddPKPKdPKPdLb1ELb0ELb0EEv18rocblas_operation_llT0_T1_lllT2_lllib.uses_vcc, 1
	.set _ZL39rocblas_trsm_block_forward_substitutionIddPKPKdPKPdLb1ELb0ELb0EEv18rocblas_operation_llT0_T1_lllT2_lllib.uses_flat_scratch, 0
	.set _ZL39rocblas_trsm_block_forward_substitutionIddPKPKdPKPdLb1ELb0ELb0EEv18rocblas_operation_llT0_T1_lllT2_lllib.has_dyn_sized_stack, 0
	.set _ZL39rocblas_trsm_block_forward_substitutionIddPKPKdPKPdLb1ELb0ELb0EEv18rocblas_operation_llT0_T1_lllT2_lllib.has_recursion, 0
	.set _ZL39rocblas_trsm_block_forward_substitutionIddPKPKdPKPdLb1ELb0ELb0EEv18rocblas_operation_llT0_T1_lllT2_lllib.has_indirect_call, 0
	.section	.AMDGPU.csdata,"",@progbits
; Kernel info:
; codeLenInByte = 1816
; TotalNumSgprs: 41
; NumVgprs: 28
; ScratchSize: 0
; MemoryBound: 1
; FloatMode: 240
; IeeeMode: 1
; LDSByteSize: 0 bytes/workgroup (compile time only)
; SGPRBlocks: 0
; VGPRBlocks: 3
; NumSGPRsForWavesPerEU: 41
; NumVGPRsForWavesPerEU: 28
; Occupancy: 16
; WaveLimiterHint : 1
; COMPUTE_PGM_RSRC2:SCRATCH_EN: 0
; COMPUTE_PGM_RSRC2:USER_SGPR: 2
; COMPUTE_PGM_RSRC2:TRAP_HANDLER: 0
; COMPUTE_PGM_RSRC2:TGID_X_EN: 1
; COMPUTE_PGM_RSRC2:TGID_Y_EN: 1
; COMPUTE_PGM_RSRC2:TGID_Z_EN: 1
; COMPUTE_PGM_RSRC2:TIDIG_COMP_CNT: 1
	.section	.text._ZL40rocblas_trsm_block_backward_substitutionIddPKPKdPKPdLb1ELb0ELb0EEv18rocblas_operation_llT0_T1_lllT2_lllib,"axG",@progbits,_ZL40rocblas_trsm_block_backward_substitutionIddPKPKdPKPdLb1ELb0ELb0EEv18rocblas_operation_llT0_T1_lllT2_lllib,comdat
	.globl	_ZL40rocblas_trsm_block_backward_substitutionIddPKPKdPKPdLb1ELb0ELb0EEv18rocblas_operation_llT0_T1_lllT2_lllib ; -- Begin function _ZL40rocblas_trsm_block_backward_substitutionIddPKPKdPKPdLb1ELb0ELb0EEv18rocblas_operation_llT0_T1_lllT2_lllib
	.p2align	8
	.type	_ZL40rocblas_trsm_block_backward_substitutionIddPKPKdPKPdLb1ELb0ELb0EEv18rocblas_operation_llT0_T1_lllT2_lllib,@function
_ZL40rocblas_trsm_block_backward_substitutionIddPKPKdPKPdLb1ELb0ELb0EEv18rocblas_operation_llT0_T1_lllT2_lllib: ; @_ZL40rocblas_trsm_block_backward_substitutionIddPKPKdPKPdLb1ELb0ELb0EEv18rocblas_operation_llT0_T1_lllT2_lllib
; %bb.0:
	s_load_b64 s[20:21], s[0:1], 0x60
	s_lshr_b32 s22, ttmp7, 16
	s_wait_kmcnt 0x0
	s_cmp_ge_u32 s22, s20
	s_cbranch_scc1 .LBB125_29
; %bb.1:
	s_clause 0x4
	s_load_b128 s[12:15], s[0:1], 0x28
	s_load_b64 s[2:3], s[0:1], 0x50
	s_load_b256 s[4:11], s[0:1], 0x8
	s_load_u16 s33, s[0:1], 0x76
	s_load_b128 s[16:19], s[0:1], 0x40
	v_dual_mov_b32 v2, 0 :: v_dual_and_b32 v1, 0x3ff, v0
	v_bfe_u32 v0, v0, 10, 10
	s_bitcmp1_b32 s21, 0
	s_add_nc_u64 s[24:25], s[0:1], 0x68
	s_cselect_b32 s0, -1, 0
	s_and_b32 s21, ttmp7, 0xffff
	s_mov_b64 s[26:27], src_shared_base
	v_lshlrev_b32_e32 v19, 3, v1
	v_lshl_add_u32 v20, v0, 3, 0
	v_cmp_eq_u32_e64 s1, 0, v1
	v_lshlrev_b32_e32 v22, 3, v1
	s_mov_b32 s23, 0
	s_wait_kmcnt 0x0
	v_mad_co_u64_u32 v[3:4], null, s14, v1, 0
	v_mad_co_u64_u32 v[5:6], null, s2, v1, 0
	;; [unrolled: 1-line block ×3, first 2 shown]
	s_lshl_b32 s26, s33, 3
	v_mov_b32_e32 v8, v2
	s_add_co_i32 s26, s26, 0
	v_cmp_le_i64_e64 s21, s[4:5], v[1:2]
	v_mad_co_u64_u32 v[9:10], null, s15, v1, v[4:5]
	v_mad_co_u64_u32 v[10:11], null, s3, v1, v[6:7]
	v_cmp_gt_i64_e64 s2, s[4:5], v[1:2]
	v_cmp_gt_i64_e32 vcc_lo, s[6:7], v[7:8]
	v_cmp_gt_i64_e64 s38, s[4:5], 0
	v_dual_mov_b32 v4, v9 :: v_dual_add_nc_u32 v21, s26, v19
	v_lshlrev_b64_e32 v[7:8], 3, v[7:8]
	v_mov_b32_e32 v6, v10
	v_cmp_gt_i64_e64 s40, s[4:5], 1
	s_add_nc_u64 s[28:29], s[4:5], -1
	v_lshlrev_b64_e32 v[3:4], 3, v[3:4]
	s_lshl_b64 s[6:7], s[28:29], 3
	v_lshlrev_b64_e32 v[5:6], 3, v[5:6]
	s_and_b32 s39, vcc_lo, s2
	s_lshl_b64 s[12:13], s[12:13], 3
	s_xor_b32 s41, s21, -1
	s_lshl_b64 s[18:19], s[18:19], 3
	s_branch .LBB125_4
.LBB125_2:                              ;   in Loop: Header=BB125_4 Depth=1
	s_wait_alu 0xfffe
	s_or_b32 exec_lo, exec_lo, s34
	flat_store_b64 v[9:10], v[13:14]
.LBB125_3:                              ;   in Loop: Header=BB125_4 Depth=1
	s_wait_alu 0xfffe
	s_or_b32 exec_lo, exec_lo, s3
	s_add_co_i32 s22, s22, 0x10000
	s_delay_alu instid0(SALU_CYCLE_1)
	s_cmp_lt_u32 s22, s20
	s_cbranch_scc0 .LBB125_29
.LBB125_4:                              ; =>This Loop Header: Depth=1
                                        ;     Child Loop BB125_9 Depth 2
                                        ;     Child Loop BB125_23 Depth 2
	s_lshl_b64 s[30:31], s[22:23], 3
	s_wait_alu 0xfffe
	s_add_nc_u64 s[34:35], s[10:11], s[30:31]
	s_add_nc_u64 s[30:31], s[16:17], s[30:31]
	global_load_b64 v[11:12], v2, s[34:35]
	s_wait_loadcnt 0x1
	global_load_b64 v[9:10], v2, s[30:31]
	s_mov_b64 s[30:31], s[14:15]
	s_wait_loadcnt 0x1
	v_add_co_u32 v11, vcc_lo, v11, s12
	s_wait_alu 0xfffd
	v_add_co_ci_u32_e64 v12, null, s13, v12, vcc_lo
	s_and_not1_b32 vcc_lo, exec_lo, s0
	s_wait_alu 0xfffe
	s_cbranch_vccz .LBB125_6
; %bb.5:                                ;   in Loop: Header=BB125_4 Depth=1
	s_and_saveexec_b32 s3, s39
	s_cbranch_execz .LBB125_3
	s_branch .LBB125_20
.LBB125_6:                              ;   in Loop: Header=BB125_4 Depth=1
	s_and_not1_b32 vcc_lo, exec_lo, s38
	s_wait_alu 0xfffe
	s_cbranch_vccnz .LBB125_19
; %bb.7:                                ;   in Loop: Header=BB125_4 Depth=1
	v_add_co_u32 v17, vcc_lo, v11, v22
	s_wait_alu 0xfffd
	v_add_co_ci_u32_e64 v18, null, 0, v12, vcc_lo
	v_mov_b32_e32 v13, v0
	s_delay_alu instid0(VALU_DEP_3) | instskip(SKIP_1) | instid1(VALU_DEP_3)
	v_add_co_u32 v11, vcc_lo, v17, v3
	s_wait_alu 0xfffd
	v_add_co_ci_u32_e64 v12, null, v18, v4, vcc_lo
	s_mov_b32 s30, s33
	s_branch .LBB125_9
.LBB125_8:                              ;   in Loop: Header=BB125_9 Depth=2
	s_wait_alu 0xfffe
	s_or_b32 exec_lo, exec_lo, s31
	s_ashr_i32 s31, s30, 31
	v_add_nc_u32_e32 v13, s33, v13
	s_wait_alu 0xfffe
	v_cmp_le_i64_e64 s3, s[4:5], s[30:31]
	s_add_co_i32 s30, s30, s33
	s_and_b32 vcc_lo, exec_lo, s3
	s_wait_alu 0xfffe
	s_cbranch_vccnz .LBB125_19
.LBB125_9:                              ;   Parent Loop BB125_4 Depth=1
                                        ; =>  This Inner Loop Header: Depth=2
	s_mov_b32 s3, 0
	s_mov_b32 s34, s21
                                        ; implicit-def: $vgpr15_vgpr16
	s_and_saveexec_b32 s31, s2
	s_cbranch_execnz .LBB125_12
; %bb.10:                               ;   in Loop: Header=BB125_9 Depth=2
	s_wait_alu 0xfffe
	s_or_b32 exec_lo, exec_lo, s31
	v_mov_b32_e32 v14, v13
	s_and_saveexec_b32 s31, s34
	s_cbranch_execnz .LBB125_15
.LBB125_11:                             ;   in Loop: Header=BB125_9 Depth=2
	s_wait_alu 0xfffe
	s_or_b32 exec_lo, exec_lo, s31
	s_and_saveexec_b32 s31, s3
	s_cbranch_execz .LBB125_8
	s_branch .LBB125_18
.LBB125_12:                             ;   in Loop: Header=BB125_9 Depth=2
	v_ashrrev_i32_e32 v14, 31, v13
	v_cmp_lt_i32_e64 s3, v1, v13
	s_mov_b32 s35, -1
                                        ; implicit-def: $vgpr15_vgpr16
	v_cmp_gt_i64_e32 vcc_lo, s[4:5], v[13:14]
	s_wait_alu 0xfffe
	s_and_b32 s36, s3, vcc_lo
	s_mov_b32 s3, 0
	s_wait_alu 0xfffe
	s_and_saveexec_b32 s34, s36
	s_cbranch_execz .LBB125_14
; %bb.13:                               ;   in Loop: Header=BB125_9 Depth=2
	s_wait_loadcnt_dscnt 0x0
	v_mul_lo_u32 v16, s15, v13
	v_mul_lo_u32 v23, s14, v14
	v_mad_co_u64_u32 v[14:15], null, s14, v13, 0
	s_mov_b32 s3, exec_lo
	s_xor_b32 s35, exec_lo, -1
	v_add3_u32 v15, v15, v23, v16
	s_delay_alu instid0(VALU_DEP_1) | instskip(NEXT) | instid1(VALU_DEP_1)
	v_lshlrev_b64_e32 v[14:15], 3, v[14:15]
	v_add_co_u32 v14, vcc_lo, v17, v14
	s_wait_alu 0xfffd
	s_delay_alu instid0(VALU_DEP_2)
	v_add_co_ci_u32_e64 v15, null, v18, v15, vcc_lo
	flat_load_b64 v[15:16], v[14:15]
.LBB125_14:                             ;   in Loop: Header=BB125_9 Depth=2
	s_wait_alu 0xfffe
	s_or_b32 exec_lo, exec_lo, s34
	s_delay_alu instid0(SALU_CYCLE_1)
	s_and_not1_b32 s34, s21, exec_lo
	s_and_b32 s35, s35, exec_lo
	s_and_b32 s3, s3, exec_lo
	s_wait_alu 0xfffe
	s_or_b32 s34, s34, s35
	s_or_b32 exec_lo, exec_lo, s31
	v_mov_b32_e32 v14, v13
	s_wait_alu 0xfffe
	s_and_saveexec_b32 s31, s34
	s_cbranch_execz .LBB125_11
.LBB125_15:                             ;   in Loop: Header=BB125_9 Depth=2
	v_cmp_eq_u32_e32 vcc_lo, v1, v13
	s_wait_alu 0xfffe
	s_mov_b32 s35, s3
                                        ; implicit-def: $vgpr15_vgpr16
	s_and_b32 s36, s41, vcc_lo
	s_wait_alu 0xfffe
	s_and_saveexec_b32 s34, s36
	s_cbranch_execz .LBB125_17
; %bb.16:                               ;   in Loop: Header=BB125_9 Depth=2
	s_wait_loadcnt_dscnt 0x0
	flat_load_b64 v[14:15], v[11:12]
	s_or_b32 s35, s3, exec_lo
	s_wait_loadcnt_dscnt 0x0
	v_div_scale_f64 v[23:24], null, v[14:15], v[14:15], 1.0
	s_delay_alu instid0(VALU_DEP_1) | instskip(NEXT) | instid1(TRANS32_DEP_1)
	v_rcp_f64_e32 v[25:26], v[23:24]
	v_fma_f64 v[27:28], -v[23:24], v[25:26], 1.0
	s_delay_alu instid0(VALU_DEP_1) | instskip(NEXT) | instid1(VALU_DEP_1)
	v_fma_f64 v[25:26], v[25:26], v[27:28], v[25:26]
	v_fma_f64 v[27:28], -v[23:24], v[25:26], 1.0
	s_delay_alu instid0(VALU_DEP_1) | instskip(SKIP_1) | instid1(VALU_DEP_1)
	v_fma_f64 v[25:26], v[25:26], v[27:28], v[25:26]
	v_div_scale_f64 v[27:28], vcc_lo, 1.0, v[14:15], 1.0
	v_mul_f64_e32 v[29:30], v[27:28], v[25:26]
	s_delay_alu instid0(VALU_DEP_1) | instskip(SKIP_1) | instid1(VALU_DEP_1)
	v_fma_f64 v[23:24], -v[23:24], v[29:30], v[27:28]
	s_wait_alu 0xfffd
	v_div_fmas_f64 v[23:24], v[23:24], v[25:26], v[29:30]
	s_delay_alu instid0(VALU_DEP_1)
	v_div_fixup_f64 v[15:16], v[23:24], v[14:15], 1.0
.LBB125_17:                             ;   in Loop: Header=BB125_9 Depth=2
	s_wait_alu 0xfffe
	s_or_b32 exec_lo, exec_lo, s34
	v_mov_b32_e32 v14, v1
	s_and_not1_b32 s3, s3, exec_lo
	s_and_b32 s34, s35, exec_lo
	s_wait_alu 0xfffe
	s_or_b32 s3, s3, s34
	s_or_b32 exec_lo, exec_lo, s31
	s_wait_alu 0xfffe
	s_and_saveexec_b32 s31, s3
	s_cbranch_execz .LBB125_8
.LBB125_18:                             ;   in Loop: Header=BB125_9 Depth=2
	s_load_b32 s3, s[24:25], 0xc
	s_wait_kmcnt 0x0
	s_and_b32 s3, s3, 0xffff
	s_wait_alu 0xfffe
	v_mul_lo_u32 v14, v14, s3
	s_delay_alu instid0(VALU_DEP_1)
	v_lshl_add_u32 v14, v14, 3, v21
	s_wait_loadcnt_dscnt 0x0
	ds_store_b64 v14, v[15:16]
	s_branch .LBB125_8
.LBB125_19:                             ;   in Loop: Header=BB125_4 Depth=1
	s_load_b32 s3, s[24:25], 0xc
	v_dual_mov_b32 v11, s26 :: v_dual_mov_b32 v12, s27
	s_mov_b32 s31, s23
	s_wait_kmcnt 0x0
	s_and_b32 s30, s3, 0xffff
	s_and_saveexec_b32 s3, s39
	s_cbranch_execz .LBB125_3
.LBB125_20:                             ;   in Loop: Header=BB125_4 Depth=1
	s_wait_loadcnt 0x0
	v_add_co_u32 v9, vcc_lo, v9, s18
	s_wait_alu 0xfffd
	v_add_co_ci_u32_e64 v10, null, s19, v10, vcc_lo
	s_delay_alu instid0(VALU_DEP_2) | instskip(SKIP_1) | instid1(VALU_DEP_2)
	v_add_co_u32 v9, vcc_lo, v9, v5
	s_wait_alu 0xfffd
	v_add_co_ci_u32_e64 v10, null, v10, v6, vcc_lo
	s_delay_alu instid0(VALU_DEP_2) | instskip(SKIP_1) | instid1(VALU_DEP_2)
	v_add_co_u32 v9, vcc_lo, v9, v7
	s_wait_alu 0xfffd
	v_add_co_ci_u32_e64 v10, null, v10, v8, vcc_lo
	s_and_not1_b32 vcc_lo, exec_lo, s40
	flat_load_b64 v[13:14], v[9:10]
	s_wait_loadcnt_dscnt 0x0
	v_mul_f64_e32 v[13:14], s[8:9], v[13:14]
	s_wait_alu 0xfffe
	s_cbranch_vccnz .LBB125_27
; %bb.21:                               ;   in Loop: Header=BB125_4 Depth=1
	v_mad_co_u64_u32 v[17:18], null, v1, s30, v[1:2]
	v_add_co_u32 v23, vcc_lo, v11, v19
	s_wait_alu 0xfffd
	v_add_co_ci_u32_e64 v24, null, 0, v12, vcc_lo
	s_mul_i32 s34, s7, s30
	s_mul_i32 s35, s6, s31
	v_mov_b32_e32 v15, v18
	s_mov_b64 s[36:37], s[28:29]
	s_delay_alu instid0(VALU_DEP_1) | instskip(NEXT) | instid1(VALU_DEP_1)
	v_mad_co_u64_u32 v[15:16], null, v1, s31, v[15:16]
	v_mov_b32_e32 v18, v15
	v_mad_co_u64_u32 v[15:16], null, s6, s30, v[23:24]
	s_delay_alu instid0(VALU_DEP_2) | instskip(SKIP_1) | instid1(VALU_DEP_2)
	v_lshlrev_b64_e32 v[17:18], 3, v[17:18]
	s_wait_alu 0xfffe
	v_add3_u32 v16, s35, s34, v16
	s_lshl_b64 s[34:35], s[30:31], 3
	s_delay_alu instid0(VALU_DEP_2)
	v_add_co_u32 v17, vcc_lo, v11, v17
	s_wait_alu 0xfffd
	v_add_co_ci_u32_e64 v18, null, v12, v18, vcc_lo
	s_wait_alu 0xfffe
	s_sub_nc_u64 s[34:35], 0, s[34:35]
	s_branch .LBB125_23
.LBB125_22:                             ;   in Loop: Header=BB125_23 Depth=2
	s_wait_alu 0xfffe
	s_or_b32 exec_lo, exec_lo, s42
	s_add_nc_u64 s[42:43], s[36:37], 1
	v_add_co_u32 v15, vcc_lo, v15, s34
	s_wait_alu 0xfffe
	v_cmp_lt_u64_e64 s42, s[42:43], 3
	s_wait_alu 0xfffd
	v_add_co_ci_u32_e64 v16, null, s35, v16, vcc_lo
	s_add_nc_u64 s[36:37], s[36:37], -1
	s_and_b32 vcc_lo, exec_lo, s42
	s_wait_alu 0xfffe
	s_cbranch_vccnz .LBB125_27
.LBB125_23:                             ;   Parent Loop BB125_4 Depth=1
                                        ; =>  This Inner Loop Header: Depth=2
	s_mov_b32 s42, exec_lo
	s_barrier_signal -1
	s_barrier_wait -1
	global_inv scope:SCOPE_SE
	v_cmpx_eq_u64_e64 s[36:37], v[1:2]
	s_cbranch_execz .LBB125_25
; %bb.24:                               ;   in Loop: Header=BB125_23 Depth=2
	flat_load_b64 v[23:24], v[17:18]
	s_wait_loadcnt_dscnt 0x0
	v_div_scale_f64 v[25:26], null, v[23:24], v[23:24], 1.0
	v_div_scale_f64 v[31:32], vcc_lo, 1.0, v[23:24], 1.0
	s_delay_alu instid0(VALU_DEP_2) | instskip(NEXT) | instid1(TRANS32_DEP_1)
	v_rcp_f64_e32 v[27:28], v[25:26]
	v_fma_f64 v[29:30], -v[25:26], v[27:28], 1.0
	s_delay_alu instid0(VALU_DEP_1) | instskip(NEXT) | instid1(VALU_DEP_1)
	v_fma_f64 v[27:28], v[27:28], v[29:30], v[27:28]
	v_fma_f64 v[29:30], -v[25:26], v[27:28], 1.0
	s_delay_alu instid0(VALU_DEP_1) | instskip(NEXT) | instid1(VALU_DEP_1)
	v_fma_f64 v[27:28], v[27:28], v[29:30], v[27:28]
	v_mul_f64_e32 v[29:30], v[31:32], v[27:28]
	s_delay_alu instid0(VALU_DEP_1) | instskip(SKIP_1) | instid1(VALU_DEP_1)
	v_fma_f64 v[25:26], -v[25:26], v[29:30], v[31:32]
	s_wait_alu 0xfffd
	v_div_fmas_f64 v[25:26], v[25:26], v[27:28], v[29:30]
	s_delay_alu instid0(VALU_DEP_1) | instskip(NEXT) | instid1(VALU_DEP_1)
	v_div_fixup_f64 v[25:26], v[25:26], v[23:24], 1.0
	v_cndmask_b32_e64 v24, v26, v24, s0
	s_delay_alu instid0(VALU_DEP_2) | instskip(NEXT) | instid1(VALU_DEP_1)
	v_cndmask_b32_e64 v23, v25, v23, s0
	v_mul_f64_e32 v[13:14], v[13:14], v[23:24]
	ds_store_b64 v20, v[13:14]
.LBB125_25:                             ;   in Loop: Header=BB125_23 Depth=2
	s_wait_alu 0xfffe
	s_or_b32 exec_lo, exec_lo, s42
	s_delay_alu instid0(SALU_CYCLE_1)
	s_mov_b32 s42, exec_lo
	s_wait_loadcnt_dscnt 0x0
	s_barrier_signal -1
	s_barrier_wait -1
	global_inv scope:SCOPE_SE
	v_cmpx_gt_i64_e64 s[36:37], v[1:2]
	s_cbranch_execz .LBB125_22
; %bb.26:                               ;   in Loop: Header=BB125_23 Depth=2
	flat_load_b64 v[23:24], v[15:16]
	ds_load_b64 v[25:26], v20
	s_wait_loadcnt_dscnt 0x0
	v_fma_f64 v[13:14], -v[23:24], v[25:26], v[13:14]
	s_branch .LBB125_22
.LBB125_27:                             ;   in Loop: Header=BB125_4 Depth=1
	s_and_saveexec_b32 s34, s1
	s_cbranch_execz .LBB125_2
; %bb.28:                               ;   in Loop: Header=BB125_4 Depth=1
	v_mad_co_u64_u32 v[15:16], null, v1, s30, v[1:2]
	s_delay_alu instid0(VALU_DEP_1) | instskip(NEXT) | instid1(VALU_DEP_1)
	v_mad_co_u64_u32 v[16:17], null, v1, s31, v[16:17]
	v_lshlrev_b64_e32 v[15:16], 3, v[15:16]
	s_delay_alu instid0(VALU_DEP_1) | instskip(SKIP_1) | instid1(VALU_DEP_2)
	v_add_co_u32 v11, vcc_lo, v11, v15
	s_wait_alu 0xfffd
	v_add_co_ci_u32_e64 v12, null, v12, v16, vcc_lo
	flat_load_b64 v[11:12], v[11:12]
	s_wait_loadcnt_dscnt 0x0
	v_div_scale_f64 v[15:16], null, v[11:12], v[11:12], 1.0
	v_div_scale_f64 v[25:26], vcc_lo, 1.0, v[11:12], 1.0
	s_delay_alu instid0(VALU_DEP_2) | instskip(NEXT) | instid1(TRANS32_DEP_1)
	v_rcp_f64_e32 v[17:18], v[15:16]
	v_fma_f64 v[23:24], -v[15:16], v[17:18], 1.0
	s_delay_alu instid0(VALU_DEP_1) | instskip(NEXT) | instid1(VALU_DEP_1)
	v_fma_f64 v[17:18], v[17:18], v[23:24], v[17:18]
	v_fma_f64 v[23:24], -v[15:16], v[17:18], 1.0
	s_delay_alu instid0(VALU_DEP_1) | instskip(NEXT) | instid1(VALU_DEP_1)
	v_fma_f64 v[17:18], v[17:18], v[23:24], v[17:18]
	v_mul_f64_e32 v[23:24], v[25:26], v[17:18]
	s_delay_alu instid0(VALU_DEP_1) | instskip(SKIP_1) | instid1(VALU_DEP_1)
	v_fma_f64 v[15:16], -v[15:16], v[23:24], v[25:26]
	s_wait_alu 0xfffd
	v_div_fmas_f64 v[15:16], v[15:16], v[17:18], v[23:24]
	s_delay_alu instid0(VALU_DEP_1) | instskip(NEXT) | instid1(VALU_DEP_1)
	v_div_fixup_f64 v[15:16], v[15:16], v[11:12], 1.0
	v_cndmask_b32_e64 v12, v16, v12, s0
	s_delay_alu instid0(VALU_DEP_2) | instskip(NEXT) | instid1(VALU_DEP_1)
	v_cndmask_b32_e64 v11, v15, v11, s0
	v_mul_f64_e32 v[13:14], v[13:14], v[11:12]
	s_branch .LBB125_2
.LBB125_29:
	s_endpgm
	.section	.rodata,"a",@progbits
	.p2align	6, 0x0
	.amdhsa_kernel _ZL40rocblas_trsm_block_backward_substitutionIddPKPKdPKPdLb1ELb0ELb0EEv18rocblas_operation_llT0_T1_lllT2_lllib
		.amdhsa_group_segment_fixed_size 0
		.amdhsa_private_segment_fixed_size 0
		.amdhsa_kernarg_size 360
		.amdhsa_user_sgpr_count 2
		.amdhsa_user_sgpr_dispatch_ptr 0
		.amdhsa_user_sgpr_queue_ptr 0
		.amdhsa_user_sgpr_kernarg_segment_ptr 1
		.amdhsa_user_sgpr_dispatch_id 0
		.amdhsa_user_sgpr_private_segment_size 0
		.amdhsa_wavefront_size32 1
		.amdhsa_uses_dynamic_stack 0
		.amdhsa_enable_private_segment 0
		.amdhsa_system_sgpr_workgroup_id_x 1
		.amdhsa_system_sgpr_workgroup_id_y 1
		.amdhsa_system_sgpr_workgroup_id_z 1
		.amdhsa_system_sgpr_workgroup_info 0
		.amdhsa_system_vgpr_workitem_id 1
		.amdhsa_next_free_vgpr 33
		.amdhsa_next_free_sgpr 44
		.amdhsa_reserve_vcc 1
		.amdhsa_float_round_mode_32 0
		.amdhsa_float_round_mode_16_64 0
		.amdhsa_float_denorm_mode_32 3
		.amdhsa_float_denorm_mode_16_64 3
		.amdhsa_fp16_overflow 0
		.amdhsa_workgroup_processor_mode 1
		.amdhsa_memory_ordered 1
		.amdhsa_forward_progress 1
		.amdhsa_inst_pref_size 15
		.amdhsa_round_robin_scheduling 0
		.amdhsa_exception_fp_ieee_invalid_op 0
		.amdhsa_exception_fp_denorm_src 0
		.amdhsa_exception_fp_ieee_div_zero 0
		.amdhsa_exception_fp_ieee_overflow 0
		.amdhsa_exception_fp_ieee_underflow 0
		.amdhsa_exception_fp_ieee_inexact 0
		.amdhsa_exception_int_div_zero 0
	.end_amdhsa_kernel
	.section	.text._ZL40rocblas_trsm_block_backward_substitutionIddPKPKdPKPdLb1ELb0ELb0EEv18rocblas_operation_llT0_T1_lllT2_lllib,"axG",@progbits,_ZL40rocblas_trsm_block_backward_substitutionIddPKPKdPKPdLb1ELb0ELb0EEv18rocblas_operation_llT0_T1_lllT2_lllib,comdat
.Lfunc_end125:
	.size	_ZL40rocblas_trsm_block_backward_substitutionIddPKPKdPKPdLb1ELb0ELb0EEv18rocblas_operation_llT0_T1_lllT2_lllib, .Lfunc_end125-_ZL40rocblas_trsm_block_backward_substitutionIddPKPKdPKPdLb1ELb0ELb0EEv18rocblas_operation_llT0_T1_lllT2_lllib
                                        ; -- End function
	.set _ZL40rocblas_trsm_block_backward_substitutionIddPKPKdPKPdLb1ELb0ELb0EEv18rocblas_operation_llT0_T1_lllT2_lllib.num_vgpr, 33
	.set _ZL40rocblas_trsm_block_backward_substitutionIddPKPKdPKPdLb1ELb0ELb0EEv18rocblas_operation_llT0_T1_lllT2_lllib.num_agpr, 0
	.set _ZL40rocblas_trsm_block_backward_substitutionIddPKPKdPKPdLb1ELb0ELb0EEv18rocblas_operation_llT0_T1_lllT2_lllib.numbered_sgpr, 44
	.set _ZL40rocblas_trsm_block_backward_substitutionIddPKPKdPKPdLb1ELb0ELb0EEv18rocblas_operation_llT0_T1_lllT2_lllib.num_named_barrier, 0
	.set _ZL40rocblas_trsm_block_backward_substitutionIddPKPKdPKPdLb1ELb0ELb0EEv18rocblas_operation_llT0_T1_lllT2_lllib.private_seg_size, 0
	.set _ZL40rocblas_trsm_block_backward_substitutionIddPKPKdPKPdLb1ELb0ELb0EEv18rocblas_operation_llT0_T1_lllT2_lllib.uses_vcc, 1
	.set _ZL40rocblas_trsm_block_backward_substitutionIddPKPKdPKPdLb1ELb0ELb0EEv18rocblas_operation_llT0_T1_lllT2_lllib.uses_flat_scratch, 0
	.set _ZL40rocblas_trsm_block_backward_substitutionIddPKPKdPKPdLb1ELb0ELb0EEv18rocblas_operation_llT0_T1_lllT2_lllib.has_dyn_sized_stack, 0
	.set _ZL40rocblas_trsm_block_backward_substitutionIddPKPKdPKPdLb1ELb0ELb0EEv18rocblas_operation_llT0_T1_lllT2_lllib.has_recursion, 0
	.set _ZL40rocblas_trsm_block_backward_substitutionIddPKPKdPKPdLb1ELb0ELb0EEv18rocblas_operation_llT0_T1_lllT2_lllib.has_indirect_call, 0
	.section	.AMDGPU.csdata,"",@progbits
; Kernel info:
; codeLenInByte = 1860
; TotalNumSgprs: 46
; NumVgprs: 33
; ScratchSize: 0
; MemoryBound: 1
; FloatMode: 240
; IeeeMode: 1
; LDSByteSize: 0 bytes/workgroup (compile time only)
; SGPRBlocks: 0
; VGPRBlocks: 4
; NumSGPRsForWavesPerEU: 46
; NumVGPRsForWavesPerEU: 33
; Occupancy: 16
; WaveLimiterHint : 1
; COMPUTE_PGM_RSRC2:SCRATCH_EN: 0
; COMPUTE_PGM_RSRC2:USER_SGPR: 2
; COMPUTE_PGM_RSRC2:TRAP_HANDLER: 0
; COMPUTE_PGM_RSRC2:TGID_X_EN: 1
; COMPUTE_PGM_RSRC2:TGID_Y_EN: 1
; COMPUTE_PGM_RSRC2:TGID_Z_EN: 1
; COMPUTE_PGM_RSRC2:TIDIG_COMP_CNT: 1
	.section	.text._ZL39rocblas_trsm_block_forward_substitutionIddPKPKdPKPdLb1ELb0ELb1EEv18rocblas_operation_llT0_T1_lllT2_lllib,"axG",@progbits,_ZL39rocblas_trsm_block_forward_substitutionIddPKPKdPKPdLb1ELb0ELb1EEv18rocblas_operation_llT0_T1_lllT2_lllib,comdat
	.globl	_ZL39rocblas_trsm_block_forward_substitutionIddPKPKdPKPdLb1ELb0ELb1EEv18rocblas_operation_llT0_T1_lllT2_lllib ; -- Begin function _ZL39rocblas_trsm_block_forward_substitutionIddPKPKdPKPdLb1ELb0ELb1EEv18rocblas_operation_llT0_T1_lllT2_lllib
	.p2align	8
	.type	_ZL39rocblas_trsm_block_forward_substitutionIddPKPKdPKPdLb1ELb0ELb1EEv18rocblas_operation_llT0_T1_lllT2_lllib,@function
_ZL39rocblas_trsm_block_forward_substitutionIddPKPKdPKPdLb1ELb0ELb1EEv18rocblas_operation_llT0_T1_lllT2_lllib: ; @_ZL39rocblas_trsm_block_forward_substitutionIddPKPKdPKPdLb1ELb0ELb1EEv18rocblas_operation_llT0_T1_lllT2_lllib
; %bb.0:
	s_load_b64 s[2:3], s[0:1], 0x60
	s_lshr_b32 s20, ttmp7, 16
	s_wait_kmcnt 0x0
	s_cmp_ge_u32 s20, s2
	s_cbranch_scc1 .LBB126_19
; %bb.1:
	s_clause 0x1
	s_load_u16 s33, s[0:1], 0x76
	s_load_b64 s[28:29], s[0:1], 0x50
	v_bfe_u32 v1, v0, 10, 10
	s_bitcmp1_b32 s3, 0
	s_clause 0x1
	s_load_b128 s[16:19], s[0:1], 0x28
	s_load_b128 s[12:15], s[0:1], 0x40
	s_cselect_b32 s3, -1, 0
	s_and_b32 s4, ttmp7, 0xffff
	v_mov_b32_e32 v3, 0
	s_add_nc_u64 s[22:23], s[0:1], 0x68
	s_mov_b64 s[24:25], src_shared_base
	s_mov_b32 s21, 0
	s_mov_b64 s[26:27], 1
	s_wait_kmcnt 0x0
	v_mad_co_u64_u32 v[4:5], null, s4, s33, v[1:2]
	s_load_b256 s[4:11], s[0:1], 0x8
	v_and_b32_e32 v2, 0x3ff, v0
	s_lshl_b32 s1, s33, 3
	v_lshl_add_u32 v0, v1, 3, 0
	s_add_co_i32 s24, s1, 0
	s_lshl_b64 s[16:17], s[16:17], 3
	v_mad_co_u64_u32 v[6:7], null, s28, v4, 0
	v_lshl_add_u32 v12, v2, 3, s24
	v_lshlrev_b32_e32 v13, 3, v2
	s_lshl_b64 s[14:15], s[14:15], 3
	s_delay_alu instid0(VALU_DEP_3) | instskip(NEXT) | instid1(VALU_DEP_1)
	v_mov_b32_e32 v5, v7
	v_mad_co_u64_u32 v[7:8], null, s29, v4, v[5:6]
	v_mov_b32_e32 v5, v3
	s_wait_kmcnt 0x0
	v_cmp_gt_i64_e64 s0, s[4:5], v[2:3]
	v_cmp_gt_i64_e64 s1, s[4:5], 0
	;; [unrolled: 1-line block ×3, first 2 shown]
	v_cmp_gt_i64_e32 vcc_lo, s[6:7], v[4:5]
	v_lshlrev_b64_e32 v[4:5], 3, v[6:7]
	s_add_nc_u64 s[6:7], s[4:5], -1
	s_and_b32 s34, vcc_lo, s0
	s_branch .LBB126_4
.LBB126_2:                              ;   in Loop: Header=BB126_4 Depth=1
	flat_store_b64 v[6:7], v[8:9]
.LBB126_3:                              ;   in Loop: Header=BB126_4 Depth=1
	s_or_b32 exec_lo, exec_lo, s36
	s_add_co_i32 s20, s20, 0x10000
	s_delay_alu instid0(SALU_CYCLE_1)
	s_cmp_lt_u32 s20, s2
	s_cbranch_scc0 .LBB126_19
.LBB126_4:                              ; =>This Loop Header: Depth=1
                                        ;     Child Loop BB126_9 Depth 2
                                        ;     Child Loop BB126_15 Depth 2
	s_lshl_b64 s[28:29], s[20:21], 3
	s_wait_alu 0xfffe
	s_add_nc_u64 s[30:31], s[10:11], s[28:29]
	s_add_nc_u64 s[28:29], s[12:13], s[28:29]
	global_load_b64 v[8:9], v3, s[30:31]
	s_wait_loadcnt 0x1
	global_load_b64 v[6:7], v3, s[28:29]
	s_wait_loadcnt 0x1
	v_add_co_u32 v10, vcc_lo, v8, s16
	s_wait_alu 0xfffd
	v_add_co_ci_u32_e64 v11, null, s17, v9, vcc_lo
	s_and_not1_b32 vcc_lo, exec_lo, s3
	s_wait_alu 0xfffe
	s_cbranch_vccz .LBB126_6
; %bb.5:                                ;   in Loop: Header=BB126_4 Depth=1
	s_and_saveexec_b32 s36, s34
	s_cbranch_execz .LBB126_3
	s_branch .LBB126_12
.LBB126_6:                              ;   in Loop: Header=BB126_4 Depth=1
	s_and_not1_b32 vcc_lo, exec_lo, s1
	s_wait_alu 0xfffe
	s_cbranch_vccnz .LBB126_11
; %bb.7:                                ;   in Loop: Header=BB126_4 Depth=1
	v_mad_co_u64_u32 v[8:9], null, s18, v2, 0
	s_mov_b32 s18, 0
	v_mad_co_u64_u32 v[14:15], null, s19, v2, v[9:10]
	s_delay_alu instid0(VALU_DEP_1) | instskip(NEXT) | instid1(VALU_DEP_1)
	v_mov_b32_e32 v9, v14
	v_lshlrev_b64_e32 v[8:9], 3, v[8:9]
	s_delay_alu instid0(VALU_DEP_1) | instskip(SKIP_1) | instid1(VALU_DEP_2)
	v_add_co_u32 v8, vcc_lo, v10, v8
	s_wait_alu 0xfffd
	v_add_co_ci_u32_e64 v9, null, v11, v9, vcc_lo
	s_branch .LBB126_9
.LBB126_8:                              ;   in Loop: Header=BB126_9 Depth=2
	s_wait_alu 0xfffe
	s_or_b32 exec_lo, exec_lo, s19
	s_add_co_i32 s18, s18, s33
	s_wait_alu 0xfffe
	s_ashr_i32 s19, s18, 31
	s_wait_alu 0xfffe
	v_cmp_le_i64_e64 s19, s[4:5], s[18:19]
	s_and_b32 vcc_lo, exec_lo, s19
	s_wait_alu 0xfffe
	s_cbranch_vccnz .LBB126_11
.LBB126_9:                              ;   Parent Loop BB126_4 Depth=1
                                        ; =>  This Inner Loop Header: Depth=2
	s_wait_alu 0xfffe
	v_add_nc_u32_e32 v10, s18, v1
	s_delay_alu instid0(VALU_DEP_1)
	v_cmp_gt_i32_e32 vcc_lo, v2, v10
	s_and_b32 s28, s0, vcc_lo
	s_wait_alu 0xfffe
	s_and_saveexec_b32 s19, s28
	s_cbranch_execz .LBB126_8
; %bb.10:                               ;   in Loop: Header=BB126_9 Depth=2
	v_ashrrev_i32_e32 v11, 31, v10
	v_mul_lo_u32 v16, s27, v10
	v_mad_co_u64_u32 v[14:15], null, s26, v10, 0
	s_load_b32 s28, s[22:23], 0xc
	v_mul_lo_u32 v11, s26, v11
	s_delay_alu instid0(VALU_DEP_1) | instskip(NEXT) | instid1(VALU_DEP_1)
	v_add3_u32 v15, v15, v11, v16
	v_lshlrev_b64_e32 v[14:15], 3, v[14:15]
	s_wait_kmcnt 0x0
	s_and_b32 s28, s28, 0xffff
	s_delay_alu instid0(VALU_DEP_1) | instskip(SKIP_1) | instid1(VALU_DEP_2)
	v_add_co_u32 v14, vcc_lo, v8, v14
	s_wait_alu 0xfffd
	v_add_co_ci_u32_e64 v15, null, v9, v15, vcc_lo
	s_wait_alu 0xfffe
	v_mul_lo_u32 v10, v10, s28
	flat_load_b64 v[14:15], v[14:15]
	v_lshl_add_u32 v10, v10, 3, v12
	s_wait_loadcnt_dscnt 0x0
	ds_store_b64 v10, v[14:15]
	s_branch .LBB126_8
.LBB126_11:                             ;   in Loop: Header=BB126_4 Depth=1
	s_load_b32 s18, s[22:23], 0xc
	v_dual_mov_b32 v10, s24 :: v_dual_mov_b32 v11, s25
	s_mov_b32 s27, s21
	s_wait_kmcnt 0x0
	s_and_b32 s26, s18, 0xffff
	s_mov_b64 s[18:19], 1
	s_and_saveexec_b32 s36, s34
	s_cbranch_execz .LBB126_3
.LBB126_12:                             ;   in Loop: Header=BB126_4 Depth=1
	s_wait_loadcnt 0x0
	v_add_co_u32 v6, vcc_lo, v6, s14
	s_wait_alu 0xfffd
	v_add_co_ci_u32_e64 v7, null, s15, v7, vcc_lo
	s_delay_alu instid0(VALU_DEP_2) | instskip(SKIP_1) | instid1(VALU_DEP_2)
	v_add_co_u32 v6, vcc_lo, v6, v4
	s_wait_alu 0xfffd
	v_add_co_ci_u32_e64 v7, null, v7, v5, vcc_lo
	s_delay_alu instid0(VALU_DEP_2) | instskip(SKIP_1) | instid1(VALU_DEP_2)
	v_add_co_u32 v6, vcc_lo, v6, v13
	s_wait_alu 0xfffd
	v_add_co_ci_u32_e64 v7, null, 0, v7, vcc_lo
	s_and_not1_b32 vcc_lo, exec_lo, s35
	flat_load_b64 v[8:9], v[6:7]
	s_wait_loadcnt_dscnt 0x0
	v_mul_f64_e32 v[8:9], s[8:9], v[8:9]
	s_wait_alu 0xfffe
	s_cbranch_vccnz .LBB126_2
; %bb.13:                               ;   in Loop: Header=BB126_4 Depth=1
	v_mad_co_u64_u32 v[14:15], null, s18, v2, 0
	s_lshl_b64 s[28:29], s[26:27], 3
	s_mov_b64 s[30:31], 0
	v_mad_co_u64_u32 v[15:16], null, s19, v2, v[15:16]
	s_delay_alu instid0(VALU_DEP_1) | instskip(NEXT) | instid1(VALU_DEP_1)
	v_lshlrev_b64_e32 v[14:15], 3, v[14:15]
	v_add_co_u32 v10, vcc_lo, v10, v14
	s_wait_alu 0xfffd
	s_delay_alu instid0(VALU_DEP_2)
	v_add_co_ci_u32_e64 v11, null, v11, v15, vcc_lo
	s_branch .LBB126_15
.LBB126_14:                             ;   in Loop: Header=BB126_15 Depth=2
	s_or_b32 exec_lo, exec_lo, s37
	s_wait_alu 0xfffe
	v_add_co_u32 v10, vcc_lo, v10, s28
	s_wait_alu 0xfffd
	v_add_co_ci_u32_e64 v11, null, s29, v11, vcc_lo
	s_add_nc_u64 s[30:31], s[30:31], 1
	s_wait_alu 0xfffe
	s_cmp_eq_u64 s[6:7], s[30:31]
	s_cbranch_scc1 .LBB126_2
.LBB126_15:                             ;   Parent Loop BB126_4 Depth=1
                                        ; =>  This Inner Loop Header: Depth=2
	s_mov_b32 s37, exec_lo
	s_barrier_signal -1
	s_barrier_wait -1
	global_inv scope:SCOPE_SE
	s_wait_alu 0xfffe
	v_cmpx_eq_u64_e64 s[30:31], v[2:3]
; %bb.16:                               ;   in Loop: Header=BB126_15 Depth=2
	ds_store_b64 v0, v[8:9]
; %bb.17:                               ;   in Loop: Header=BB126_15 Depth=2
	s_or_b32 exec_lo, exec_lo, s37
	s_delay_alu instid0(SALU_CYCLE_1)
	s_mov_b32 s37, exec_lo
	s_wait_loadcnt_dscnt 0x0
	s_barrier_signal -1
	s_barrier_wait -1
	global_inv scope:SCOPE_SE
	v_cmpx_lt_u64_e64 s[30:31], v[2:3]
	s_cbranch_execz .LBB126_14
; %bb.18:                               ;   in Loop: Header=BB126_15 Depth=2
	flat_load_b64 v[14:15], v[10:11]
	ds_load_b64 v[16:17], v0
	s_wait_loadcnt_dscnt 0x0
	v_fma_f64 v[8:9], -v[14:15], v[16:17], v[8:9]
	s_branch .LBB126_14
.LBB126_19:
	s_endpgm
	.section	.rodata,"a",@progbits
	.p2align	6, 0x0
	.amdhsa_kernel _ZL39rocblas_trsm_block_forward_substitutionIddPKPKdPKPdLb1ELb0ELb1EEv18rocblas_operation_llT0_T1_lllT2_lllib
		.amdhsa_group_segment_fixed_size 0
		.amdhsa_private_segment_fixed_size 0
		.amdhsa_kernarg_size 360
		.amdhsa_user_sgpr_count 2
		.amdhsa_user_sgpr_dispatch_ptr 0
		.amdhsa_user_sgpr_queue_ptr 0
		.amdhsa_user_sgpr_kernarg_segment_ptr 1
		.amdhsa_user_sgpr_dispatch_id 0
		.amdhsa_user_sgpr_private_segment_size 0
		.amdhsa_wavefront_size32 1
		.amdhsa_uses_dynamic_stack 0
		.amdhsa_enable_private_segment 0
		.amdhsa_system_sgpr_workgroup_id_x 1
		.amdhsa_system_sgpr_workgroup_id_y 1
		.amdhsa_system_sgpr_workgroup_id_z 1
		.amdhsa_system_sgpr_workgroup_info 0
		.amdhsa_system_vgpr_workitem_id 1
		.amdhsa_next_free_vgpr 18
		.amdhsa_next_free_sgpr 38
		.amdhsa_reserve_vcc 1
		.amdhsa_float_round_mode_32 0
		.amdhsa_float_round_mode_16_64 0
		.amdhsa_float_denorm_mode_32 3
		.amdhsa_float_denorm_mode_16_64 3
		.amdhsa_fp16_overflow 0
		.amdhsa_workgroup_processor_mode 1
		.amdhsa_memory_ordered 1
		.amdhsa_forward_progress 1
		.amdhsa_inst_pref_size 9
		.amdhsa_round_robin_scheduling 0
		.amdhsa_exception_fp_ieee_invalid_op 0
		.amdhsa_exception_fp_denorm_src 0
		.amdhsa_exception_fp_ieee_div_zero 0
		.amdhsa_exception_fp_ieee_overflow 0
		.amdhsa_exception_fp_ieee_underflow 0
		.amdhsa_exception_fp_ieee_inexact 0
		.amdhsa_exception_int_div_zero 0
	.end_amdhsa_kernel
	.section	.text._ZL39rocblas_trsm_block_forward_substitutionIddPKPKdPKPdLb1ELb0ELb1EEv18rocblas_operation_llT0_T1_lllT2_lllib,"axG",@progbits,_ZL39rocblas_trsm_block_forward_substitutionIddPKPKdPKPdLb1ELb0ELb1EEv18rocblas_operation_llT0_T1_lllT2_lllib,comdat
.Lfunc_end126:
	.size	_ZL39rocblas_trsm_block_forward_substitutionIddPKPKdPKPdLb1ELb0ELb1EEv18rocblas_operation_llT0_T1_lllT2_lllib, .Lfunc_end126-_ZL39rocblas_trsm_block_forward_substitutionIddPKPKdPKPdLb1ELb0ELb1EEv18rocblas_operation_llT0_T1_lllT2_lllib
                                        ; -- End function
	.set _ZL39rocblas_trsm_block_forward_substitutionIddPKPKdPKPdLb1ELb0ELb1EEv18rocblas_operation_llT0_T1_lllT2_lllib.num_vgpr, 18
	.set _ZL39rocblas_trsm_block_forward_substitutionIddPKPKdPKPdLb1ELb0ELb1EEv18rocblas_operation_llT0_T1_lllT2_lllib.num_agpr, 0
	.set _ZL39rocblas_trsm_block_forward_substitutionIddPKPKdPKPdLb1ELb0ELb1EEv18rocblas_operation_llT0_T1_lllT2_lllib.numbered_sgpr, 38
	.set _ZL39rocblas_trsm_block_forward_substitutionIddPKPKdPKPdLb1ELb0ELb1EEv18rocblas_operation_llT0_T1_lllT2_lllib.num_named_barrier, 0
	.set _ZL39rocblas_trsm_block_forward_substitutionIddPKPKdPKPdLb1ELb0ELb1EEv18rocblas_operation_llT0_T1_lllT2_lllib.private_seg_size, 0
	.set _ZL39rocblas_trsm_block_forward_substitutionIddPKPKdPKPdLb1ELb0ELb1EEv18rocblas_operation_llT0_T1_lllT2_lllib.uses_vcc, 1
	.set _ZL39rocblas_trsm_block_forward_substitutionIddPKPKdPKPdLb1ELb0ELb1EEv18rocblas_operation_llT0_T1_lllT2_lllib.uses_flat_scratch, 0
	.set _ZL39rocblas_trsm_block_forward_substitutionIddPKPKdPKPdLb1ELb0ELb1EEv18rocblas_operation_llT0_T1_lllT2_lllib.has_dyn_sized_stack, 0
	.set _ZL39rocblas_trsm_block_forward_substitutionIddPKPKdPKPdLb1ELb0ELb1EEv18rocblas_operation_llT0_T1_lllT2_lllib.has_recursion, 0
	.set _ZL39rocblas_trsm_block_forward_substitutionIddPKPKdPKPdLb1ELb0ELb1EEv18rocblas_operation_llT0_T1_lllT2_lllib.has_indirect_call, 0
	.section	.AMDGPU.csdata,"",@progbits
; Kernel info:
; codeLenInByte = 1048
; TotalNumSgprs: 40
; NumVgprs: 18
; ScratchSize: 0
; MemoryBound: 0
; FloatMode: 240
; IeeeMode: 1
; LDSByteSize: 0 bytes/workgroup (compile time only)
; SGPRBlocks: 0
; VGPRBlocks: 2
; NumSGPRsForWavesPerEU: 40
; NumVGPRsForWavesPerEU: 18
; Occupancy: 16
; WaveLimiterHint : 1
; COMPUTE_PGM_RSRC2:SCRATCH_EN: 0
; COMPUTE_PGM_RSRC2:USER_SGPR: 2
; COMPUTE_PGM_RSRC2:TRAP_HANDLER: 0
; COMPUTE_PGM_RSRC2:TGID_X_EN: 1
; COMPUTE_PGM_RSRC2:TGID_Y_EN: 1
; COMPUTE_PGM_RSRC2:TGID_Z_EN: 1
; COMPUTE_PGM_RSRC2:TIDIG_COMP_CNT: 1
	.section	.text._ZL40rocblas_trsm_block_backward_substitutionIddPKPKdPKPdLb1ELb0ELb1EEv18rocblas_operation_llT0_T1_lllT2_lllib,"axG",@progbits,_ZL40rocblas_trsm_block_backward_substitutionIddPKPKdPKPdLb1ELb0ELb1EEv18rocblas_operation_llT0_T1_lllT2_lllib,comdat
	.globl	_ZL40rocblas_trsm_block_backward_substitutionIddPKPKdPKPdLb1ELb0ELb1EEv18rocblas_operation_llT0_T1_lllT2_lllib ; -- Begin function _ZL40rocblas_trsm_block_backward_substitutionIddPKPKdPKPdLb1ELb0ELb1EEv18rocblas_operation_llT0_T1_lllT2_lllib
	.p2align	8
	.type	_ZL40rocblas_trsm_block_backward_substitutionIddPKPKdPKPdLb1ELb0ELb1EEv18rocblas_operation_llT0_T1_lllT2_lllib,@function
_ZL40rocblas_trsm_block_backward_substitutionIddPKPKdPKPdLb1ELb0ELb1EEv18rocblas_operation_llT0_T1_lllT2_lllib: ; @_ZL40rocblas_trsm_block_backward_substitutionIddPKPKdPKPdLb1ELb0ELb1EEv18rocblas_operation_llT0_T1_lllT2_lllib
; %bb.0:
	s_load_b64 s[2:3], s[0:1], 0x60
	s_lshr_b32 s20, ttmp7, 16
	s_wait_kmcnt 0x0
	s_cmp_ge_u32 s20, s2
	s_cbranch_scc1 .LBB127_19
; %bb.1:
	s_clause 0x2
	s_load_b64 s[26:27], s[0:1], 0x50
	s_load_u16 s33, s[0:1], 0x76
	s_load_b256 s[4:11], s[0:1], 0x8
	v_dual_mov_b32 v2, 0 :: v_dual_and_b32 v1, 0x3ff, v0
	v_bfe_u32 v0, v0, 10, 10
	s_bitcmp1_b32 s3, 0
	s_clause 0x1
	s_load_b128 s[12:15], s[0:1], 0x28
	s_load_b128 s[16:19], s[0:1], 0x40
	s_add_nc_u64 s[22:23], s[0:1], 0x68
	s_cselect_b32 s3, -1, 0
	s_and_b32 s0, ttmp7, 0xffff
	s_mov_b64 s[24:25], src_shared_base
	v_lshl_add_u32 v14, v0, 3, 0
	v_lshlrev_b32_e32 v16, 3, v1
	s_mov_b32 s21, 0
	s_wait_kmcnt 0x0
	v_mad_co_u64_u32 v[5:6], null, s26, v1, 0
	v_mad_co_u64_u32 v[7:8], null, s0, s33, v[0:1]
	s_lshl_b32 s1, s33, 3
	v_cmp_gt_i64_e64 s0, s[4:5], v[1:2]
	s_wait_alu 0xfffe
	s_add_co_i32 s24, s1, 0
	v_cmp_gt_i64_e64 s34, s[4:5], 0
	v_dual_mov_b32 v3, v6 :: v_dual_mov_b32 v8, v2
	v_cmp_gt_i64_e64 s36, s[4:5], 1
	s_lshl_b64 s[12:13], s[12:13], 3
	s_lshl_b64 s[18:19], s[18:19], 3
	v_mad_co_u64_u32 v[3:4], null, s27, v1, v[3:4]
	v_lshlrev_b32_e32 v13, 3, v1
	v_cmp_gt_i64_e32 vcc_lo, s[6:7], v[7:8]
	s_add_nc_u64 s[26:27], s[4:5], -1
	s_wait_alu 0xfffe
	s_lshl_b64 s[6:7], s[26:27], 3
	s_delay_alu instid0(VALU_DEP_3) | instskip(SKIP_3) | instid1(VALU_DEP_3)
	v_mov_b32_e32 v6, v3
	v_lshlrev_b64_e32 v[3:4], 3, v[7:8]
	v_add_nc_u32_e32 v15, s24, v13
	s_and_b32 s35, vcc_lo, s0
	v_lshlrev_b64_e32 v[5:6], 3, v[5:6]
	s_branch .LBB127_4
.LBB127_2:                              ;   in Loop: Header=BB127_4 Depth=1
	flat_store_b64 v[7:8], v[9:10]
.LBB127_3:                              ;   in Loop: Header=BB127_4 Depth=1
	s_wait_alu 0xfffe
	s_or_b32 exec_lo, exec_lo, s1
	s_add_co_i32 s20, s20, 0x10000
	s_delay_alu instid0(SALU_CYCLE_1)
	s_cmp_lt_u32 s20, s2
	s_cbranch_scc0 .LBB127_19
.LBB127_4:                              ; =>This Loop Header: Depth=1
                                        ;     Child Loop BB127_9 Depth 2
                                        ;     Child Loop BB127_15 Depth 2
	s_lshl_b64 s[28:29], s[20:21], 3
	s_wait_alu 0xfffe
	s_add_nc_u64 s[30:31], s[10:11], s[28:29]
	s_add_nc_u64 s[28:29], s[16:17], s[28:29]
	global_load_b64 v[9:10], v2, s[30:31]
	s_wait_loadcnt 0x1
	global_load_b64 v[7:8], v2, s[28:29]
	s_mov_b64 s[28:29], s[14:15]
	s_wait_loadcnt 0x1
	v_add_co_u32 v11, vcc_lo, v9, s12
	s_wait_alu 0xfffd
	v_add_co_ci_u32_e64 v12, null, s13, v10, vcc_lo
	s_and_not1_b32 vcc_lo, exec_lo, s3
	s_wait_alu 0xfffe
	s_cbranch_vccz .LBB127_6
; %bb.5:                                ;   in Loop: Header=BB127_4 Depth=1
	s_and_saveexec_b32 s1, s35
	s_cbranch_execz .LBB127_3
	s_branch .LBB127_12
.LBB127_6:                              ;   in Loop: Header=BB127_4 Depth=1
	s_and_not1_b32 vcc_lo, exec_lo, s34
	s_wait_alu 0xfffe
	s_cbranch_vccnz .LBB127_11
; %bb.7:                                ;   in Loop: Header=BB127_4 Depth=1
	v_add_co_u32 v11, vcc_lo, v11, v16
	s_wait_alu 0xfffd
	v_add_co_ci_u32_e64 v12, null, 0, v12, vcc_lo
	s_mov_b32 s28, 0
	s_branch .LBB127_9
.LBB127_8:                              ;   in Loop: Header=BB127_9 Depth=2
	s_wait_alu 0xfffe
	s_or_b32 exec_lo, exec_lo, s1
	s_add_co_i32 s28, s28, s33
	s_wait_alu 0xfffe
	s_ashr_i32 s29, s28, 31
	s_wait_alu 0xfffe
	v_cmp_le_i64_e64 s1, s[4:5], s[28:29]
	s_and_b32 vcc_lo, exec_lo, s1
	s_wait_alu 0xfffe
	s_cbranch_vccnz .LBB127_11
.LBB127_9:                              ;   Parent Loop BB127_4 Depth=1
                                        ; =>  This Inner Loop Header: Depth=2
	s_wait_alu 0xfffe
	v_add_nc_u32_e32 v9, s28, v0
	s_delay_alu instid0(VALU_DEP_1) | instskip(SKIP_1) | instid1(VALU_DEP_2)
	v_ashrrev_i32_e32 v10, 31, v9
	v_cmp_lt_i32_e64 s1, v1, v9
	v_cmp_gt_i64_e32 vcc_lo, s[4:5], v[9:10]
	s_and_b32 s1, s1, vcc_lo
	s_wait_alu 0xfffe
	s_and_b32 s29, s0, s1
	s_wait_alu 0xfffe
	s_and_saveexec_b32 s1, s29
	s_cbranch_execz .LBB127_8
; %bb.10:                               ;   in Loop: Header=BB127_9 Depth=2
	v_mul_lo_u32 v19, s15, v9
	v_mul_lo_u32 v10, s14, v10
	v_mad_co_u64_u32 v[17:18], null, s14, v9, 0
	s_load_b32 s29, s[22:23], 0xc
	v_add3_u32 v18, v18, v10, v19
	s_delay_alu instid0(VALU_DEP_1) | instskip(NEXT) | instid1(VALU_DEP_1)
	v_lshlrev_b64_e32 v[17:18], 3, v[17:18]
	v_add_co_u32 v17, vcc_lo, v11, v17
	s_wait_alu 0xfffd
	s_delay_alu instid0(VALU_DEP_2)
	v_add_co_ci_u32_e64 v18, null, v12, v18, vcc_lo
	s_wait_kmcnt 0x0
	s_and_b32 s29, s29, 0xffff
	s_wait_alu 0xfffe
	v_mul_lo_u32 v9, v9, s29
	flat_load_b64 v[17:18], v[17:18]
	v_lshl_add_u32 v9, v9, 3, v15
	s_wait_loadcnt_dscnt 0x0
	ds_store_b64 v9, v[17:18]
	s_branch .LBB127_8
.LBB127_11:                             ;   in Loop: Header=BB127_4 Depth=1
	s_load_b32 s1, s[22:23], 0xc
	v_dual_mov_b32 v11, s24 :: v_dual_mov_b32 v12, s25
	s_mov_b32 s29, s21
	s_wait_kmcnt 0x0
	s_and_b32 s28, s1, 0xffff
	s_and_saveexec_b32 s1, s35
	s_cbranch_execz .LBB127_3
.LBB127_12:                             ;   in Loop: Header=BB127_4 Depth=1
	s_wait_loadcnt 0x0
	v_add_co_u32 v7, vcc_lo, v7, s18
	s_wait_alu 0xfffd
	v_add_co_ci_u32_e64 v8, null, s19, v8, vcc_lo
	s_delay_alu instid0(VALU_DEP_2) | instskip(SKIP_1) | instid1(VALU_DEP_2)
	v_add_co_u32 v7, vcc_lo, v7, v5
	s_wait_alu 0xfffd
	v_add_co_ci_u32_e64 v8, null, v8, v6, vcc_lo
	s_delay_alu instid0(VALU_DEP_2) | instskip(SKIP_1) | instid1(VALU_DEP_2)
	v_add_co_u32 v7, vcc_lo, v7, v3
	s_wait_alu 0xfffd
	v_add_co_ci_u32_e64 v8, null, v8, v4, vcc_lo
	s_and_not1_b32 vcc_lo, exec_lo, s36
	flat_load_b64 v[9:10], v[7:8]
	s_wait_loadcnt_dscnt 0x0
	v_mul_f64_e32 v[9:10], s[8:9], v[9:10]
	s_wait_alu 0xfffe
	s_cbranch_vccnz .LBB127_2
; %bb.13:                               ;   in Loop: Header=BB127_4 Depth=1
	v_add_co_u32 v11, vcc_lo, v11, v13
	s_wait_alu 0xfffd
	v_add_co_ci_u32_e64 v12, null, 0, v12, vcc_lo
	s_mul_i32 s30, s7, s28
	s_mul_i32 s31, s6, s29
	v_mad_co_u64_u32 v[11:12], null, s6, s28, v[11:12]
	s_lshl_b64 s[28:29], s[28:29], 3
	s_wait_alu 0xfffe
	s_sub_nc_u64 s[28:29], 0, s[28:29]
	v_add3_u32 v12, s31, s30, v12
	s_mov_b64 s[30:31], s[26:27]
	s_branch .LBB127_15
.LBB127_14:                             ;   in Loop: Header=BB127_15 Depth=2
	s_or_b32 exec_lo, exec_lo, s37
	s_add_nc_u64 s[38:39], s[30:31], 1
	v_add_co_u32 v11, vcc_lo, v11, s28
	s_wait_alu 0xfffe
	v_cmp_lt_u64_e64 s37, s[38:39], 3
	s_wait_alu 0xfffd
	v_add_co_ci_u32_e64 v12, null, s29, v12, vcc_lo
	s_add_nc_u64 s[30:31], s[30:31], -1
	s_and_b32 vcc_lo, exec_lo, s37
	s_wait_alu 0xfffe
	s_cbranch_vccnz .LBB127_2
.LBB127_15:                             ;   Parent Loop BB127_4 Depth=1
                                        ; =>  This Inner Loop Header: Depth=2
	s_mov_b32 s37, exec_lo
	s_barrier_signal -1
	s_barrier_wait -1
	global_inv scope:SCOPE_SE
	s_wait_alu 0xfffe
	v_cmpx_eq_u64_e64 s[30:31], v[1:2]
; %bb.16:                               ;   in Loop: Header=BB127_15 Depth=2
	ds_store_b64 v14, v[9:10]
; %bb.17:                               ;   in Loop: Header=BB127_15 Depth=2
	s_or_b32 exec_lo, exec_lo, s37
	s_delay_alu instid0(SALU_CYCLE_1)
	s_mov_b32 s37, exec_lo
	s_wait_loadcnt_dscnt 0x0
	s_barrier_signal -1
	s_barrier_wait -1
	global_inv scope:SCOPE_SE
	v_cmpx_gt_i64_e64 s[30:31], v[1:2]
	s_cbranch_execz .LBB127_14
; %bb.18:                               ;   in Loop: Header=BB127_15 Depth=2
	flat_load_b64 v[17:18], v[11:12]
	ds_load_b64 v[19:20], v14
	s_wait_loadcnt_dscnt 0x0
	v_fma_f64 v[9:10], -v[17:18], v[19:20], v[9:10]
	s_branch .LBB127_14
.LBB127_19:
	s_endpgm
	.section	.rodata,"a",@progbits
	.p2align	6, 0x0
	.amdhsa_kernel _ZL40rocblas_trsm_block_backward_substitutionIddPKPKdPKPdLb1ELb0ELb1EEv18rocblas_operation_llT0_T1_lllT2_lllib
		.amdhsa_group_segment_fixed_size 0
		.amdhsa_private_segment_fixed_size 0
		.amdhsa_kernarg_size 360
		.amdhsa_user_sgpr_count 2
		.amdhsa_user_sgpr_dispatch_ptr 0
		.amdhsa_user_sgpr_queue_ptr 0
		.amdhsa_user_sgpr_kernarg_segment_ptr 1
		.amdhsa_user_sgpr_dispatch_id 0
		.amdhsa_user_sgpr_private_segment_size 0
		.amdhsa_wavefront_size32 1
		.amdhsa_uses_dynamic_stack 0
		.amdhsa_enable_private_segment 0
		.amdhsa_system_sgpr_workgroup_id_x 1
		.amdhsa_system_sgpr_workgroup_id_y 1
		.amdhsa_system_sgpr_workgroup_id_z 1
		.amdhsa_system_sgpr_workgroup_info 0
		.amdhsa_system_vgpr_workitem_id 1
		.amdhsa_next_free_vgpr 21
		.amdhsa_next_free_sgpr 40
		.amdhsa_reserve_vcc 1
		.amdhsa_float_round_mode_32 0
		.amdhsa_float_round_mode_16_64 0
		.amdhsa_float_denorm_mode_32 3
		.amdhsa_float_denorm_mode_16_64 3
		.amdhsa_fp16_overflow 0
		.amdhsa_workgroup_processor_mode 1
		.amdhsa_memory_ordered 1
		.amdhsa_forward_progress 1
		.amdhsa_inst_pref_size 9
		.amdhsa_round_robin_scheduling 0
		.amdhsa_exception_fp_ieee_invalid_op 0
		.amdhsa_exception_fp_denorm_src 0
		.amdhsa_exception_fp_ieee_div_zero 0
		.amdhsa_exception_fp_ieee_overflow 0
		.amdhsa_exception_fp_ieee_underflow 0
		.amdhsa_exception_fp_ieee_inexact 0
		.amdhsa_exception_int_div_zero 0
	.end_amdhsa_kernel
	.section	.text._ZL40rocblas_trsm_block_backward_substitutionIddPKPKdPKPdLb1ELb0ELb1EEv18rocblas_operation_llT0_T1_lllT2_lllib,"axG",@progbits,_ZL40rocblas_trsm_block_backward_substitutionIddPKPKdPKPdLb1ELb0ELb1EEv18rocblas_operation_llT0_T1_lllT2_lllib,comdat
.Lfunc_end127:
	.size	_ZL40rocblas_trsm_block_backward_substitutionIddPKPKdPKPdLb1ELb0ELb1EEv18rocblas_operation_llT0_T1_lllT2_lllib, .Lfunc_end127-_ZL40rocblas_trsm_block_backward_substitutionIddPKPKdPKPdLb1ELb0ELb1EEv18rocblas_operation_llT0_T1_lllT2_lllib
                                        ; -- End function
	.set _ZL40rocblas_trsm_block_backward_substitutionIddPKPKdPKPdLb1ELb0ELb1EEv18rocblas_operation_llT0_T1_lllT2_lllib.num_vgpr, 21
	.set _ZL40rocblas_trsm_block_backward_substitutionIddPKPKdPKPdLb1ELb0ELb1EEv18rocblas_operation_llT0_T1_lllT2_lllib.num_agpr, 0
	.set _ZL40rocblas_trsm_block_backward_substitutionIddPKPKdPKPdLb1ELb0ELb1EEv18rocblas_operation_llT0_T1_lllT2_lllib.numbered_sgpr, 40
	.set _ZL40rocblas_trsm_block_backward_substitutionIddPKPKdPKPdLb1ELb0ELb1EEv18rocblas_operation_llT0_T1_lllT2_lllib.num_named_barrier, 0
	.set _ZL40rocblas_trsm_block_backward_substitutionIddPKPKdPKPdLb1ELb0ELb1EEv18rocblas_operation_llT0_T1_lllT2_lllib.private_seg_size, 0
	.set _ZL40rocblas_trsm_block_backward_substitutionIddPKPKdPKPdLb1ELb0ELb1EEv18rocblas_operation_llT0_T1_lllT2_lllib.uses_vcc, 1
	.set _ZL40rocblas_trsm_block_backward_substitutionIddPKPKdPKPdLb1ELb0ELb1EEv18rocblas_operation_llT0_T1_lllT2_lllib.uses_flat_scratch, 0
	.set _ZL40rocblas_trsm_block_backward_substitutionIddPKPKdPKPdLb1ELb0ELb1EEv18rocblas_operation_llT0_T1_lllT2_lllib.has_dyn_sized_stack, 0
	.set _ZL40rocblas_trsm_block_backward_substitutionIddPKPKdPKPdLb1ELb0ELb1EEv18rocblas_operation_llT0_T1_lllT2_lllib.has_recursion, 0
	.set _ZL40rocblas_trsm_block_backward_substitutionIddPKPKdPKPdLb1ELb0ELb1EEv18rocblas_operation_llT0_T1_lllT2_lllib.has_indirect_call, 0
	.section	.AMDGPU.csdata,"",@progbits
; Kernel info:
; codeLenInByte = 1064
; TotalNumSgprs: 42
; NumVgprs: 21
; ScratchSize: 0
; MemoryBound: 0
; FloatMode: 240
; IeeeMode: 1
; LDSByteSize: 0 bytes/workgroup (compile time only)
; SGPRBlocks: 0
; VGPRBlocks: 2
; NumSGPRsForWavesPerEU: 42
; NumVGPRsForWavesPerEU: 21
; Occupancy: 16
; WaveLimiterHint : 1
; COMPUTE_PGM_RSRC2:SCRATCH_EN: 0
; COMPUTE_PGM_RSRC2:USER_SGPR: 2
; COMPUTE_PGM_RSRC2:TRAP_HANDLER: 0
; COMPUTE_PGM_RSRC2:TGID_X_EN: 1
; COMPUTE_PGM_RSRC2:TGID_Y_EN: 1
; COMPUTE_PGM_RSRC2:TGID_Z_EN: 1
; COMPUTE_PGM_RSRC2:TIDIG_COMP_CNT: 1
	.section	.text._ZL26setup_batched_array_kernelILi128EdEvPT0_lPS1_,"axG",@progbits,_ZL26setup_batched_array_kernelILi128EdEvPT0_lPS1_,comdat
	.globl	_ZL26setup_batched_array_kernelILi128EdEvPT0_lPS1_ ; -- Begin function _ZL26setup_batched_array_kernelILi128EdEvPT0_lPS1_
	.p2align	8
	.type	_ZL26setup_batched_array_kernelILi128EdEvPT0_lPS1_,@function
_ZL26setup_batched_array_kernelILi128EdEvPT0_lPS1_: ; @_ZL26setup_batched_array_kernelILi128EdEvPT0_lPS1_
; %bb.0:
	s_clause 0x1
	s_load_b128 s[4:7], s[0:1], 0x0
	s_load_b64 s[0:1], s[0:1], 0x10
	s_mov_b32 s2, ttmp9
	s_mov_b32 s3, 0
	s_wait_kmcnt 0x0
	s_mul_u64 s[6:7], s[6:7], s[2:3]
	s_lshl_b64 s[2:3], s[2:3], 3
	s_lshl_b64 s[6:7], s[6:7], 3
	s_add_nc_u64 s[0:1], s[0:1], s[2:3]
	s_add_nc_u64 s[4:5], s[4:5], s[6:7]
	v_mov_b32_e32 v2, 0
	v_dual_mov_b32 v0, s4 :: v_dual_mov_b32 v1, s5
	global_store_b64 v2, v[0:1], s[0:1]
	s_endpgm
	.section	.rodata,"a",@progbits
	.p2align	6, 0x0
	.amdhsa_kernel _ZL26setup_batched_array_kernelILi128EdEvPT0_lPS1_
		.amdhsa_group_segment_fixed_size 0
		.amdhsa_private_segment_fixed_size 0
		.amdhsa_kernarg_size 24
		.amdhsa_user_sgpr_count 2
		.amdhsa_user_sgpr_dispatch_ptr 0
		.amdhsa_user_sgpr_queue_ptr 0
		.amdhsa_user_sgpr_kernarg_segment_ptr 1
		.amdhsa_user_sgpr_dispatch_id 0
		.amdhsa_user_sgpr_private_segment_size 0
		.amdhsa_wavefront_size32 1
		.amdhsa_uses_dynamic_stack 0
		.amdhsa_enable_private_segment 0
		.amdhsa_system_sgpr_workgroup_id_x 1
		.amdhsa_system_sgpr_workgroup_id_y 0
		.amdhsa_system_sgpr_workgroup_id_z 0
		.amdhsa_system_sgpr_workgroup_info 0
		.amdhsa_system_vgpr_workitem_id 0
		.amdhsa_next_free_vgpr 3
		.amdhsa_next_free_sgpr 8
		.amdhsa_reserve_vcc 0
		.amdhsa_float_round_mode_32 0
		.amdhsa_float_round_mode_16_64 0
		.amdhsa_float_denorm_mode_32 3
		.amdhsa_float_denorm_mode_16_64 3
		.amdhsa_fp16_overflow 0
		.amdhsa_workgroup_processor_mode 1
		.amdhsa_memory_ordered 1
		.amdhsa_forward_progress 1
		.amdhsa_inst_pref_size 1
		.amdhsa_round_robin_scheduling 0
		.amdhsa_exception_fp_ieee_invalid_op 0
		.amdhsa_exception_fp_denorm_src 0
		.amdhsa_exception_fp_ieee_div_zero 0
		.amdhsa_exception_fp_ieee_overflow 0
		.amdhsa_exception_fp_ieee_underflow 0
		.amdhsa_exception_fp_ieee_inexact 0
		.amdhsa_exception_int_div_zero 0
	.end_amdhsa_kernel
	.section	.text._ZL26setup_batched_array_kernelILi128EdEvPT0_lPS1_,"axG",@progbits,_ZL26setup_batched_array_kernelILi128EdEvPT0_lPS1_,comdat
.Lfunc_end128:
	.size	_ZL26setup_batched_array_kernelILi128EdEvPT0_lPS1_, .Lfunc_end128-_ZL26setup_batched_array_kernelILi128EdEvPT0_lPS1_
                                        ; -- End function
	.set _ZL26setup_batched_array_kernelILi128EdEvPT0_lPS1_.num_vgpr, 3
	.set _ZL26setup_batched_array_kernelILi128EdEvPT0_lPS1_.num_agpr, 0
	.set _ZL26setup_batched_array_kernelILi128EdEvPT0_lPS1_.numbered_sgpr, 8
	.set _ZL26setup_batched_array_kernelILi128EdEvPT0_lPS1_.num_named_barrier, 0
	.set _ZL26setup_batched_array_kernelILi128EdEvPT0_lPS1_.private_seg_size, 0
	.set _ZL26setup_batched_array_kernelILi128EdEvPT0_lPS1_.uses_vcc, 0
	.set _ZL26setup_batched_array_kernelILi128EdEvPT0_lPS1_.uses_flat_scratch, 0
	.set _ZL26setup_batched_array_kernelILi128EdEvPT0_lPS1_.has_dyn_sized_stack, 0
	.set _ZL26setup_batched_array_kernelILi128EdEvPT0_lPS1_.has_recursion, 0
	.set _ZL26setup_batched_array_kernelILi128EdEvPT0_lPS1_.has_indirect_call, 0
	.section	.AMDGPU.csdata,"",@progbits
; Kernel info:
; codeLenInByte = 80
; TotalNumSgprs: 8
; NumVgprs: 3
; ScratchSize: 0
; MemoryBound: 0
; FloatMode: 240
; IeeeMode: 1
; LDSByteSize: 0 bytes/workgroup (compile time only)
; SGPRBlocks: 0
; VGPRBlocks: 0
; NumSGPRsForWavesPerEU: 8
; NumVGPRsForWavesPerEU: 3
; Occupancy: 16
; WaveLimiterHint : 0
; COMPUTE_PGM_RSRC2:SCRATCH_EN: 0
; COMPUTE_PGM_RSRC2:USER_SGPR: 2
; COMPUTE_PGM_RSRC2:TRAP_HANDLER: 0
; COMPUTE_PGM_RSRC2:TGID_X_EN: 1
; COMPUTE_PGM_RSRC2:TGID_Y_EN: 0
; COMPUTE_PGM_RSRC2:TGID_Z_EN: 0
; COMPUTE_PGM_RSRC2:TIDIG_COMP_CNT: 0
	.section	.text._ZL25rocblas_trtri_trsm_kernelILi128ELi16ELi8EdPKPKdPKPdEv13rocblas_fill_17rocblas_diagonal_T3_lilT4_lli,"axG",@progbits,_ZL25rocblas_trtri_trsm_kernelILi128ELi16ELi8EdPKPKdPKPdEv13rocblas_fill_17rocblas_diagonal_T3_lilT4_lli,comdat
	.globl	_ZL25rocblas_trtri_trsm_kernelILi128ELi16ELi8EdPKPKdPKPdEv13rocblas_fill_17rocblas_diagonal_T3_lilT4_lli ; -- Begin function _ZL25rocblas_trtri_trsm_kernelILi128ELi16ELi8EdPKPKdPKPdEv13rocblas_fill_17rocblas_diagonal_T3_lilT4_lli
	.p2align	8
	.type	_ZL25rocblas_trtri_trsm_kernelILi128ELi16ELi8EdPKPKdPKPdEv13rocblas_fill_17rocblas_diagonal_T3_lilT4_lli,@function
_ZL25rocblas_trtri_trsm_kernelILi128ELi16ELi8EdPKPKdPKPdEv13rocblas_fill_17rocblas_diagonal_T3_lilT4_lli: ; @_ZL25rocblas_trtri_trsm_kernelILi128ELi16ELi8EdPKPKdPKPdEv13rocblas_fill_17rocblas_diagonal_T3_lilT4_lli
; %bb.0:
	s_load_b32 s90, s[0:1], 0x40
	s_lshr_b32 s48, ttmp7, 16
	s_wait_kmcnt 0x0
	s_cmp_ge_u32 s48, s90
	s_cbranch_scc1 .LBB129_143
; %bb.1:
	s_clause 0x3
	s_load_b32 s38, s[0:1], 0x18
	s_load_b64 s[4:5], s[0:1], 0x0
	s_load_b128 s[40:43], s[0:1], 0x8
	s_load_b128 s[44:47], s[0:1], 0x28
	v_cmp_gt_u32_e64 s1, 32, v0
	v_cmp_gt_u32_e32 vcc_lo, 16, v0
	v_dual_mov_b32 v3, 0 :: v_dual_and_b32 v4, 15, v0
	v_lshrrev_b32_e32 v5, 4, v0
	s_delay_alu instid0(VALU_DEP_4) | instskip(SKIP_1) | instid1(VALU_DEP_4)
	v_cndmask_b32_e64 v2, 0xffffffe0, -16, s1
	v_cndmask_b32_e64 v1, 0, 0x1800, s1
	v_xor_b32_e32 v10, 15, v4
	v_lshlrev_b32_e32 v18, 3, v4
	v_lshlrev_b32_e32 v8, 7, v5
	v_cndmask_b32_e64 v2, v2, 0, vcc_lo
	v_cndmask_b32_e64 v1, v1, 0x1000, vcc_lo
	v_bfi_b32 v9, v0, 0, 0xf0
	v_lshlrev_b32_e32 v10, 3, v10
	s_lshl_b32 s50, ttmp9, 1
	v_add_nc_u32_e32 v2, v0, v2
	s_wait_kmcnt 0x0
	s_ashr_i32 s39, s38, 31
	s_mov_b32 s51, 0
	s_lshl_b64 s[52:53], s[38:39], 4
	s_and_b32 s3, s50, 6
	v_sub_nc_u32_e32 v12, 0xffffff10, v2
	v_sub_nc_u32_e32 v13, 0xffffff20, v2
	v_lshlrev_b32_e32 v20, 3, v2
	v_mad_i32_i24 v38, 0x88, v2, v1
	s_add_nc_u64 s[6:7], s[52:53], 16
	v_lshl_add_u32 v21, v12, 3, v1
	v_sub_nc_u32_e32 v12, 0xffffff30, v2
	v_lshl_add_u32 v22, v13, 3, v1
	v_sub_nc_u32_e32 v13, 0xffffff40, v2
	s_mul_u64 s[88:89], s[6:7], s[50:51]
	s_bfe_u32 s50, ttmp9, 0x1d0002
	v_lshl_add_u32 v23, v12, 3, v1
	v_sub_nc_u32_e32 v12, 0xffffff50, v2
	v_lshl_add_u32 v24, v13, 3, v1
	v_sub_nc_u32_e32 v13, 0xffffff60, v2
	v_cndmask_b32_e64 v7, s7, 0, vcc_lo
	v_cndmask_b32_e64 v6, s6, 0, vcc_lo
	v_lshl_add_u32 v25, v12, 3, v1
	v_sub_nc_u32_e32 v12, 0xffffff70, v2
	v_lshl_add_u32 v26, v13, 3, v1
	v_sub_nc_u32_e32 v13, 0xffffff80, v2
	s_lshl_b64 s[66:67], s[50:51], 17
	v_or_b32_e32 v11, v8, v4
	v_lshl_add_u32 v27, v12, 3, v1
	v_sub_nc_u32_e32 v12, 0xffffff90, v2
	v_lshl_add_u32 v28, v13, 3, v1
	v_sub_nc_u32_e32 v13, 0xffffffa0, v2
	v_sub_nc_u32_e32 v14, -16, v2
	v_sub_nc_u32_e32 v36, v1, v20
	v_lshl_add_u32 v29, v12, 3, v1
	v_sub_nc_u32_e32 v12, 0xffffffb0, v2
	v_lshl_add_u32 v30, v13, 3, v1
	v_sub_nc_u32_e32 v13, 0xffffffc0, v2
	v_lshl_or_b32 v45, v9, 3, 0x1878
	v_or_b32_e32 v46, v8, v18
	v_lshl_add_u32 v31, v12, 3, v1
	v_sub_nc_u32_e32 v12, 0xffffffd0, v2
	v_lshl_add_u32 v32, v13, 3, v1
	v_sub_nc_u32_e32 v13, 0xffffffe0, v2
	s_cmp_lg_u32 s4, 0x7a
	v_add_nc_u32_e32 v44, 1, v5
	v_lshl_add_u32 v33, v12, 3, v1
	v_mul_i32_i24_e32 v12, 0x88, v2
	v_lshl_add_u32 v34, v13, 3, v1
	v_lshlrev_b32_e32 v13, 7, v2
	s_cselect_b32 s91, -1, 0
	s_lshl_b64 s[70:71], s[38:39], 7
	s_lshl_b64 s[72:73], s[38:39], 6
	;; [unrolled: 1-line block ×3, first 2 shown]
	v_sub_nc_u32_e32 v12, v12, v13
	v_sub_nc_u32_e32 v39, v38, v13
	v_lshlrev_b32_e32 v13, 3, v5
	s_cmp_lg_u32 s5, 0x84
	v_add_nc_u32_e32 v47, -1, v5
	v_add_nc_u32_e32 v12, v12, v1
	v_add_nc_u32_e32 v49, -1, v4
	v_add_nc_u32_e32 v52, 1, v4
	v_lshlrev_b64_e32 v[6:7], 3, v[6:7]
	v_cmp_lt_u32_e64 s0, 31, v0
	v_add_nc_u32_e32 v40, 0x80, v12
	v_add_nc_u32_e32 v43, 0x100, v12
	v_lshlrev_b32_e32 v12, 7, v4
	v_lshlrev_b64_e32 v[4:5], 3, v[2:3]
	v_cmp_gt_u32_e64 s2, 48, v0
	s_mul_i32 s49, s3, 0x810
	v_cmp_gt_u32_e64 s3, 0x100, v0
	v_sub_nc_u32_e32 v9, v10, v12
	v_lshl_or_b32 v0, v0, 3, 0x800
	v_cndmask_b32_e64 v19, 0x810, 0, vcc_lo
	v_cmp_gt_u32_e64 s4, 16, v2
	v_cmp_gt_u32_e64 s5, 15, v2
	v_cmp_gt_u32_e64 s6, 14, v2
	v_cmp_gt_u32_e64 s7, 13, v2
	v_cmp_gt_u32_e64 s8, 12, v2
	v_cmp_gt_u32_e64 s9, 11, v2
	v_cmp_gt_u32_e64 s10, 10, v2
	v_cmp_gt_u32_e64 s11, 9, v2
	v_cmp_gt_u32_e64 s12, 8, v2
	v_cmp_gt_u32_e64 s13, 7, v2
	v_cmp_gt_u32_e64 s14, 6, v2
	v_cmp_gt_u32_e64 s15, 5, v2
	v_cmp_gt_u32_e64 s16, 4, v2
	v_cmp_gt_u32_e64 s17, 3, v2
	v_cmp_gt_u32_e64 s18, 2, v2
	v_lshl_add_u32 v35, v14, 3, v1
	v_cmp_eq_u32_e64 s19, 0, v2
	v_cmp_ne_u32_e64 s20, 0, v2
	v_add_nc_u32_e32 v37, v1, v20
	v_cmp_lt_u32_e64 s21, 1, v2
	v_cmp_lt_u32_e64 s22, 2, v2
	;; [unrolled: 1-line block ×14, first 2 shown]
	v_cmp_gt_i32_e64 s36, 16, v2
	v_cmp_lt_i32_e64 s37, -1, v2
	v_or_b32_e32 v41, 8, v1
	v_or_b32_e32 v42, 0x90, v1
	v_or3_b32 v48, v8, v13, 0x1000
	v_or_b32_e32 v50, 0x800, v46
	v_add_nc_u32_e32 v51, 0x1780, v9
	v_or_b32_e32 v53, 0x800, v8
	v_or_b32_e32 v54, 0x1800, v18
	v_add_nc_u32_e32 v55, 0x78, v36
	v_add_nc_u32_e32 v56, 1, v2
	v_lshlrev_b32_e32 v57, 3, v11
	s_cselect_b32 s92, -1, 0
	s_lshl_b64 s[84:85], s[38:39], 3
	s_mul_u64 s[54:55], s[38:39], 0x78
	s_mul_u64 s[56:57], s[38:39], 0x70
	;; [unrolled: 1-line block ×11, first 2 shown]
	s_sub_nc_u64 s[86:87], 0, s[84:85]
	s_lshl_b64 s[88:89], s[88:89], 3
	s_lshl_b64 s[42:43], s[42:43], 3
	s_lshl_b32 s93, s49, 3
	s_lshl_b64 s[46:47], s[46:47], 3
	s_branch .LBB129_3
.LBB129_2:                              ;   in Loop: Header=BB129_3 Depth=1
	s_wait_alu 0xfffe
	s_or_b32 exec_lo, exec_lo, s39
	s_add_co_i32 s48, s48, 0x10000
	s_wait_alu 0xfffe
	s_cmp_lt_u32 s48, s90
	s_cbranch_scc0 .LBB129_143
.LBB129_3:                              ; =>This Loop Header: Depth=1
                                        ;     Child Loop BB129_86 Depth 2
                                        ;       Child Loop BB129_92 Depth 3
                                        ;       Child Loop BB129_101 Depth 3
                                        ;     Child Loop BB129_108 Depth 2
                                        ;     Child Loop BB129_114 Depth 2
	;; [unrolled: 1-line block ×6, first 2 shown]
	s_mov_b32 s49, s51
	s_wait_alu 0xfffe
	s_lshl_b64 s[38:39], s[48:49], 3
	s_wait_alu 0xfffe
	s_add_nc_u64 s[94:95], s[40:41], s[38:39]
	s_add_nc_u64 s[38:39], s[44:45], s[38:39]
	s_clause 0x1
	global_load_b64 v[10:11], v3, s[94:95]
	global_load_b64 v[8:9], v3, s[38:39]
	s_wait_loadcnt 0x1
	v_add_co_u32 v10, vcc_lo, v10, s88
	s_wait_alu 0xfffd
	v_add_co_ci_u32_e64 v11, null, s89, v11, vcc_lo
	s_delay_alu instid0(VALU_DEP_2) | instskip(SKIP_1) | instid1(VALU_DEP_2)
	v_add_co_u32 v10, vcc_lo, v10, s42
	s_wait_alu 0xfffd
	v_add_co_ci_u32_e64 v11, null, s43, v11, vcc_lo
	s_and_saveexec_b32 s38, s0
	s_wait_alu 0xfffe
	s_xor_b32 s38, exec_lo, s38
	s_cbranch_execz .LBB129_10
; %bb.4:                                ;   in Loop: Header=BB129_3 Depth=1
	s_and_saveexec_b32 s39, s2
	s_cbranch_execz .LBB129_9
; %bb.5:                                ;   in Loop: Header=BB129_3 Depth=1
	s_and_not1_b32 vcc_lo, exec_lo, s91
	s_mov_b32 s49, -1
	s_wait_alu 0xfffe
	s_cbranch_vccnz .LBB129_7
; %bb.6:                                ;   in Loop: Header=BB129_3 Depth=1
	v_add_co_u32 v12, vcc_lo, v10, s70
	s_wait_alu 0xfffd
	v_add_co_ci_u32_e64 v13, null, s71, v11, vcc_lo
	s_mov_b32 s49, 0
	v_add_co_u32 v12, vcc_lo, v12, v4
	s_wait_alu 0xfffd
	v_add_co_ci_u32_e64 v13, null, v13, v5, vcc_lo
	s_delay_alu instid0(VALU_DEP_2) | instskip(SKIP_1) | instid1(VALU_DEP_2)
	v_add_co_u32 v14, vcc_lo, v12, s54
	s_wait_alu 0xfffd
	v_add_co_ci_u32_e64 v15, null, s55, v13, vcc_lo
	flat_load_b64 v[16:17], v[14:15]
	v_add_co_u32 v14, vcc_lo, v14, s86
	s_wait_alu 0xfffd
	v_add_co_ci_u32_e64 v15, null, s87, v15, vcc_lo
	s_wait_loadcnt_dscnt 0x0
	ds_store_b64 v20, v[16:17] offset:1920
	flat_load_b64 v[16:17], v[14:15]
	v_add_co_u32 v14, vcc_lo, v14, s86
	s_wait_alu 0xfffd
	v_add_co_ci_u32_e64 v15, null, s87, v15, vcc_lo
	s_wait_loadcnt_dscnt 0x0
	ds_store_b64 v20, v[16:17] offset:1792
	flat_load_b64 v[16:17], v[14:15]
	v_add_co_u32 v14, vcc_lo, v14, s86
	s_wait_alu 0xfffd
	v_add_co_ci_u32_e64 v15, null, s87, v15, vcc_lo
	s_wait_loadcnt_dscnt 0x0
	ds_store_b64 v20, v[16:17] offset:1664
	flat_load_b64 v[16:17], v[14:15]
	v_add_co_u32 v14, vcc_lo, v14, s86
	s_wait_alu 0xfffd
	v_add_co_ci_u32_e64 v15, null, s87, v15, vcc_lo
	s_wait_loadcnt_dscnt 0x0
	ds_store_b64 v20, v[16:17] offset:1536
	flat_load_b64 v[16:17], v[14:15]
	v_add_co_u32 v14, vcc_lo, v14, s86
	s_wait_alu 0xfffd
	v_add_co_ci_u32_e64 v15, null, s87, v15, vcc_lo
	s_wait_loadcnt_dscnt 0x0
	ds_store_b64 v20, v[16:17] offset:1408
	flat_load_b64 v[16:17], v[14:15]
	v_add_co_u32 v14, vcc_lo, v14, s86
	s_wait_alu 0xfffd
	v_add_co_ci_u32_e64 v15, null, s87, v15, vcc_lo
	s_wait_loadcnt_dscnt 0x0
	ds_store_b64 v20, v[16:17] offset:1280
	flat_load_b64 v[16:17], v[14:15]
	v_add_co_u32 v14, vcc_lo, v14, s86
	s_wait_alu 0xfffd
	v_add_co_ci_u32_e64 v15, null, s87, v15, vcc_lo
	s_wait_loadcnt_dscnt 0x0
	ds_store_b64 v20, v[16:17] offset:1152
	flat_load_b64 v[16:17], v[14:15]
	v_add_co_u32 v14, vcc_lo, v14, s86
	s_wait_alu 0xfffd
	v_add_co_ci_u32_e64 v15, null, s87, v15, vcc_lo
	s_wait_loadcnt_dscnt 0x0
	ds_store_b64 v20, v[16:17] offset:1024
	flat_load_b64 v[16:17], v[14:15]
	v_add_co_u32 v14, vcc_lo, v14, s86
	s_wait_alu 0xfffd
	v_add_co_ci_u32_e64 v15, null, s87, v15, vcc_lo
	s_wait_loadcnt_dscnt 0x0
	ds_store_b64 v20, v[16:17] offset:896
	flat_load_b64 v[16:17], v[14:15]
	v_add_co_u32 v14, vcc_lo, v14, s86
	s_wait_alu 0xfffd
	v_add_co_ci_u32_e64 v15, null, s87, v15, vcc_lo
	s_wait_loadcnt_dscnt 0x0
	ds_store_b64 v20, v[16:17] offset:768
	flat_load_b64 v[16:17], v[14:15]
	v_add_co_u32 v14, vcc_lo, v14, s86
	s_wait_alu 0xfffd
	v_add_co_ci_u32_e64 v15, null, s87, v15, vcc_lo
	s_wait_loadcnt_dscnt 0x0
	ds_store_b64 v20, v[16:17] offset:640
	flat_load_b64 v[16:17], v[14:15]
	v_add_co_u32 v14, vcc_lo, v14, s86
	s_wait_alu 0xfffd
	v_add_co_ci_u32_e64 v15, null, s87, v15, vcc_lo
	s_wait_loadcnt_dscnt 0x0
	ds_store_b64 v20, v[16:17] offset:512
	flat_load_b64 v[16:17], v[14:15]
	v_add_co_u32 v14, vcc_lo, v14, s86
	s_wait_alu 0xfffd
	v_add_co_ci_u32_e64 v15, null, s87, v15, vcc_lo
	s_wait_loadcnt_dscnt 0x0
	ds_store_b64 v20, v[16:17] offset:384
	flat_load_b64 v[16:17], v[14:15]
	v_add_co_u32 v14, vcc_lo, v14, s86
	s_wait_alu 0xfffd
	v_add_co_ci_u32_e64 v15, null, s87, v15, vcc_lo
	s_wait_loadcnt_dscnt 0x0
	ds_store_b64 v20, v[16:17] offset:256
	flat_load_b64 v[14:15], v[14:15]
	s_wait_loadcnt_dscnt 0x0
	ds_store_b64 v20, v[14:15] offset:128
	flat_load_b64 v[12:13], v[12:13]
	s_wait_loadcnt_dscnt 0x0
	ds_store_b64 v20, v[12:13]
.LBB129_7:                              ;   in Loop: Header=BB129_3 Depth=1
	s_wait_alu 0xfffe
	s_and_not1_b32 vcc_lo, exec_lo, s49
	s_wait_alu 0xfffe
	s_cbranch_vccnz .LBB129_9
; %bb.8:                                ;   in Loop: Header=BB129_3 Depth=1
	v_add_co_u32 v10, vcc_lo, v10, v4
	s_wait_alu 0xfffd
	v_add_co_ci_u32_e64 v11, null, v11, v5, vcc_lo
	flat_load_b64 v[12:13], v[10:11] offset:128
	v_add_co_u32 v10, vcc_lo, v10, s84
	s_wait_alu 0xfffd
	v_add_co_ci_u32_e64 v11, null, s85, v11, vcc_lo
	s_wait_loadcnt_dscnt 0x0
	ds_store_b64 v20, v[12:13]
	flat_load_b64 v[12:13], v[10:11] offset:128
	v_add_co_u32 v10, vcc_lo, v10, s84
	s_wait_alu 0xfffd
	v_add_co_ci_u32_e64 v11, null, s85, v11, vcc_lo
	s_wait_loadcnt_dscnt 0x0
	ds_store_b64 v20, v[12:13] offset:128
	flat_load_b64 v[12:13], v[10:11] offset:128
	v_add_co_u32 v10, vcc_lo, v10, s84
	s_wait_alu 0xfffd
	v_add_co_ci_u32_e64 v11, null, s85, v11, vcc_lo
	s_wait_loadcnt_dscnt 0x0
	ds_store_b64 v20, v[12:13] offset:256
	;; [unrolled: 6-line block ×14, first 2 shown]
	flat_load_b64 v[10:11], v[10:11] offset:128
	s_wait_loadcnt_dscnt 0x0
	ds_store_b64 v20, v[10:11] offset:1920
.LBB129_9:                              ;   in Loop: Header=BB129_3 Depth=1
	s_wait_alu 0xfffe
	s_or_b32 exec_lo, exec_lo, s39
                                        ; implicit-def: $vgpr10
                                        ; implicit-def: $vgpr11
.LBB129_10:                             ;   in Loop: Header=BB129_3 Depth=1
	s_wait_alu 0xfffe
	s_and_not1_saveexec_b32 s38, s38
	s_cbranch_execz .LBB129_77
; %bb.11:                               ;   in Loop: Header=BB129_3 Depth=1
	v_add_co_u32 v58, vcc_lo, v10, v6
	s_wait_alu 0xfffd
	v_add_co_ci_u32_e64 v59, null, v11, v7, vcc_lo
	s_and_not1_b32 vcc_lo, exec_lo, s91
	s_mov_b32 s39, -1
	s_wait_alu 0xfffe
	s_cbranch_vccnz .LBB129_45
; %bb.12:                               ;   in Loop: Header=BB129_3 Depth=1
	v_mov_b32_e32 v12, 0
	v_add_co_u32 v10, vcc_lo, v58, v4
	v_dual_mov_b32 v13, 0 :: v_dual_mov_b32 v14, 0
	v_mov_b32_e32 v15, 0
	s_wait_alu 0xfffd
	v_add_co_ci_u32_e64 v11, null, v59, v5, vcc_lo
	s_and_saveexec_b32 s39, s4
	s_cbranch_execz .LBB129_14
; %bb.13:                               ;   in Loop: Header=BB129_3 Depth=1
	v_add_co_u32 v14, vcc_lo, v10, s54
	s_wait_alu 0xfffd
	v_add_co_ci_u32_e64 v15, null, s55, v11, vcc_lo
	flat_load_b64 v[14:15], v[14:15]
.LBB129_14:                             ;   in Loop: Header=BB129_3 Depth=1
	s_wait_alu 0xfffe
	s_or_b32 exec_lo, exec_lo, s39
	s_wait_loadcnt_dscnt 0x0
	ds_store_b64 v21, v[14:15] offset:2040
	s_and_saveexec_b32 s39, s5
	s_cbranch_execz .LBB129_16
; %bb.15:                               ;   in Loop: Header=BB129_3 Depth=1
	v_add_co_u32 v12, vcc_lo, v10, s56
	s_wait_alu 0xfffd
	v_add_co_ci_u32_e64 v13, null, s57, v11, vcc_lo
	flat_load_b64 v[12:13], v[12:13]
.LBB129_16:                             ;   in Loop: Header=BB129_3 Depth=1
	s_wait_alu 0xfffe
	s_or_b32 exec_lo, exec_lo, s39
	v_mov_b32_e32 v14, 0
	v_dual_mov_b32 v15, 0 :: v_dual_mov_b32 v16, 0
	v_mov_b32_e32 v17, 0
	s_wait_loadcnt_dscnt 0x0
	ds_store_b64 v22, v[12:13] offset:2040
	s_and_saveexec_b32 s39, s6
	s_cbranch_execz .LBB129_18
; %bb.17:                               ;   in Loop: Header=BB129_3 Depth=1
	v_add_co_u32 v12, vcc_lo, v10, s58
	s_wait_alu 0xfffd
	v_add_co_ci_u32_e64 v13, null, s59, v11, vcc_lo
	flat_load_b64 v[16:17], v[12:13]
.LBB129_18:                             ;   in Loop: Header=BB129_3 Depth=1
	s_wait_alu 0xfffe
	s_or_b32 exec_lo, exec_lo, s39
	s_wait_loadcnt_dscnt 0x0
	ds_store_b64 v23, v[16:17] offset:2040
	s_and_saveexec_b32 s39, s7
	s_cbranch_execz .LBB129_20
; %bb.19:                               ;   in Loop: Header=BB129_3 Depth=1
	v_add_co_u32 v12, vcc_lo, v10, s60
	s_wait_alu 0xfffd
	v_add_co_ci_u32_e64 v13, null, s61, v11, vcc_lo
	flat_load_b64 v[14:15], v[12:13]
.LBB129_20:                             ;   in Loop: Header=BB129_3 Depth=1
	s_wait_alu 0xfffe
	s_or_b32 exec_lo, exec_lo, s39
	v_mov_b32_e32 v12, 0
	v_dual_mov_b32 v13, 0 :: v_dual_mov_b32 v16, 0
	v_mov_b32_e32 v17, 0
	s_wait_loadcnt_dscnt 0x0
	ds_store_b64 v24, v[14:15] offset:2040
	;; [unrolled: 27-line block ×7, first 2 shown]
	s_and_saveexec_b32 s39, s18
	s_cbranch_execz .LBB129_42
; %bb.41:                               ;   in Loop: Header=BB129_3 Depth=1
	v_add_co_u32 v12, vcc_lo, v10, s84
	s_wait_alu 0xfffd
	v_add_co_ci_u32_e64 v13, null, s85, v11, vcc_lo
	flat_load_b64 v[16:17], v[12:13]
.LBB129_42:                             ;   in Loop: Header=BB129_3 Depth=1
	s_wait_alu 0xfffe
	s_or_b32 exec_lo, exec_lo, s39
	s_wait_loadcnt_dscnt 0x0
	ds_store_b64 v35, v[16:17] offset:2040
	s_and_saveexec_b32 s39, s19
	s_cbranch_execz .LBB129_44
; %bb.43:                               ;   in Loop: Header=BB129_3 Depth=1
	flat_load_b64 v[14:15], v[10:11]
.LBB129_44:                             ;   in Loop: Header=BB129_3 Depth=1
	s_wait_alu 0xfffe
	s_or_b32 exec_lo, exec_lo, s39
	s_mov_b32 s39, 0
	s_wait_loadcnt_dscnt 0x0
	ds_store_b64 v36, v[14:15] offset:2040
.LBB129_45:                             ;   in Loop: Header=BB129_3 Depth=1
	s_wait_alu 0xfffe
	s_and_b32 vcc_lo, exec_lo, s39
	s_wait_alu 0xfffe
	s_cbranch_vccz .LBB129_77
; %bb.46:                               ;   in Loop: Header=BB129_3 Depth=1
	v_add_co_u32 v10, vcc_lo, v58, v4
	s_wait_alu 0xfffd
	v_add_co_ci_u32_e64 v11, null, v59, v5, vcc_lo
	v_mov_b32_e32 v12, 0
	v_dual_mov_b32 v13, 0 :: v_dual_mov_b32 v14, 0
	flat_load_b64 v[16:17], v[10:11]
	v_mov_b32_e32 v15, 0
	s_wait_loadcnt_dscnt 0x0
	ds_store_b64 v37, v[16:17]
	s_and_saveexec_b32 s39, s20
	s_cbranch_execz .LBB129_48
; %bb.47:                               ;   in Loop: Header=BB129_3 Depth=1
	v_add_co_u32 v14, vcc_lo, v10, s84
	s_wait_alu 0xfffd
	v_add_co_ci_u32_e64 v15, null, s85, v11, vcc_lo
	flat_load_b64 v[14:15], v[14:15]
.LBB129_48:                             ;   in Loop: Header=BB129_3 Depth=1
	s_wait_alu 0xfffe
	s_or_b32 exec_lo, exec_lo, s39
	s_wait_loadcnt_dscnt 0x0
	ds_store_b64 v37, v[14:15] offset:128
	s_and_saveexec_b32 s39, s21
	s_cbranch_execz .LBB129_50
; %bb.49:                               ;   in Loop: Header=BB129_3 Depth=1
	v_add_co_u32 v12, vcc_lo, v10, s52
	s_wait_alu 0xfffd
	v_add_co_ci_u32_e64 v13, null, s53, v11, vcc_lo
	flat_load_b64 v[12:13], v[12:13]
.LBB129_50:                             ;   in Loop: Header=BB129_3 Depth=1
	s_wait_alu 0xfffe
	s_or_b32 exec_lo, exec_lo, s39
	v_mov_b32_e32 v14, 0
	v_dual_mov_b32 v15, 0 :: v_dual_mov_b32 v16, 0
	v_mov_b32_e32 v17, 0
	s_wait_loadcnt_dscnt 0x0
	ds_store_b64 v37, v[12:13] offset:256
	s_and_saveexec_b32 s39, s22
	s_cbranch_execz .LBB129_52
; %bb.51:                               ;   in Loop: Header=BB129_3 Depth=1
	v_add_co_u32 v12, vcc_lo, v10, s82
	s_wait_alu 0xfffd
	v_add_co_ci_u32_e64 v13, null, s83, v11, vcc_lo
	flat_load_b64 v[16:17], v[12:13]
.LBB129_52:                             ;   in Loop: Header=BB129_3 Depth=1
	s_wait_alu 0xfffe
	s_or_b32 exec_lo, exec_lo, s39
	s_wait_loadcnt_dscnt 0x0
	ds_store_b64 v37, v[16:17] offset:384
	s_and_saveexec_b32 s39, s23
	s_cbranch_execz .LBB129_54
; %bb.53:                               ;   in Loop: Header=BB129_3 Depth=1
	v_add_co_u32 v12, vcc_lo, v10, s80
	s_wait_alu 0xfffd
	v_add_co_ci_u32_e64 v13, null, s81, v11, vcc_lo
	flat_load_b64 v[14:15], v[12:13]
.LBB129_54:                             ;   in Loop: Header=BB129_3 Depth=1
	s_wait_alu 0xfffe
	s_or_b32 exec_lo, exec_lo, s39
	v_mov_b32_e32 v12, 0
	v_dual_mov_b32 v13, 0 :: v_dual_mov_b32 v16, 0
	v_mov_b32_e32 v17, 0
	s_wait_loadcnt_dscnt 0x0
	ds_store_b64 v37, v[14:15] offset:512
	;; [unrolled: 27-line block ×6, first 2 shown]
	s_and_saveexec_b32 s39, s33
	s_cbranch_execz .LBB129_72
; %bb.71:                               ;   in Loop: Header=BB129_3 Depth=1
	v_add_co_u32 v14, vcc_lo, v10, s58
	s_wait_alu 0xfffd
	v_add_co_ci_u32_e64 v15, null, s59, v11, vcc_lo
	flat_load_b64 v[16:17], v[14:15]
.LBB129_72:                             ;   in Loop: Header=BB129_3 Depth=1
	s_wait_alu 0xfffe
	s_or_b32 exec_lo, exec_lo, s39
	s_wait_loadcnt_dscnt 0x0
	ds_store_b64 v37, v[16:17] offset:1664
	s_and_saveexec_b32 s39, s34
	s_cbranch_execz .LBB129_74
; %bb.73:                               ;   in Loop: Header=BB129_3 Depth=1
	v_add_co_u32 v12, vcc_lo, v10, s56
	s_wait_alu 0xfffd
	v_add_co_ci_u32_e64 v13, null, s57, v11, vcc_lo
	flat_load_b64 v[12:13], v[12:13]
.LBB129_74:                             ;   in Loop: Header=BB129_3 Depth=1
	s_wait_alu 0xfffe
	s_or_b32 exec_lo, exec_lo, s39
	v_mov_b32_e32 v14, 0
	v_mov_b32_e32 v15, 0
	s_wait_loadcnt_dscnt 0x0
	ds_store_b64 v37, v[12:13] offset:1792
	s_and_saveexec_b32 s39, s35
	s_cbranch_execz .LBB129_76
; %bb.75:                               ;   in Loop: Header=BB129_3 Depth=1
	v_add_co_u32 v10, vcc_lo, v10, s54
	s_wait_alu 0xfffd
	v_add_co_ci_u32_e64 v11, null, s55, v11, vcc_lo
	flat_load_b64 v[14:15], v[10:11]
.LBB129_76:                             ;   in Loop: Header=BB129_3 Depth=1
	s_wait_alu 0xfffe
	s_or_b32 exec_lo, exec_lo, s39
	s_wait_loadcnt_dscnt 0x0
	ds_store_b64 v37, v[14:15] offset:1920
.LBB129_77:                             ;   in Loop: Header=BB129_3 Depth=1
	s_wait_alu 0xfffe
	s_or_b32 exec_lo, exec_lo, s38
	s_wait_loadcnt_dscnt 0x0
	s_barrier_signal -1
	s_barrier_wait -1
	global_inv scope:SCOPE_SE
	s_and_saveexec_b32 s38, s1
	s_cbranch_execz .LBB129_83
; %bb.78:                               ;   in Loop: Header=BB129_3 Depth=1
	v_mov_b32_e32 v12, 0
	v_mov_b32_e32 v13, 0x3ff00000
	s_and_not1_b32 vcc_lo, exec_lo, s92
	s_wait_alu 0xfffe
	s_cbranch_vccnz .LBB129_82
; %bb.79:                               ;   in Loop: Header=BB129_3 Depth=1
	ds_load_b64 v[10:11], v38
	v_mov_b32_e32 v12, 0
	v_mov_b32_e32 v13, 0x3ff00000
	s_mov_b32 s39, exec_lo
	s_wait_dscnt 0x0
	v_cmpx_neq_f64_e32 0, v[10:11]
	s_cbranch_execz .LBB129_81
; %bb.80:                               ;   in Loop: Header=BB129_3 Depth=1
	v_div_scale_f64 v[12:13], null, v[10:11], v[10:11], 1.0
	s_delay_alu instid0(VALU_DEP_1) | instskip(NEXT) | instid1(TRANS32_DEP_1)
	v_rcp_f64_e32 v[14:15], v[12:13]
	v_fma_f64 v[16:17], -v[12:13], v[14:15], 1.0
	s_delay_alu instid0(VALU_DEP_1) | instskip(NEXT) | instid1(VALU_DEP_1)
	v_fma_f64 v[14:15], v[14:15], v[16:17], v[14:15]
	v_fma_f64 v[16:17], -v[12:13], v[14:15], 1.0
	s_delay_alu instid0(VALU_DEP_1) | instskip(SKIP_1) | instid1(VALU_DEP_1)
	v_fma_f64 v[14:15], v[14:15], v[16:17], v[14:15]
	v_div_scale_f64 v[16:17], vcc_lo, 1.0, v[10:11], 1.0
	v_mul_f64_e32 v[58:59], v[16:17], v[14:15]
	s_delay_alu instid0(VALU_DEP_1) | instskip(SKIP_1) | instid1(VALU_DEP_1)
	v_fma_f64 v[12:13], -v[12:13], v[58:59], v[16:17]
	s_wait_alu 0xfffd
	v_div_fmas_f64 v[12:13], v[12:13], v[14:15], v[58:59]
	s_delay_alu instid0(VALU_DEP_1)
	v_div_fixup_f64 v[12:13], v[12:13], v[10:11], 1.0
.LBB129_81:                             ;   in Loop: Header=BB129_3 Depth=1
	s_wait_alu 0xfffe
	s_or_b32 exec_lo, exec_lo, s39
.LBB129_82:                             ;   in Loop: Header=BB129_3 Depth=1
	ds_store_b64 v38, v[12:13]
.LBB129_83:                             ;   in Loop: Header=BB129_3 Depth=1
	s_wait_alu 0xfffe
	s_or_b32 exec_lo, exec_lo, s38
	s_wait_loadcnt_dscnt 0x0
	s_barrier_signal -1
	s_barrier_wait -1
	global_inv scope:SCOPE_SE
	s_and_saveexec_b32 s38, s1
	s_cbranch_execz .LBB129_105
; %bb.84:                               ;   in Loop: Header=BB129_3 Depth=1
	v_dual_mov_b32 v12, v43 :: v_dual_mov_b32 v13, v42
	v_dual_mov_b32 v14, v41 :: v_dual_mov_b32 v15, v40
	s_mov_b32 s39, 0
	s_branch .LBB129_86
.LBB129_85:                             ;   in Loop: Header=BB129_86 Depth=2
	v_add_nc_u32_e32 v15, 0x100, v15
	v_add_nc_u32_e32 v14, 0x110, v14
	;; [unrolled: 1-line block ×4, first 2 shown]
	s_wait_alu 0xfffe
	s_cmp_eq_u32 s39, 16
	s_cbranch_scc1 .LBB129_105
.LBB129_86:                             ;   Parent Loop BB129_3 Depth=1
                                        ; =>  This Loop Header: Depth=2
                                        ;       Child Loop BB129_92 Depth 3
                                        ;       Child Loop BB129_101 Depth 3
	s_mov_b32 s49, exec_lo
                                        ; implicit-def: $sgpr50
	s_wait_alu 0xfffe
	v_cmpx_ge_i32_e64 s39, v2
	s_xor_b32 s49, exec_lo, s49
; %bb.87:                               ;   in Loop: Header=BB129_86 Depth=2
	s_lshl_b32 s50, s39, 7
; %bb.88:                               ;   in Loop: Header=BB129_86 Depth=2
	s_wait_alu 0xfffe
	s_or_saveexec_b32 s49, s49
	v_mov_b32_e32 v10, 0
	v_dual_mov_b32 v11, 0 :: v_dual_mov_b32 v16, s50
	s_wait_alu 0xfffe
	s_xor_b32 exec_lo, exec_lo, s49
	s_cbranch_execz .LBB129_90
; %bb.89:                               ;   in Loop: Header=BB129_86 Depth=2
	v_mad_co_u64_u32 v[10:11], null, 0x88, s39, v[1:2]
	s_lshl_b32 s50, s39, 7
	s_wait_alu 0xfffe
	v_add_nc_u32_e32 v11, s50, v39
	ds_load_b64 v[16:17], v11
	ds_load_b64 v[10:11], v10
	s_wait_dscnt 0x0
	v_fma_f64 v[10:11], v[16:17], v[10:11], 0
	v_mov_b32_e32 v16, s50
.LBB129_90:                             ;   in Loop: Header=BB129_86 Depth=2
	s_or_b32 exec_lo, exec_lo, s49
	s_delay_alu instid0(VALU_DEP_1)
	v_dual_mov_b32 v17, v14 :: v_dual_add_nc_u32 v16, v39, v16
	v_mov_b32_e32 v58, v15
	s_or_b32 s49, s39, 1
	s_wait_alu 0xfffe
	s_mov_b32 s50, s49
	s_branch .LBB129_92
.LBB129_91:                             ;   in Loop: Header=BB129_92 Depth=3
	s_or_b32 exec_lo, exec_lo, s94
	v_add_nc_u32_e32 v58, 0x80, v58
	v_add_nc_u32_e32 v17, 8, v17
	s_add_co_i32 s50, s50, 1
	s_wait_alu 0xfffe
	s_cmp_eq_u32 s50, 16
	s_cbranch_scc1 .LBB129_96
.LBB129_92:                             ;   Parent Loop BB129_3 Depth=1
                                        ;     Parent Loop BB129_86 Depth=2
                                        ; =>    This Inner Loop Header: Depth=3
	s_mov_b32 s94, exec_lo
	s_wait_alu 0xfffe
	v_cmpx_eq_u32_e64 s50, v2
	s_cbranch_execz .LBB129_94
; %bb.93:                               ;   in Loop: Header=BB129_92 Depth=3
	s_delay_alu instid0(VALU_DEP_4)
	v_add_f64_e64 v[59:60], -v[10:11], 0
	ds_load_b64 v[61:62], v38
	s_wait_dscnt 0x0
	v_mul_f64_e32 v[59:60], v[59:60], v[61:62]
	ds_store_b64 v16, v[59:60]
.LBB129_94:                             ;   in Loop: Header=BB129_92 Depth=3
	s_or_b32 exec_lo, exec_lo, s94
	s_delay_alu instid0(SALU_CYCLE_1)
	s_mov_b32 s94, exec_lo
	v_cmpx_lt_i32_e64 s50, v2
	s_cbranch_execz .LBB129_91
; %bb.95:                               ;   in Loop: Header=BB129_92 Depth=3
	ds_load_b64 v[59:60], v58
	ds_load_b64 v[61:62], v17
	s_wait_dscnt 0x0
	v_fma_f64 v[10:11], v[59:60], v[61:62], v[10:11]
	s_branch .LBB129_91
.LBB129_96:                             ;   in Loop: Header=BB129_86 Depth=2
	v_mov_b32_e32 v10, 0
	v_mov_b32_e32 v11, 0
	s_mov_b32 s50, exec_lo
	v_cmpx_lt_i32_e64 s49, v2
	s_cbranch_execz .LBB129_98
; %bb.97:                               ;   in Loop: Header=BB129_86 Depth=2
	v_mad_co_u64_u32 v[10:11], null, 0x88, s49, v[1:2]
	v_lshl_add_u32 v11, s49, 7, v39
	ds_load_b64 v[16:17], v11
	ds_load_b64 v[10:11], v10
	s_wait_dscnt 0x0
	v_fma_f64 v[10:11], v[16:17], v[10:11], 0
.LBB129_98:                             ;   in Loop: Header=BB129_86 Depth=2
	s_wait_alu 0xfffe
	s_or_b32 exec_lo, exec_lo, s50
	s_add_co_i32 s39, s39, 2
	s_cmp_gt_u32 s49, 14
	s_cbranch_scc1 .LBB129_85
; %bb.99:                               ;   in Loop: Header=BB129_86 Depth=2
	v_dual_mov_b32 v16, v12 :: v_dual_mov_b32 v17, v13
	s_lshl_b32 s49, s49, 7
	s_wait_alu 0xfffe
	s_mov_b32 s50, s39
	s_branch .LBB129_101
.LBB129_100:                            ;   in Loop: Header=BB129_101 Depth=3
	s_or_b32 exec_lo, exec_lo, s94
	v_add_nc_u32_e32 v17, 8, v17
	v_add_nc_u32_e32 v16, 0x80, v16
	s_add_co_i32 s50, s50, 1
	s_wait_alu 0xfffe
	s_cmp_lg_u32 s50, 16
	s_cbranch_scc0 .LBB129_85
.LBB129_101:                            ;   Parent Loop BB129_3 Depth=1
                                        ;     Parent Loop BB129_86 Depth=2
                                        ; =>    This Inner Loop Header: Depth=3
	s_mov_b32 s94, exec_lo
	s_wait_alu 0xfffe
	v_cmpx_eq_u32_e64 s50, v2
	s_cbranch_execz .LBB129_103
; %bb.102:                              ;   in Loop: Header=BB129_101 Depth=3
	s_delay_alu instid0(VALU_DEP_3)
	v_add_f64_e64 v[58:59], -v[10:11], 0
	ds_load_b64 v[60:61], v38
	s_wait_dscnt 0x0
	v_mul_f64_e32 v[58:59], v[58:59], v[60:61]
	v_add_nc_u32_e32 v60, s49, v39
	ds_store_b64 v60, v[58:59]
.LBB129_103:                            ;   in Loop: Header=BB129_101 Depth=3
	s_or_b32 exec_lo, exec_lo, s94
	s_delay_alu instid0(SALU_CYCLE_1)
	s_mov_b32 s94, exec_lo
	v_cmpx_lt_i32_e64 s50, v2
	s_cbranch_execz .LBB129_100
; %bb.104:                              ;   in Loop: Header=BB129_101 Depth=3
	ds_load_b64 v[58:59], v16
	ds_load_b64 v[60:61], v17
	s_wait_dscnt 0x0
	v_fma_f64 v[10:11], v[58:59], v[60:61], v[10:11]
	s_branch .LBB129_100
.LBB129_105:                            ;   in Loop: Header=BB129_3 Depth=1
	s_wait_alu 0xfffe
	s_or_b32 exec_lo, exec_lo, s38
	s_delay_alu instid0(SALU_CYCLE_1)
	s_and_b32 vcc_lo, exec_lo, s91
	s_wait_loadcnt_dscnt 0x0
	s_barrier_signal -1
	s_barrier_wait -1
	global_inv scope:SCOPE_SE
	s_wait_alu 0xfffe
	s_cbranch_vccz .LBB129_110
; %bb.106:                              ;   in Loop: Header=BB129_3 Depth=1
	s_mov_b32 s39, 0
	s_mov_b32 s38, 0
                                        ; implicit-def: $vgpr10_vgpr11
	s_and_saveexec_b32 s49, s3
	s_cbranch_execz .LBB129_111
; %bb.107:                              ;   in Loop: Header=BB129_3 Depth=1
	v_dual_mov_b32 v10, 0 :: v_dual_mov_b32 v13, v45
	v_dual_mov_b32 v11, 0 :: v_dual_mov_b32 v12, v18
	v_mov_b32_e32 v14, v44
.LBB129_108:                            ;   Parent Loop BB129_3 Depth=1
                                        ; =>  This Inner Loop Header: Depth=2
	ds_load_b64 v[15:16], v12
	ds_load_b64 v[58:59], v13
	v_add_nc_u32_e32 v14, -1, v14
	v_add_nc_u32_e32 v13, -8, v13
	v_add_nc_u32_e32 v12, 0x80, v12
	s_delay_alu instid0(VALU_DEP_3)
	v_cmp_eq_u32_e32 vcc_lo, 0, v14
	s_wait_alu 0xfffe
	s_or_b32 s38, vcc_lo, s38
	s_wait_dscnt 0x0
	v_fma_f64 v[10:11], v[15:16], v[58:59], v[10:11]
	s_wait_alu 0xfffe
	s_and_not1_b32 exec_lo, exec_lo, s38
	s_cbranch_execnz .LBB129_108
; %bb.109:                              ;   in Loop: Header=BB129_3 Depth=1
	s_or_b32 exec_lo, exec_lo, s38
	s_delay_alu instid0(SALU_CYCLE_1) | instskip(SKIP_1) | instid1(SALU_CYCLE_1)
	s_mov_b32 s38, exec_lo
	s_or_b32 exec_lo, exec_lo, s49
	s_and_b32 vcc_lo, exec_lo, s39
	s_wait_alu 0xfffe
	s_cbranch_vccnz .LBB129_112
	s_branch .LBB129_117
.LBB129_110:                            ;   in Loop: Header=BB129_3 Depth=1
	s_mov_b32 s38, 0
                                        ; implicit-def: $vgpr10_vgpr11
	s_cbranch_execnz .LBB129_112
	s_branch .LBB129_117
.LBB129_111:                            ;   in Loop: Header=BB129_3 Depth=1
	s_wait_alu 0xfffe
	s_or_b32 exec_lo, exec_lo, s49
	s_delay_alu instid0(SALU_CYCLE_1)
	s_and_b32 vcc_lo, exec_lo, s39
	s_wait_alu 0xfffe
	s_cbranch_vccz .LBB129_117
.LBB129_112:                            ;   in Loop: Header=BB129_3 Depth=1
                                        ; implicit-def: $vgpr10_vgpr11
	s_and_saveexec_b32 s39, s3
	s_cbranch_execz .LBB129_116
; %bb.113:                              ;   in Loop: Header=BB129_3 Depth=1
	v_dual_mov_b32 v10, 0 :: v_dual_mov_b32 v13, v48
	v_dual_mov_b32 v11, 0 :: v_dual_mov_b32 v12, v46
	v_mov_b32_e32 v14, v47
	s_mov_b32 s49, 0
.LBB129_114:                            ;   Parent Loop BB129_3 Depth=1
                                        ; =>  This Inner Loop Header: Depth=2
	ds_load_b64 v[15:16], v12
	ds_load_b64 v[58:59], v13
	v_add_nc_u32_e32 v14, 1, v14
	v_add_nc_u32_e32 v13, 8, v13
	;; [unrolled: 1-line block ×3, first 2 shown]
	s_delay_alu instid0(VALU_DEP_3)
	v_cmp_lt_u32_e32 vcc_lo, 14, v14
	s_wait_alu 0xfffe
	s_or_b32 s49, vcc_lo, s49
	s_wait_dscnt 0x0
	v_fma_f64 v[10:11], v[15:16], v[58:59], v[10:11]
	s_wait_alu 0xfffe
	s_and_not1_b32 exec_lo, exec_lo, s49
	s_cbranch_execnz .LBB129_114
; %bb.115:                              ;   in Loop: Header=BB129_3 Depth=1
	s_or_b32 exec_lo, exec_lo, s49
	s_delay_alu instid0(SALU_CYCLE_1)
	s_or_b32 s38, s38, exec_lo
.LBB129_116:                            ;   in Loop: Header=BB129_3 Depth=1
	s_wait_alu 0xfffe
	s_or_b32 exec_lo, exec_lo, s39
.LBB129_117:                            ;   in Loop: Header=BB129_3 Depth=1
	s_wait_alu 0xfffe
	s_and_saveexec_b32 s39, s38
; %bb.118:                              ;   in Loop: Header=BB129_3 Depth=1
	ds_store_b64 v0, v[10:11]
; %bb.119:                              ;   in Loop: Header=BB129_3 Depth=1
	s_wait_alu 0xfffe
	s_or_b32 exec_lo, exec_lo, s39
	s_delay_alu instid0(SALU_CYCLE_1)
	s_and_b32 vcc_lo, exec_lo, s91
	s_wait_loadcnt_dscnt 0x0
	s_barrier_signal -1
	s_barrier_wait -1
	global_inv scope:SCOPE_SE
	s_wait_alu 0xfffe
	s_cbranch_vccz .LBB129_125
; %bb.120:                              ;   in Loop: Header=BB129_3 Depth=1
	s_mov_b32 s50, 0
	s_mov_b32 s49, 0
                                        ; implicit-def: $vgpr10_vgpr11
	s_and_saveexec_b32 s38, s3
	s_cbranch_execz .LBB129_124
; %bb.121:                              ;   in Loop: Header=BB129_3 Depth=1
	v_dual_mov_b32 v10, 0 :: v_dual_mov_b32 v13, v50
	v_dual_mov_b32 v11, 0 :: v_dual_mov_b32 v12, v51
	v_mov_b32_e32 v14, v49
	s_mov_b32 s39, 0
.LBB129_122:                            ;   Parent Loop BB129_3 Depth=1
                                        ; =>  This Inner Loop Header: Depth=2
	ds_load_b64 v[15:16], v12
	ds_load_b64 v[58:59], v13
	v_add_nc_u32_e32 v14, 1, v14
	v_add_nc_u32_e32 v13, 8, v13
	v_add_nc_u32_e32 v12, 0xffffff80, v12
	s_delay_alu instid0(VALU_DEP_3)
	v_cmp_lt_u32_e32 vcc_lo, 14, v14
	s_wait_alu 0xfffe
	s_or_b32 s39, vcc_lo, s39
	s_wait_dscnt 0x0
	v_fma_f64 v[10:11], -v[15:16], v[58:59], v[10:11]
	s_wait_alu 0xfffe
	s_and_not1_b32 exec_lo, exec_lo, s39
	s_cbranch_execnz .LBB129_122
; %bb.123:                              ;   in Loop: Header=BB129_3 Depth=1
	s_or_b32 exec_lo, exec_lo, s39
	s_delay_alu instid0(SALU_CYCLE_1)
	s_mov_b32 s49, exec_lo
.LBB129_124:                            ;   in Loop: Header=BB129_3 Depth=1
	s_wait_alu 0xfffe
	s_or_b32 exec_lo, exec_lo, s38
	s_mov_b64 s[38:39], 0x4000
	s_and_b32 vcc_lo, exec_lo, s50
	s_wait_alu 0xfffe
	s_cbranch_vccnz .LBB129_126
	s_branch .LBB129_131
.LBB129_125:                            ;   in Loop: Header=BB129_3 Depth=1
	s_mov_b32 s49, 0
                                        ; implicit-def: $vgpr10_vgpr11
	s_mov_b64 s[38:39], 0x4000
	s_cbranch_execz .LBB129_131
.LBB129_126:                            ;   in Loop: Header=BB129_3 Depth=1
                                        ; implicit-def: $vgpr10_vgpr11
	s_and_saveexec_b32 s38, s3
	s_cbranch_execz .LBB129_130
; %bb.127:                              ;   in Loop: Header=BB129_3 Depth=1
	v_dual_mov_b32 v10, 0 :: v_dual_mov_b32 v13, v53
	v_dual_mov_b32 v11, 0 :: v_dual_mov_b32 v12, v54
	v_mov_b32_e32 v14, v52
	s_mov_b32 s39, 0
.LBB129_128:                            ;   Parent Loop BB129_3 Depth=1
                                        ; =>  This Inner Loop Header: Depth=2
	ds_load_b64 v[15:16], v12
	ds_load_b64 v[58:59], v13
	v_add_nc_u32_e32 v14, -1, v14
	v_add_nc_u32_e32 v13, 8, v13
	v_add_nc_u32_e32 v12, 0x80, v12
	s_delay_alu instid0(VALU_DEP_3)
	v_cmp_eq_u32_e32 vcc_lo, 0, v14
	s_wait_alu 0xfffe
	s_or_b32 s39, vcc_lo, s39
	s_wait_dscnt 0x0
	v_fma_f64 v[10:11], -v[15:16], v[58:59], v[10:11]
	s_wait_alu 0xfffe
	s_and_not1_b32 exec_lo, exec_lo, s39
	s_cbranch_execnz .LBB129_128
; %bb.129:                              ;   in Loop: Header=BB129_3 Depth=1
	s_or_b32 exec_lo, exec_lo, s39
	s_delay_alu instid0(SALU_CYCLE_1)
	s_or_b32 s49, s49, exec_lo
.LBB129_130:                            ;   in Loop: Header=BB129_3 Depth=1
	s_wait_alu 0xfffe
	s_or_b32 exec_lo, exec_lo, s38
	s_mov_b64 s[38:39], 0x80
.LBB129_131:                            ;   in Loop: Header=BB129_3 Depth=1
	v_add_co_u32 v8, vcc_lo, v8, s66
	s_wait_alu 0xfffd
	v_add_co_ci_u32_e64 v9, null, s67, v9, vcc_lo
	s_delay_alu instid0(VALU_DEP_2) | instskip(SKIP_1) | instid1(VALU_DEP_2)
	v_add_co_u32 v8, vcc_lo, v8, s93
	s_wait_alu 0xfffd
	v_add_co_ci_u32_e64 v9, null, 0, v9, vcc_lo
	s_delay_alu instid0(VALU_DEP_2) | instskip(SKIP_1) | instid1(VALU_DEP_2)
	v_add_co_u32 v8, vcc_lo, v8, s46
	s_wait_alu 0xfffd
	v_add_co_ci_u32_e64 v9, null, s47, v9, vcc_lo
	s_wait_alu 0xfffe
	s_and_saveexec_b32 s50, s49
	s_cbranch_execz .LBB129_133
; %bb.132:                              ;   in Loop: Header=BB129_3 Depth=1
	v_add_co_u32 v12, vcc_lo, v8, v57
	s_wait_alu 0xfffd
	v_add_co_ci_u32_e64 v13, null, 0, v9, vcc_lo
	s_delay_alu instid0(VALU_DEP_2) | instskip(SKIP_1) | instid1(VALU_DEP_2)
	v_add_co_u32 v12, vcc_lo, v12, s38
	s_wait_alu 0xfffd
	v_add_co_ci_u32_e64 v13, null, s39, v13, vcc_lo
	flat_store_b64 v[12:13], v[10:11]
.LBB129_133:                            ;   in Loop: Header=BB129_3 Depth=1
	s_wait_alu 0xfffe
	s_or_b32 exec_lo, exec_lo, s50
	s_and_saveexec_b32 s39, s1
	s_cbranch_execz .LBB129_2
; %bb.134:                              ;   in Loop: Header=BB129_3 Depth=1
	s_and_not1_b32 vcc_lo, exec_lo, s91
	s_mov_b32 s38, -1
	s_wait_alu 0xfffe
	s_cbranch_vccnz .LBB129_139
; %bb.135:                              ;   in Loop: Header=BB129_3 Depth=1
	s_and_saveexec_b32 s49, s36
	s_cbranch_execz .LBB129_138
; %bb.136:                              ;   in Loop: Header=BB129_3 Depth=1
	v_lshlrev_b32_e32 v10, 3, v19
	v_mov_b32_e32 v12, v55
	s_mov_b32 s50, 16
	s_mov_b32 s94, 0
	s_delay_alu instid0(VALU_DEP_2) | instskip(SKIP_2) | instid1(VALU_DEP_2)
	v_add_co_u32 v10, vcc_lo, v8, v10
	s_wait_alu 0xfffd
	v_add_co_ci_u32_e64 v11, null, 0, v9, vcc_lo
	v_add_co_u32 v10, vcc_lo, v10, v4
	s_wait_alu 0xfffd
	s_delay_alu instid0(VALU_DEP_2)
	v_add_co_ci_u32_e64 v11, null, v11, v5, vcc_lo
.LBB129_137:                            ;   Parent Loop BB129_3 Depth=1
                                        ; =>  This Inner Loop Header: Depth=2
	ds_load_b64 v[13:14], v12
	s_wait_alu 0xfffe
	s_add_co_i32 s50, s50, -1
	v_add_nc_u32_e32 v12, 0x80, v12
	s_wait_alu 0xfffe
	s_lshl_b64 s[96:97], s[50:51], 10
	v_cmp_le_i32_e32 vcc_lo, s50, v2
	s_wait_alu 0xfffe
	v_add_co_u32 v15, s38, v10, s96
	s_wait_alu 0xf1ff
	v_add_co_ci_u32_e64 v16, null, s97, v11, s38
	s_or_b32 s94, vcc_lo, s94
	s_wait_dscnt 0x0
	flat_store_b64 v[15:16], v[13:14]
	s_and_not1_b32 exec_lo, exec_lo, s94
	s_cbranch_execnz .LBB129_137
.LBB129_138:                            ;   in Loop: Header=BB129_3 Depth=1
	s_wait_alu 0xfffe
	s_or_b32 exec_lo, exec_lo, s49
	s_mov_b32 s38, 0
.LBB129_139:                            ;   in Loop: Header=BB129_3 Depth=1
	s_wait_alu 0xfffe
	s_and_not1_b32 vcc_lo, exec_lo, s38
	s_wait_alu 0xfffe
	s_cbranch_vccnz .LBB129_2
; %bb.140:                              ;   in Loop: Header=BB129_3 Depth=1
	s_and_b32 exec_lo, exec_lo, s37
	s_cbranch_execz .LBB129_2
; %bb.141:                              ;   in Loop: Header=BB129_3 Depth=1
	v_dual_mov_b32 v11, v56 :: v_dual_lshlrev_b32 v10, 3, v19
	s_mov_b32 s49, 0
	s_delay_alu instid0(VALU_DEP_1) | instskip(SKIP_3) | instid1(VALU_DEP_3)
	v_add_co_u32 v8, vcc_lo, v8, v10
	s_wait_alu 0xfffd
	v_add_co_ci_u32_e64 v9, null, 0, v9, vcc_lo
	v_mov_b32_e32 v10, v39
	v_add_co_u32 v8, vcc_lo, v8, v4
	s_wait_alu 0xfffd
	s_delay_alu instid0(VALU_DEP_3)
	v_add_co_ci_u32_e64 v9, null, v9, v5, vcc_lo
.LBB129_142:                            ;   Parent Loop BB129_3 Depth=1
                                        ; =>  This Inner Loop Header: Depth=2
	ds_load_b64 v[12:13], v10
	v_add_nc_u32_e32 v11, -1, v11
	v_add_nc_u32_e32 v10, 0x80, v10
	s_delay_alu instid0(VALU_DEP_2)
	v_cmp_eq_u32_e32 vcc_lo, 0, v11
	s_wait_alu 0xfffe
	s_or_b32 s49, vcc_lo, s49
	s_wait_dscnt 0x0
	flat_store_b64 v[8:9], v[12:13]
	v_add_co_u32 v8, s38, 0x400, v8
	s_wait_alu 0xf1ff
	v_add_co_ci_u32_e64 v9, null, 0, v9, s38
	s_wait_alu 0xfffe
	s_and_not1_b32 exec_lo, exec_lo, s49
	s_cbranch_execnz .LBB129_142
	s_branch .LBB129_2
.LBB129_143:
	s_endpgm
	.section	.rodata,"a",@progbits
	.p2align	6, 0x0
	.amdhsa_kernel _ZL25rocblas_trtri_trsm_kernelILi128ELi16ELi8EdPKPKdPKPdEv13rocblas_fill_17rocblas_diagonal_T3_lilT4_lli
		.amdhsa_group_segment_fixed_size 8192
		.amdhsa_private_segment_fixed_size 0
		.amdhsa_kernarg_size 68
		.amdhsa_user_sgpr_count 2
		.amdhsa_user_sgpr_dispatch_ptr 0
		.amdhsa_user_sgpr_queue_ptr 0
		.amdhsa_user_sgpr_kernarg_segment_ptr 1
		.amdhsa_user_sgpr_dispatch_id 0
		.amdhsa_user_sgpr_private_segment_size 0
		.amdhsa_wavefront_size32 1
		.amdhsa_uses_dynamic_stack 0
		.amdhsa_enable_private_segment 0
		.amdhsa_system_sgpr_workgroup_id_x 1
		.amdhsa_system_sgpr_workgroup_id_y 0
		.amdhsa_system_sgpr_workgroup_id_z 1
		.amdhsa_system_sgpr_workgroup_info 0
		.amdhsa_system_vgpr_workitem_id 0
		.amdhsa_next_free_vgpr 63
		.amdhsa_next_free_sgpr 98
		.amdhsa_reserve_vcc 1
		.amdhsa_float_round_mode_32 0
		.amdhsa_float_round_mode_16_64 0
		.amdhsa_float_denorm_mode_32 3
		.amdhsa_float_denorm_mode_16_64 3
		.amdhsa_fp16_overflow 0
		.amdhsa_workgroup_processor_mode 1
		.amdhsa_memory_ordered 1
		.amdhsa_forward_progress 1
		.amdhsa_inst_pref_size 56
		.amdhsa_round_robin_scheduling 0
		.amdhsa_exception_fp_ieee_invalid_op 0
		.amdhsa_exception_fp_denorm_src 0
		.amdhsa_exception_fp_ieee_div_zero 0
		.amdhsa_exception_fp_ieee_overflow 0
		.amdhsa_exception_fp_ieee_underflow 0
		.amdhsa_exception_fp_ieee_inexact 0
		.amdhsa_exception_int_div_zero 0
	.end_amdhsa_kernel
	.section	.text._ZL25rocblas_trtri_trsm_kernelILi128ELi16ELi8EdPKPKdPKPdEv13rocblas_fill_17rocblas_diagonal_T3_lilT4_lli,"axG",@progbits,_ZL25rocblas_trtri_trsm_kernelILi128ELi16ELi8EdPKPKdPKPdEv13rocblas_fill_17rocblas_diagonal_T3_lilT4_lli,comdat
.Lfunc_end129:
	.size	_ZL25rocblas_trtri_trsm_kernelILi128ELi16ELi8EdPKPKdPKPdEv13rocblas_fill_17rocblas_diagonal_T3_lilT4_lli, .Lfunc_end129-_ZL25rocblas_trtri_trsm_kernelILi128ELi16ELi8EdPKPKdPKPdEv13rocblas_fill_17rocblas_diagonal_T3_lilT4_lli
                                        ; -- End function
	.set _ZL25rocblas_trtri_trsm_kernelILi128ELi16ELi8EdPKPKdPKPdEv13rocblas_fill_17rocblas_diagonal_T3_lilT4_lli.num_vgpr, 63
	.set _ZL25rocblas_trtri_trsm_kernelILi128ELi16ELi8EdPKPKdPKPdEv13rocblas_fill_17rocblas_diagonal_T3_lilT4_lli.num_agpr, 0
	.set _ZL25rocblas_trtri_trsm_kernelILi128ELi16ELi8EdPKPKdPKPdEv13rocblas_fill_17rocblas_diagonal_T3_lilT4_lli.numbered_sgpr, 98
	.set _ZL25rocblas_trtri_trsm_kernelILi128ELi16ELi8EdPKPKdPKPdEv13rocblas_fill_17rocblas_diagonal_T3_lilT4_lli.num_named_barrier, 0
	.set _ZL25rocblas_trtri_trsm_kernelILi128ELi16ELi8EdPKPKdPKPdEv13rocblas_fill_17rocblas_diagonal_T3_lilT4_lli.private_seg_size, 0
	.set _ZL25rocblas_trtri_trsm_kernelILi128ELi16ELi8EdPKPKdPKPdEv13rocblas_fill_17rocblas_diagonal_T3_lilT4_lli.uses_vcc, 1
	.set _ZL25rocblas_trtri_trsm_kernelILi128ELi16ELi8EdPKPKdPKPdEv13rocblas_fill_17rocblas_diagonal_T3_lilT4_lli.uses_flat_scratch, 0
	.set _ZL25rocblas_trtri_trsm_kernelILi128ELi16ELi8EdPKPKdPKPdEv13rocblas_fill_17rocblas_diagonal_T3_lilT4_lli.has_dyn_sized_stack, 0
	.set _ZL25rocblas_trtri_trsm_kernelILi128ELi16ELi8EdPKPKdPKPdEv13rocblas_fill_17rocblas_diagonal_T3_lilT4_lli.has_recursion, 0
	.set _ZL25rocblas_trtri_trsm_kernelILi128ELi16ELi8EdPKPKdPKPdEv13rocblas_fill_17rocblas_diagonal_T3_lilT4_lli.has_indirect_call, 0
	.section	.AMDGPU.csdata,"",@progbits
; Kernel info:
; codeLenInByte = 7084
; TotalNumSgprs: 100
; NumVgprs: 63
; ScratchSize: 0
; MemoryBound: 0
; FloatMode: 240
; IeeeMode: 1
; LDSByteSize: 8192 bytes/workgroup (compile time only)
; SGPRBlocks: 0
; VGPRBlocks: 7
; NumSGPRsForWavesPerEU: 100
; NumVGPRsForWavesPerEU: 63
; Occupancy: 16
; WaveLimiterHint : 1
; COMPUTE_PGM_RSRC2:SCRATCH_EN: 0
; COMPUTE_PGM_RSRC2:USER_SGPR: 2
; COMPUTE_PGM_RSRC2:TRAP_HANDLER: 0
; COMPUTE_PGM_RSRC2:TGID_X_EN: 1
; COMPUTE_PGM_RSRC2:TGID_Y_EN: 0
; COMPUTE_PGM_RSRC2:TGID_Z_EN: 1
; COMPUTE_PGM_RSRC2:TIDIG_COMP_CNT: 0
	.section	.text._ZL18rocblas_trtri_fillILi128EdPKPdEvP15_rocblas_handle13rocblas_fill_ililT1_llii,"axG",@progbits,_ZL18rocblas_trtri_fillILi128EdPKPdEvP15_rocblas_handle13rocblas_fill_ililT1_llii,comdat
	.globl	_ZL18rocblas_trtri_fillILi128EdPKPdEvP15_rocblas_handle13rocblas_fill_ililT1_llii ; -- Begin function _ZL18rocblas_trtri_fillILi128EdPKPdEvP15_rocblas_handle13rocblas_fill_ililT1_llii
	.p2align	8
	.type	_ZL18rocblas_trtri_fillILi128EdPKPdEvP15_rocblas_handle13rocblas_fill_ililT1_llii,@function
_ZL18rocblas_trtri_fillILi128EdPKPdEvP15_rocblas_handle13rocblas_fill_ililT1_llii: ; @_ZL18rocblas_trtri_fillILi128EdPKPdEvP15_rocblas_handle13rocblas_fill_ililT1_llii
; %bb.0:
	s_load_b64 s[2:3], s[0:1], 0x40
	s_lshr_b32 s12, ttmp7, 16
	s_wait_kmcnt 0x0
	s_cmp_ge_u32 s12, s3
	s_cbranch_scc1 .LBB130_17
; %bb.1:
	s_clause 0x1
	s_load_b128 s[4:7], s[0:1], 0x8
	s_load_b32 s16, s[0:1], 0x18
	s_mov_b32 s14, ttmp9
	s_ashr_i32 s21, s2, 31
	s_mov_b32 s20, s2
	s_clause 0x1
	s_load_b128 s[8:11], s[0:1], 0x20
	s_load_b64 s[30:31], s[0:1], 0x30
	s_add_nc_u64 s[26:27], s[0:1], 0x48
	s_wait_kmcnt 0x0
	v_cvt_f32_u32_e32 v1, s6
	s_add_co_i32 s13, s5, -2
	s_cvt_f32_u32 s15, s7
	s_ashr_i32 s19, s5, 31
	s_add_co_i32 s24, s5, -1
	v_rcp_iflag_f32_e32 v3, v1
	v_cvt_f64_i32_e32 v[1:2], s13
	s_cvt_f32_u32 s13, s6
	s_mov_b32 s18, s5
	s_sub_co_i32 s5, 0, s6
	s_ashr_i32 s25, s24, 31
	s_wait_alu 0xfffe
	s_fmamk_f32 s2, s15, 0x4f800000, s13
	s_mov_b32 s15, 0
	s_mul_u64 s[20:21], s[6:7], s[20:21]
	s_lshl_b64 s[22:23], s[14:15], 7
	s_delay_alu instid0(SALU_CYCLE_1) | instskip(SKIP_3) | instid1(VALU_DEP_1)
	v_dual_mul_f32 v3, 0x4f7ffffe, v3 :: v_dual_mov_b32 v4, s23
	v_s_rcp_f32 s2, s2
	s_mul_u64 s[24:25], s[24:25], s[18:19]
	s_ashr_i32 s17, s16, 31
	v_cvt_u32_f32_e32 v6, v3
	v_or_b32_e32 v3, s22, v0
	s_lshl_b64 s[22:23], s[24:25], 2
	s_lshr_b64 s[24:25], s[24:25], 1
	s_mul_f32 s13, s2, 0x5f7ffffc
	v_mul_lo_u32 v5, s5, v6
	s_wait_alu 0xfffe
	s_add_nc_u64 s[22:23], s[22:23], -7
	s_lshl_b64 s[30:31], s[30:31], 3
	s_mul_f32 s2, s13, 0x2f800000
	s_sub_nc_u64 s[34:35], 0, s[6:7]
	s_wait_alu 0xfffe
	s_delay_alu instid0(SALU_CYCLE_1)
	s_trunc_f32 s5, s2
	v_mul_hi_u32 v0, v6, v5
	v_cmp_gt_u64_e64 s2, s[20:21], v[3:4]
	v_mov_b32_e32 v5, 0
	s_wait_alu 0xfffe
	s_fmamk_f32 s13, s5, 0xcf800000, s13
	s_cvt_u32_f32 s29, s5
	s_wait_alu 0xfffe
	s_delay_alu instid0(SALU_CYCLE_1)
	s_cvt_u32_f32 s28, s13
	v_add_nc_u32_e32 v0, v6, v0
	s_branch .LBB130_3
.LBB130_2:                              ;   in Loop: Header=BB130_3 Depth=1
	s_wait_alu 0xfffe
	s_or_b32 exec_lo, exec_lo, s1
	s_add_co_i32 s12, s12, 0x10000
	s_wait_alu 0xfffe
	s_cmp_lt_u32 s12, s3
	s_cbranch_scc0 .LBB130_17
.LBB130_3:                              ; =>This Loop Header: Depth=1
                                        ;     Child Loop BB130_6 Depth 2
	s_and_saveexec_b32 s1, s2
	s_cbranch_execz .LBB130_2
; %bb.4:                                ;   in Loop: Header=BB130_3 Depth=1
	s_mov_b32 s13, s15
	s_clause 0x1
	s_load_b32 s0, s[26:27], 0xc
	s_load_b32 s14, s[26:27], 0x0
	s_lshl_b64 s[36:37], s[12:13], 3
	v_dual_mov_b32 v8, v4 :: v_dual_mov_b32 v7, v3
	s_wait_alu 0xfffe
	s_add_nc_u64 s[36:37], s[10:11], s[36:37]
	s_mov_b32 s5, 0
	s_load_b64 s[38:39], s[36:37], 0x0
	s_mov_b32 s37, s15
	s_wait_kmcnt 0x0
	s_and_b32 s36, s0, 0xffff
	s_wait_alu 0xfffe
	s_mul_u64 s[36:37], s[36:37], s[14:15]
	s_add_nc_u64 s[38:39], s[38:39], s[30:31]
	s_branch .LBB130_6
.LBB130_5:                              ;   in Loop: Header=BB130_6 Depth=2
	v_add_co_u32 v7, vcc_lo, v7, s36
	s_wait_alu 0xfffd
	v_add_co_ci_u32_e64 v8, null, s37, v8, vcc_lo
	s_delay_alu instid0(VALU_DEP_1)
	v_cmp_le_u64_e32 vcc_lo, s[20:21], v[7:8]
	s_or_b32 s5, vcc_lo, s5
	s_wait_alu 0xfffe
	s_and_not1_b32 exec_lo, exec_lo, s5
	s_cbranch_execz .LBB130_2
.LBB130_6:                              ;   Parent Loop BB130_3 Depth=1
                                        ; =>  This Inner Loop Header: Depth=2
	v_or_b32_e32 v6, s7, v8
                                        ; implicit-def: $vgpr9_vgpr10
	s_mov_b32 s0, exec_lo
	s_delay_alu instid0(VALU_DEP_1)
	v_cmpx_ne_u64_e32 0, v[5:6]
	s_wait_alu 0xfffe
	s_xor_b32 s13, exec_lo, s0
	s_cbranch_execz .LBB130_8
; %bb.7:                                ;   in Loop: Header=BB130_6 Depth=2
	s_mul_u64 s[40:41], s[34:35], s[28:29]
	s_delay_alu instid0(SALU_CYCLE_1)
	s_mul_hi_u32 s43, s28, s41
	s_mul_i32 s42, s28, s41
	s_mul_hi_u32 s14, s28, s40
	s_mul_hi_u32 s0, s29, s40
	s_wait_alu 0xfffe
	s_add_nc_u64 s[42:43], s[14:15], s[42:43]
	s_mul_i32 s14, s29, s40
	s_mul_hi_u32 s33, s29, s41
	s_wait_alu 0xfffe
	s_add_co_u32 s14, s42, s14
	s_add_co_ci_u32 s14, s43, s0
	s_add_co_ci_u32 s43, s33, 0
	s_mul_i32 s42, s29, s41
	s_wait_alu 0xfffe
	s_add_nc_u64 s[40:41], s[14:15], s[42:43]
	s_delay_alu instid0(SALU_CYCLE_1) | instskip(SKIP_4) | instid1(SALU_CYCLE_1)
	s_add_co_u32 s40, s28, s40
	s_cselect_b32 s0, -1, 0
	s_wait_alu 0xfffe
	s_cmp_lg_u32 s0, 0
	s_add_co_ci_u32 s41, s29, s41
	s_mul_u64 s[42:43], s[34:35], s[40:41]
	s_delay_alu instid0(SALU_CYCLE_1)
	s_mul_hi_u32 s45, s40, s43
	s_mul_i32 s44, s40, s43
	s_mul_hi_u32 s14, s40, s42
	s_mul_i32 s33, s41, s42
	s_wait_alu 0xfffe
	s_add_nc_u64 s[44:45], s[14:15], s[44:45]
	s_mul_hi_u32 s0, s41, s42
	s_mul_hi_u32 s46, s41, s43
	s_add_co_u32 s14, s44, s33
	s_wait_alu 0xfffe
	s_add_co_ci_u32 s14, s45, s0
	s_mul_i32 s42, s41, s43
	s_add_co_ci_u32 s43, s46, 0
	s_wait_alu 0xfffe
	s_add_nc_u64 s[42:43], s[14:15], s[42:43]
	s_delay_alu instid0(SALU_CYCLE_1)
	s_add_co_u32 s0, s40, s42
	s_cselect_b32 s14, -1, 0
	s_wait_alu 0xfffe
	v_mul_hi_u32 v6, v7, s0
	s_cmp_lg_u32 s14, 0
	v_mad_co_u64_u32 v[11:12], null, v8, s0, 0
	s_add_co_ci_u32 s14, s41, s43
	s_wait_alu 0xfffe
	v_mad_co_u64_u32 v[9:10], null, v7, s14, 0
	v_mad_co_u64_u32 v[13:14], null, v8, s14, 0
	s_delay_alu instid0(VALU_DEP_2) | instskip(SKIP_1) | instid1(VALU_DEP_3)
	v_add_co_u32 v6, vcc_lo, v6, v9
	s_wait_alu 0xfffd
	v_add_co_ci_u32_e64 v9, null, 0, v10, vcc_lo
	s_delay_alu instid0(VALU_DEP_2) | instskip(SKIP_1) | instid1(VALU_DEP_2)
	v_add_co_u32 v6, vcc_lo, v6, v11
	s_wait_alu 0xfffd
	v_add_co_ci_u32_e32 v6, vcc_lo, v9, v12, vcc_lo
	s_wait_alu 0xfffd
	v_add_co_ci_u32_e32 v9, vcc_lo, 0, v14, vcc_lo
	s_delay_alu instid0(VALU_DEP_2) | instskip(SKIP_1) | instid1(VALU_DEP_2)
	v_add_co_u32 v6, vcc_lo, v6, v13
	s_wait_alu 0xfffd
	v_add_co_ci_u32_e64 v11, null, 0, v9, vcc_lo
	s_delay_alu instid0(VALU_DEP_2) | instskip(SKIP_1) | instid1(VALU_DEP_3)
	v_mul_lo_u32 v12, s7, v6
	v_mad_co_u64_u32 v[9:10], null, s6, v6, 0
	v_mul_lo_u32 v13, s6, v11
	s_delay_alu instid0(VALU_DEP_2) | instskip(NEXT) | instid1(VALU_DEP_2)
	v_sub_co_u32 v9, vcc_lo, v7, v9
	v_add3_u32 v10, v10, v13, v12
	v_add_co_u32 v13, s0, v6, 2
	s_wait_alu 0xf1ff
	v_add_co_ci_u32_e64 v14, null, 0, v11, s0
	s_delay_alu instid0(VALU_DEP_3) | instskip(SKIP_3) | instid1(VALU_DEP_3)
	v_sub_nc_u32_e32 v12, v8, v10
	v_sub_co_u32 v15, s0, v9, s6
	s_wait_alu 0xfffd
	v_sub_co_ci_u32_e64 v10, null, v8, v10, vcc_lo
	v_subrev_co_ci_u32_e64 v12, null, s7, v12, vcc_lo
	s_delay_alu instid0(VALU_DEP_3) | instskip(SKIP_1) | instid1(VALU_DEP_2)
	v_cmp_le_u32_e32 vcc_lo, s6, v15
	s_wait_alu 0xf1ff
	v_subrev_co_ci_u32_e64 v12, null, 0, v12, s0
	s_wait_alu 0xfffd
	v_cndmask_b32_e64 v15, 0, -1, vcc_lo
	v_cmp_eq_u32_e64 s0, s7, v10
	s_delay_alu instid0(VALU_DEP_3)
	v_cmp_le_u32_e32 vcc_lo, s7, v12
	s_wait_alu 0xfffd
	v_cndmask_b32_e64 v16, 0, -1, vcc_lo
	v_cmp_le_u32_e32 vcc_lo, s6, v9
	s_wait_alu 0xfffd
	v_cndmask_b32_e64 v9, 0, -1, vcc_lo
	;; [unrolled: 3-line block ×3, first 2 shown]
	v_cmp_eq_u32_e32 vcc_lo, s7, v12
	s_wait_alu 0xf1ff
	s_delay_alu instid0(VALU_DEP_2)
	v_cndmask_b32_e64 v9, v17, v9, s0
	s_wait_alu 0xfffd
	v_cndmask_b32_e32 v12, v16, v15, vcc_lo
	v_add_co_u32 v15, vcc_lo, v6, 1
	s_wait_alu 0xfffd
	v_add_co_ci_u32_e64 v16, null, 0, v11, vcc_lo
	s_delay_alu instid0(VALU_DEP_3) | instskip(SKIP_2) | instid1(VALU_DEP_3)
	v_cmp_ne_u32_e32 vcc_lo, 0, v12
	s_wait_alu 0xfffd
	v_cndmask_b32_e32 v12, v15, v13, vcc_lo
	v_cndmask_b32_e32 v10, v16, v14, vcc_lo
	v_cmp_ne_u32_e32 vcc_lo, 0, v9
	s_wait_alu 0xfffd
	s_delay_alu instid0(VALU_DEP_2)
	v_dual_cndmask_b32 v9, v6, v12 :: v_dual_cndmask_b32 v10, v11, v10
.LBB130_8:                              ;   in Loop: Header=BB130_6 Depth=2
	s_wait_alu 0xfffe
	s_and_not1_saveexec_b32 s0, s13
	s_cbranch_execz .LBB130_10
; %bb.9:                                ;   in Loop: Header=BB130_6 Depth=2
	v_mul_hi_u32 v6, v7, v0
	s_delay_alu instid0(VALU_DEP_1) | instskip(NEXT) | instid1(VALU_DEP_1)
	v_mul_lo_u32 v9, v6, s6
	v_sub_nc_u32_e32 v9, v7, v9
	s_delay_alu instid0(VALU_DEP_1) | instskip(SKIP_2) | instid1(VALU_DEP_2)
	v_subrev_nc_u32_e32 v11, s6, v9
	v_cmp_le_u32_e32 vcc_lo, s6, v9
	s_wait_alu 0xfffd
	v_dual_cndmask_b32 v9, v9, v11 :: v_dual_add_nc_u32 v10, 1, v6
	s_delay_alu instid0(VALU_DEP_1) | instskip(NEXT) | instid1(VALU_DEP_2)
	v_cndmask_b32_e32 v6, v6, v10, vcc_lo
	v_cmp_le_u32_e32 vcc_lo, s6, v9
	s_delay_alu instid0(VALU_DEP_2) | instskip(SKIP_1) | instid1(VALU_DEP_1)
	v_add_nc_u32_e32 v10, 1, v6
	s_wait_alu 0xfffd
	v_dual_cndmask_b32 v9, v6, v10 :: v_dual_mov_b32 v10, v5
.LBB130_10:                             ;   in Loop: Header=BB130_6 Depth=2
	s_wait_alu 0xfffe
	s_or_b32 exec_lo, exec_lo, s0
	s_delay_alu instid0(VALU_DEP_1) | instskip(NEXT) | instid1(VALU_DEP_2)
	v_mul_lo_u32 v6, v10, s6
	v_mul_lo_u32 v13, v9, s7
	v_mad_co_u64_u32 v[11:12], null, v9, s6, 0
	s_cmp_lt_i32 s4, 0x7a
	s_mov_b32 s0, -1
	v_add3_u32 v6, v12, v13, v6
	v_sub_co_u32 v11, vcc_lo, v7, v11
	s_wait_alu 0xfffd
	s_delay_alu instid0(VALU_DEP_2)
	v_sub_co_ci_u32_e64 v12, null, v8, v6, vcc_lo
	s_cbranch_scc1 .LBB130_14
; %bb.11:                               ;   in Loop: Header=BB130_6 Depth=2
	s_cmp_eq_u32 s4, 0x7a
	s_cbranch_scc0 .LBB130_13
; %bb.12:                               ;   in Loop: Header=BB130_6 Depth=2
	v_lshlrev_b64_e32 v[13:14], 3, v[11:12]
	s_delay_alu instid0(VALU_DEP_1) | instskip(SKIP_1) | instid1(VALU_DEP_2)
	v_sub_co_u32 v6, vcc_lo, s22, v13
	s_wait_alu 0xfffd
	v_sub_co_ci_u32_e64 v13, null, s23, v14, vcc_lo
	s_delay_alu instid0(VALU_DEP_2) | instskip(NEXT) | instid1(VALU_DEP_2)
	v_cvt_f64_u32_e32 v[15:16], v6
	v_cvt_f64_u32_e32 v[13:14], v13
	s_delay_alu instid0(VALU_DEP_1) | instskip(NEXT) | instid1(VALU_DEP_1)
	v_ldexp_f64 v[13:14], v[13:14], 32
	v_add_f64_e32 v[13:14], v[13:14], v[15:16]
	s_delay_alu instid0(VALU_DEP_1) | instskip(SKIP_2) | instid1(VALU_DEP_1)
	v_cmp_gt_f64_e32 vcc_lo, 0x10000000, v[13:14]
	s_wait_alu 0xfffd
	v_cndmask_b32_e64 v6, 0, 0x100, vcc_lo
	v_ldexp_f64 v[13:14], v[13:14], v6
	v_cndmask_b32_e64 v6, 0, 0xffffff80, vcc_lo
	s_delay_alu instid0(VALU_DEP_2) | instskip(SKIP_1) | instid1(TRANS32_DEP_1)
	v_rsq_f64_e32 v[15:16], v[13:14]
	v_cmp_class_f64_e64 vcc_lo, v[13:14], 0x260
	v_mul_f64_e32 v[17:18], v[13:14], v[15:16]
	v_mul_f64_e32 v[15:16], 0.5, v[15:16]
	s_delay_alu instid0(VALU_DEP_1) | instskip(NEXT) | instid1(VALU_DEP_1)
	v_fma_f64 v[19:20], -v[15:16], v[17:18], 0.5
	v_fma_f64 v[17:18], v[17:18], v[19:20], v[17:18]
	v_fma_f64 v[15:16], v[15:16], v[19:20], v[15:16]
	s_delay_alu instid0(VALU_DEP_2) | instskip(NEXT) | instid1(VALU_DEP_1)
	v_fma_f64 v[19:20], -v[17:18], v[17:18], v[13:14]
	v_fma_f64 v[17:18], v[19:20], v[15:16], v[17:18]
	s_delay_alu instid0(VALU_DEP_1) | instskip(NEXT) | instid1(VALU_DEP_1)
	v_fma_f64 v[19:20], -v[17:18], v[17:18], v[13:14]
	v_fma_f64 v[15:16], v[19:20], v[15:16], v[17:18]
	s_delay_alu instid0(VALU_DEP_1) | instskip(SKIP_2) | instid1(VALU_DEP_2)
	v_ldexp_f64 v[15:16], v[15:16], v6
	v_mul_lo_u32 v6, v10, s8
	s_wait_alu 0xfffd
	v_dual_cndmask_b32 v14, v16, v14 :: v_dual_cndmask_b32 v13, v15, v13
	s_delay_alu instid0(VALU_DEP_1) | instskip(NEXT) | instid1(VALU_DEP_1)
	v_fma_f64 v[13:14], v[13:14], 0.5, -0.5
	v_floor_f64_e32 v[13:14], v[13:14]
	s_delay_alu instid0(VALU_DEP_1) | instskip(NEXT) | instid1(VALU_DEP_1)
	v_add_f64_e64 v[13:14], v[1:2], -v[13:14]
	v_trunc_f64_e32 v[13:14], v[13:14]
	s_delay_alu instid0(VALU_DEP_1) | instskip(NEXT) | instid1(VALU_DEP_1)
	v_ldexp_f64 v[15:16], v[13:14], 0xffffffe0
	v_floor_f64_e32 v[15:16], v[15:16]
	s_delay_alu instid0(VALU_DEP_1) | instskip(SKIP_2) | instid1(VALU_DEP_3)
	v_fma_f64 v[13:14], 0xc1f00000, v[15:16], v[13:14]
	v_cvt_u32_f64_e32 v15, v[15:16]
	v_mad_co_u64_u32 v[16:17], null, v9, s8, 0
	v_cvt_u32_f64_e32 v14, v[13:14]
	v_mul_lo_u32 v13, v9, s9
	s_delay_alu instid0(VALU_DEP_1) | instskip(SKIP_1) | instid1(VALU_DEP_2)
	v_add3_u32 v17, v17, v13, v6
	v_mul_lo_u32 v6, v15, s16
	v_lshlrev_b64_e32 v[16:17], 3, v[16:17]
	v_sub_co_u32 v13, vcc_lo, s18, v14
	s_wait_alu 0xfffd
	v_sub_co_ci_u32_e64 v22, null, s19, v15, vcc_lo
	v_mul_lo_u32 v23, v14, s17
	v_mad_co_u64_u32 v[18:19], null, v14, s16, 0
	v_add_co_u32 v24, vcc_lo, v13, -1
	s_wait_alu 0xfffd
	v_add_co_ci_u32_e64 v25, null, -1, v22, vcc_lo
	v_sub_co_u32 v20, vcc_lo, v11, s24
	s_delay_alu instid0(VALU_DEP_4) | instskip(NEXT) | instid1(VALU_DEP_3)
	v_add3_u32 v19, v19, v23, v6
	v_mul_lo_u32 v6, v25, v13
	v_mul_lo_u32 v25, v24, v22
	v_mad_co_u64_u32 v[22:23], null, v24, v13, 0
	s_wait_alu 0xfffd
	v_subrev_co_ci_u32_e64 v21, null, s25, v12, vcc_lo
	v_lshlrev_b64_e32 v[18:19], 3, v[18:19]
	v_add_co_u32 v13, vcc_lo, s38, v16
	s_wait_alu 0xfffd
	v_add_co_ci_u32_e64 v16, null, s39, v17, vcc_lo
	v_lshlrev_b64_e32 v[20:21], 3, v[20:21]
	v_add3_u32 v23, v23, v25, v6
	v_add_co_u32 v6, vcc_lo, v13, v18
	s_wait_alu 0xfffd
	v_add_co_ci_u32_e64 v18, null, v16, v19, vcc_lo
	s_delay_alu instid0(VALU_DEP_3) | instskip(SKIP_4) | instid1(VALU_DEP_4)
	v_lshlrev_b64_e32 v[16:17], 2, v[22:23]
	v_lshlrev_b64_e32 v[13:14], 3, v[14:15]
	v_add_co_u32 v6, vcc_lo, v6, v20
	s_wait_alu 0xfffd
	v_add_co_ci_u32_e64 v15, null, v18, v21, vcc_lo
	v_and_b32_e32 v16, -8, v16
	s_delay_alu instid0(VALU_DEP_3) | instskip(SKIP_1) | instid1(VALU_DEP_3)
	v_add_co_u32 v6, vcc_lo, v6, v13
	s_wait_alu 0xfffd
	v_add_co_ci_u32_e64 v14, null, v15, v14, vcc_lo
	s_delay_alu instid0(VALU_DEP_2) | instskip(SKIP_1) | instid1(VALU_DEP_2)
	v_add_co_u32 v13, vcc_lo, v6, v16
	s_wait_alu 0xfffd
	v_add_co_ci_u32_e64 v14, null, v14, v17, vcc_lo
	v_mov_b32_e32 v6, v5
	flat_store_b64 v[13:14], v[5:6] offset:8
.LBB130_13:                             ;   in Loop: Header=BB130_6 Depth=2
	s_mov_b32 s0, 0
.LBB130_14:                             ;   in Loop: Header=BB130_6 Depth=2
	s_wait_alu 0xfffe
	s_and_not1_b32 vcc_lo, exec_lo, s0
	s_wait_alu 0xfffe
	s_cbranch_vccnz .LBB130_5
; %bb.15:                               ;   in Loop: Header=BB130_6 Depth=2
	s_cmp_lg_u32 s4, 0x79
	s_cbranch_scc1 .LBB130_5
; %bb.16:                               ;   in Loop: Header=BB130_6 Depth=2
	v_lshlrev_b64_e32 v[13:14], 3, v[11:12]
	s_delay_alu instid0(VALU_DEP_1) | instskip(NEXT) | instid1(VALU_DEP_2)
	v_cvt_f64_u32_e32 v[14:15], v14
	v_or_b32_e32 v6, 1, v13
	s_delay_alu instid0(VALU_DEP_1) | instskip(NEXT) | instid1(VALU_DEP_3)
	v_cvt_f64_u32_e32 v[16:17], v6
	v_ldexp_f64 v[13:14], v[14:15], 32
	s_delay_alu instid0(VALU_DEP_1) | instskip(NEXT) | instid1(VALU_DEP_1)
	v_add_f64_e32 v[13:14], v[13:14], v[16:17]
	v_cmp_gt_f64_e32 vcc_lo, 0x10000000, v[13:14]
	s_wait_alu 0xfffd
	v_cndmask_b32_e64 v6, 0, 0x100, vcc_lo
	s_delay_alu instid0(VALU_DEP_1) | instskip(SKIP_1) | instid1(VALU_DEP_2)
	v_ldexp_f64 v[13:14], v[13:14], v6
	v_cndmask_b32_e64 v6, 0, 0xffffff80, vcc_lo
	v_rsq_f64_e32 v[15:16], v[13:14]
	v_cmp_class_f64_e64 vcc_lo, v[13:14], 0x260
	s_delay_alu instid0(TRANS32_DEP_1) | instskip(SKIP_1) | instid1(VALU_DEP_1)
	v_mul_f64_e32 v[17:18], v[13:14], v[15:16]
	v_mul_f64_e32 v[15:16], 0.5, v[15:16]
	v_fma_f64 v[19:20], -v[15:16], v[17:18], 0.5
	s_delay_alu instid0(VALU_DEP_1) | instskip(SKIP_1) | instid1(VALU_DEP_2)
	v_fma_f64 v[17:18], v[17:18], v[19:20], v[17:18]
	v_fma_f64 v[15:16], v[15:16], v[19:20], v[15:16]
	v_fma_f64 v[19:20], -v[17:18], v[17:18], v[13:14]
	s_delay_alu instid0(VALU_DEP_1) | instskip(NEXT) | instid1(VALU_DEP_1)
	v_fma_f64 v[17:18], v[19:20], v[15:16], v[17:18]
	v_fma_f64 v[19:20], -v[17:18], v[17:18], v[13:14]
	s_delay_alu instid0(VALU_DEP_1) | instskip(SKIP_1) | instid1(VALU_DEP_2)
	v_fma_f64 v[15:16], v[19:20], v[15:16], v[17:18]
	v_mul_lo_u32 v18, v9, s9
	v_ldexp_f64 v[15:16], v[15:16], v6
	v_mul_lo_u32 v6, v10, s8
	v_mad_co_u64_u32 v[9:10], null, v9, s8, 0
	s_delay_alu instid0(VALU_DEP_1) | instskip(NEXT) | instid1(VALU_DEP_1)
	v_add3_u32 v10, v10, v18, v6
	v_lshlrev_b64_e32 v[9:10], 3, v[9:10]
	s_wait_alu 0xfffd
	v_dual_cndmask_b32 v14, v16, v14 :: v_dual_cndmask_b32 v13, v15, v13
	s_delay_alu instid0(VALU_DEP_1) | instskip(NEXT) | instid1(VALU_DEP_1)
	v_add_f64_e32 v[13:14], -1.0, v[13:14]
	v_mul_f64_e32 v[13:14], 0.5, v[13:14]
	s_delay_alu instid0(VALU_DEP_1) | instskip(NEXT) | instid1(VALU_DEP_1)
	v_trunc_f64_e32 v[13:14], v[13:14]
	v_ldexp_f64 v[15:16], v[13:14], 0xffffffe0
	s_delay_alu instid0(VALU_DEP_1) | instskip(NEXT) | instid1(VALU_DEP_1)
	v_floor_f64_e32 v[15:16], v[15:16]
	v_fma_f64 v[13:14], 0xc1f00000, v[15:16], v[13:14]
	v_cvt_u32_f64_e32 v15, v[15:16]
	s_delay_alu instid0(VALU_DEP_2) | instskip(NEXT) | instid1(VALU_DEP_1)
	v_cvt_u32_f64_e32 v14, v[13:14]
	v_mad_co_u64_u32 v[16:17], null, v14, v14, v[14:15]
	v_mul_lo_u32 v19, v14, v15
	v_mul_lo_u32 v15, s16, v15
	;; [unrolled: 1-line block ×3, first 2 shown]
	v_mad_co_u64_u32 v[13:14], null, s16, v14, s[16:17]
	s_delay_alu instid0(VALU_DEP_4) | instskip(NEXT) | instid1(VALU_DEP_2)
	v_add3_u32 v17, v19, v17, v19
	v_add3_u32 v14, v20, v14, v15
	s_delay_alu instid0(VALU_DEP_2) | instskip(NEXT) | instid1(VALU_DEP_2)
	v_lshrrev_b64 v[15:16], 1, v[16:17]
	v_lshlrev_b64_e32 v[13:14], 3, v[13:14]
	s_delay_alu instid0(VALU_DEP_2) | instskip(SKIP_1) | instid1(VALU_DEP_3)
	v_sub_co_u32 v11, vcc_lo, v11, v15
	s_wait_alu 0xfffd
	v_sub_co_ci_u32_e64 v12, null, v12, v16, vcc_lo
	v_add_co_u32 v6, vcc_lo, s38, v9
	s_wait_alu 0xfffd
	v_add_co_ci_u32_e64 v15, null, s39, v10, vcc_lo
	s_delay_alu instid0(VALU_DEP_3) | instskip(NEXT) | instid1(VALU_DEP_3)
	v_lshlrev_b64_e32 v[9:10], 3, v[11:12]
	v_add_co_u32 v6, vcc_lo, v6, v13
	s_wait_alu 0xfffd
	s_delay_alu instid0(VALU_DEP_3) | instskip(NEXT) | instid1(VALU_DEP_2)
	v_add_co_ci_u32_e64 v11, null, v15, v14, vcc_lo
	v_add_co_u32 v9, vcc_lo, v6, v9
	s_wait_alu 0xfffd
	s_delay_alu instid0(VALU_DEP_2)
	v_add_co_ci_u32_e64 v10, null, v11, v10, vcc_lo
	v_mov_b32_e32 v6, v5
	flat_store_b64 v[9:10], v[5:6]
	s_branch .LBB130_5
.LBB130_17:
	s_endpgm
	.section	.rodata,"a",@progbits
	.p2align	6, 0x0
	.amdhsa_kernel _ZL18rocblas_trtri_fillILi128EdPKPdEvP15_rocblas_handle13rocblas_fill_ililT1_llii
		.amdhsa_group_segment_fixed_size 0
		.amdhsa_private_segment_fixed_size 0
		.amdhsa_kernarg_size 328
		.amdhsa_user_sgpr_count 2
		.amdhsa_user_sgpr_dispatch_ptr 0
		.amdhsa_user_sgpr_queue_ptr 0
		.amdhsa_user_sgpr_kernarg_segment_ptr 1
		.amdhsa_user_sgpr_dispatch_id 0
		.amdhsa_user_sgpr_private_segment_size 0
		.amdhsa_wavefront_size32 1
		.amdhsa_uses_dynamic_stack 0
		.amdhsa_enable_private_segment 0
		.amdhsa_system_sgpr_workgroup_id_x 1
		.amdhsa_system_sgpr_workgroup_id_y 0
		.amdhsa_system_sgpr_workgroup_id_z 1
		.amdhsa_system_sgpr_workgroup_info 0
		.amdhsa_system_vgpr_workitem_id 0
		.amdhsa_next_free_vgpr 26
		.amdhsa_next_free_sgpr 47
		.amdhsa_reserve_vcc 1
		.amdhsa_float_round_mode_32 0
		.amdhsa_float_round_mode_16_64 0
		.amdhsa_float_denorm_mode_32 3
		.amdhsa_float_denorm_mode_16_64 3
		.amdhsa_fp16_overflow 0
		.amdhsa_workgroup_processor_mode 1
		.amdhsa_memory_ordered 1
		.amdhsa_forward_progress 1
		.amdhsa_inst_pref_size 19
		.amdhsa_round_robin_scheduling 0
		.amdhsa_exception_fp_ieee_invalid_op 0
		.amdhsa_exception_fp_denorm_src 0
		.amdhsa_exception_fp_ieee_div_zero 0
		.amdhsa_exception_fp_ieee_overflow 0
		.amdhsa_exception_fp_ieee_underflow 0
		.amdhsa_exception_fp_ieee_inexact 0
		.amdhsa_exception_int_div_zero 0
	.end_amdhsa_kernel
	.section	.text._ZL18rocblas_trtri_fillILi128EdPKPdEvP15_rocblas_handle13rocblas_fill_ililT1_llii,"axG",@progbits,_ZL18rocblas_trtri_fillILi128EdPKPdEvP15_rocblas_handle13rocblas_fill_ililT1_llii,comdat
.Lfunc_end130:
	.size	_ZL18rocblas_trtri_fillILi128EdPKPdEvP15_rocblas_handle13rocblas_fill_ililT1_llii, .Lfunc_end130-_ZL18rocblas_trtri_fillILi128EdPKPdEvP15_rocblas_handle13rocblas_fill_ililT1_llii
                                        ; -- End function
	.set _ZL18rocblas_trtri_fillILi128EdPKPdEvP15_rocblas_handle13rocblas_fill_ililT1_llii.num_vgpr, 26
	.set _ZL18rocblas_trtri_fillILi128EdPKPdEvP15_rocblas_handle13rocblas_fill_ililT1_llii.num_agpr, 0
	.set _ZL18rocblas_trtri_fillILi128EdPKPdEvP15_rocblas_handle13rocblas_fill_ililT1_llii.numbered_sgpr, 47
	.set _ZL18rocblas_trtri_fillILi128EdPKPdEvP15_rocblas_handle13rocblas_fill_ililT1_llii.num_named_barrier, 0
	.set _ZL18rocblas_trtri_fillILi128EdPKPdEvP15_rocblas_handle13rocblas_fill_ililT1_llii.private_seg_size, 0
	.set _ZL18rocblas_trtri_fillILi128EdPKPdEvP15_rocblas_handle13rocblas_fill_ililT1_llii.uses_vcc, 1
	.set _ZL18rocblas_trtri_fillILi128EdPKPdEvP15_rocblas_handle13rocblas_fill_ililT1_llii.uses_flat_scratch, 0
	.set _ZL18rocblas_trtri_fillILi128EdPKPdEvP15_rocblas_handle13rocblas_fill_ililT1_llii.has_dyn_sized_stack, 0
	.set _ZL18rocblas_trtri_fillILi128EdPKPdEvP15_rocblas_handle13rocblas_fill_ililT1_llii.has_recursion, 0
	.set _ZL18rocblas_trtri_fillILi128EdPKPdEvP15_rocblas_handle13rocblas_fill_ililT1_llii.has_indirect_call, 0
	.section	.AMDGPU.csdata,"",@progbits
; Kernel info:
; codeLenInByte = 2432
; TotalNumSgprs: 49
; NumVgprs: 26
; ScratchSize: 0
; MemoryBound: 0
; FloatMode: 240
; IeeeMode: 1
; LDSByteSize: 0 bytes/workgroup (compile time only)
; SGPRBlocks: 0
; VGPRBlocks: 3
; NumSGPRsForWavesPerEU: 49
; NumVGPRsForWavesPerEU: 26
; Occupancy: 16
; WaveLimiterHint : 1
; COMPUTE_PGM_RSRC2:SCRATCH_EN: 0
; COMPUTE_PGM_RSRC2:USER_SGPR: 2
; COMPUTE_PGM_RSRC2:TRAP_HANDLER: 0
; COMPUTE_PGM_RSRC2:TGID_X_EN: 1
; COMPUTE_PGM_RSRC2:TGID_Y_EN: 0
; COMPUTE_PGM_RSRC2:TGID_Z_EN: 1
; COMPUTE_PGM_RSRC2:TIDIG_COMP_CNT: 0
	.section	.text._ZL24rocblas_copy_matrix_trsmILi128ELi8EdPKPKdPKPdEviiiT2_ilT3_illli,"axG",@progbits,_ZL24rocblas_copy_matrix_trsmILi128ELi8EdPKPKdPKPdEviiiT2_ilT3_illli,comdat
	.globl	_ZL24rocblas_copy_matrix_trsmILi128ELi8EdPKPKdPKPdEviiiT2_ilT3_illli ; -- Begin function _ZL24rocblas_copy_matrix_trsmILi128ELi8EdPKPKdPKPdEviiiT2_ilT3_illli
	.p2align	8
	.type	_ZL24rocblas_copy_matrix_trsmILi128ELi8EdPKPKdPKPdEviiiT2_ilT3_illli,@function
_ZL24rocblas_copy_matrix_trsmILi128ELi8EdPKPKdPKPdEviiiT2_ilT3_illli: ; @_ZL24rocblas_copy_matrix_trsmILi128ELi8EdPKPKdPKPdEviiiT2_ilT3_illli
; %bb.0:
	s_load_b32 s22, s[0:1], 0x50
	s_lshr_b32 s2, ttmp7, 16
	s_wait_kmcnt 0x0
	s_cmp_ge_u32 s2, s22
	s_cbranch_scc1 .LBB131_6
; %bb.1:
	s_clause 0x2
	s_load_b96 s[8:10], s[0:1], 0x10
	s_load_b96 s[12:14], s[0:1], 0x28
	s_load_b64 s[18:19], s[0:1], 0x0
	v_and_b32_e32 v1, 0x3ff, v0
	v_bfe_u32 v0, v0, 10, 10
	s_and_b32 s3, ttmp7, 0xffff
	s_load_b128 s[4:7], s[0:1], 0x40
	v_mov_b32_e32 v3, 0
	v_lshl_add_u32 v2, ttmp9, 7, v1
	v_lshl_add_u32 v0, s3, 3, v0
	s_add_nc_u64 s[16:17], s[0:1], 0x58
	s_delay_alu instid0(VALU_DEP_3) | instskip(NEXT) | instid1(VALU_DEP_3)
	v_mov_b32_e32 v1, v3
	v_lshlrev_b64_e32 v[4:5], 3, v[2:3]
	s_wait_kmcnt 0x0
	v_mad_co_u64_u32 v[8:9], null, s10, v0, 0
	v_mad_co_u64_u32 v[6:7], null, s14, v0, 0
	s_ashr_i32 s15, s14, 31
	s_ashr_i32 s21, s10, 31
	s_mov_b32 s20, s10
	s_ashr_i32 s11, s19, 31
	v_mad_i32_i24 v9, s21, v0, v9
	s_mov_b32 s10, s19
	s_wait_alu 0xfffe
	v_mad_i32_i24 v7, s15, v0, v7
	s_ashr_i32 s19, s18, 31
	v_cmp_gt_u64_e64 s0, s[10:11], v[0:1]
	v_cmp_gt_u64_e32 vcc_lo, s[18:19], v[2:3]
	s_lshl_b64 s[6:7], s[6:7], 3
	v_lshlrev_b64_e32 v[2:3], 3, v[6:7]
	v_lshlrev_b64_e32 v[6:7], 3, v[8:9]
	s_lshl_b64 s[4:5], s[4:5], 3
	s_and_b32 s1, vcc_lo, s0
	s_delay_alu instid0(VALU_DEP_2) | instskip(NEXT) | instid1(VALU_DEP_1)
	v_add_co_u32 v2, vcc_lo, v2, s6
	v_add_co_ci_u32_e64 v3, null, s7, v3, vcc_lo
	s_delay_alu instid0(VALU_DEP_3)
	v_add_co_u32 v6, vcc_lo, v6, s4
	s_wait_alu 0xfffd
	v_add_co_ci_u32_e64 v7, null, s5, v7, vcc_lo
	v_add_co_u32 v8, vcc_lo, v2, v4
	s_wait_alu 0xfffd
	v_add_co_ci_u32_e64 v9, null, v3, v5, vcc_lo
	;; [unrolled: 3-line block ×3, first 2 shown]
	s_lshl_b64 s[4:5], s[14:15], 3
	s_lshl_b64 s[6:7], s[20:21], 3
	s_mov_b32 s15, 0
	s_branch .LBB131_3
.LBB131_2:                              ;   in Loop: Header=BB131_3 Depth=1
	s_or_b32 exec_lo, exec_lo, s23
	s_add_co_i32 s2, s2, 0x10000
	s_wait_alu 0xfffe
	s_cmp_ge_u32 s2, s22
	s_cbranch_scc1 .LBB131_6
.LBB131_3:                              ; =>This Loop Header: Depth=1
                                        ;     Child Loop BB131_5 Depth 2
	s_wait_alu 0xfffe
	s_and_saveexec_b32 s23, s1
	s_cbranch_execz .LBB131_2
; %bb.4:                                ;   in Loop: Header=BB131_3 Depth=1
	s_mov_b32 s3, s15
	s_load_b32 s0, s[16:17], 0x4
	s_lshl_b64 s[18:19], s[2:3], 3
	v_dual_mov_b32 v7, v1 :: v_dual_mov_b32 v6, v0
	s_wait_alu 0xfffe
	s_add_nc_u64 s[20:21], s[12:13], s[18:19]
	s_add_nc_u64 s[18:19], s[8:9], s[18:19]
	s_load_b64 s[20:21], s[20:21], 0x0
	s_load_b64 s[18:19], s[18:19], 0x0
	s_mov_b32 s3, 0
	s_wait_kmcnt 0x0
	s_lshl_b32 s14, s0, 3
	v_add_co_u32 v2, vcc_lo, s20, v8
	s_wait_alu 0xfffd
	v_add_co_ci_u32_e64 v3, null, s21, v9, vcc_lo
	v_add_co_u32 v4, vcc_lo, s18, v10
	s_wait_alu 0xfffd
	v_add_co_ci_u32_e64 v5, null, s19, v11, vcc_lo
	s_wait_alu 0xfffe
	s_mul_u64 s[18:19], s[4:5], s[14:15]
	s_mul_u64 s[20:21], s[6:7], s[14:15]
.LBB131_5:                              ;   Parent Loop BB131_3 Depth=1
                                        ; =>  This Inner Loop Header: Depth=2
	flat_load_b64 v[12:13], v[4:5]
	v_add_co_u32 v6, vcc_lo, v6, s14
	s_wait_alu 0xfffd
	v_add_co_ci_u32_e64 v7, null, 0, v7, vcc_lo
	s_wait_alu 0xfffe
	v_add_co_u32 v4, vcc_lo, v4, s20
	s_wait_alu 0xfffd
	v_add_co_ci_u32_e64 v5, null, s21, v5, vcc_lo
	v_cmp_le_u64_e32 vcc_lo, s[10:11], v[6:7]
	s_or_b32 s3, vcc_lo, s3
	s_wait_loadcnt_dscnt 0x0
	flat_store_b64 v[2:3], v[12:13]
	v_add_co_u32 v2, s0, v2, s18
	s_wait_alu 0xf1ff
	v_add_co_ci_u32_e64 v3, null, s19, v3, s0
	s_wait_alu 0xfffe
	s_and_not1_b32 exec_lo, exec_lo, s3
	s_cbranch_execnz .LBB131_5
	s_branch .LBB131_2
.LBB131_6:
	s_endpgm
	.section	.rodata,"a",@progbits
	.p2align	6, 0x0
	.amdhsa_kernel _ZL24rocblas_copy_matrix_trsmILi128ELi8EdPKPKdPKPdEviiiT2_ilT3_illli
		.amdhsa_group_segment_fixed_size 0
		.amdhsa_private_segment_fixed_size 0
		.amdhsa_kernarg_size 344
		.amdhsa_user_sgpr_count 2
		.amdhsa_user_sgpr_dispatch_ptr 0
		.amdhsa_user_sgpr_queue_ptr 0
		.amdhsa_user_sgpr_kernarg_segment_ptr 1
		.amdhsa_user_sgpr_dispatch_id 0
		.amdhsa_user_sgpr_private_segment_size 0
		.amdhsa_wavefront_size32 1
		.amdhsa_uses_dynamic_stack 0
		.amdhsa_enable_private_segment 0
		.amdhsa_system_sgpr_workgroup_id_x 1
		.amdhsa_system_sgpr_workgroup_id_y 1
		.amdhsa_system_sgpr_workgroup_id_z 1
		.amdhsa_system_sgpr_workgroup_info 0
		.amdhsa_system_vgpr_workitem_id 1
		.amdhsa_next_free_vgpr 14
		.amdhsa_next_free_sgpr 24
		.amdhsa_reserve_vcc 1
		.amdhsa_float_round_mode_32 0
		.amdhsa_float_round_mode_16_64 0
		.amdhsa_float_denorm_mode_32 3
		.amdhsa_float_denorm_mode_16_64 3
		.amdhsa_fp16_overflow 0
		.amdhsa_workgroup_processor_mode 1
		.amdhsa_memory_ordered 1
		.amdhsa_forward_progress 1
		.amdhsa_inst_pref_size 5
		.amdhsa_round_robin_scheduling 0
		.amdhsa_exception_fp_ieee_invalid_op 0
		.amdhsa_exception_fp_denorm_src 0
		.amdhsa_exception_fp_ieee_div_zero 0
		.amdhsa_exception_fp_ieee_overflow 0
		.amdhsa_exception_fp_ieee_underflow 0
		.amdhsa_exception_fp_ieee_inexact 0
		.amdhsa_exception_int_div_zero 0
	.end_amdhsa_kernel
	.section	.text._ZL24rocblas_copy_matrix_trsmILi128ELi8EdPKPKdPKPdEviiiT2_ilT3_illli,"axG",@progbits,_ZL24rocblas_copy_matrix_trsmILi128ELi8EdPKPKdPKPdEviiiT2_ilT3_illli,comdat
.Lfunc_end131:
	.size	_ZL24rocblas_copy_matrix_trsmILi128ELi8EdPKPKdPKPdEviiiT2_ilT3_illli, .Lfunc_end131-_ZL24rocblas_copy_matrix_trsmILi128ELi8EdPKPKdPKPdEviiiT2_ilT3_illli
                                        ; -- End function
	.set _ZL24rocblas_copy_matrix_trsmILi128ELi8EdPKPKdPKPdEviiiT2_ilT3_illli.num_vgpr, 14
	.set _ZL24rocblas_copy_matrix_trsmILi128ELi8EdPKPKdPKPdEviiiT2_ilT3_illli.num_agpr, 0
	.set _ZL24rocblas_copy_matrix_trsmILi128ELi8EdPKPKdPKPdEviiiT2_ilT3_illli.numbered_sgpr, 24
	.set _ZL24rocblas_copy_matrix_trsmILi128ELi8EdPKPKdPKPdEviiiT2_ilT3_illli.num_named_barrier, 0
	.set _ZL24rocblas_copy_matrix_trsmILi128ELi8EdPKPKdPKPdEviiiT2_ilT3_illli.private_seg_size, 0
	.set _ZL24rocblas_copy_matrix_trsmILi128ELi8EdPKPKdPKPdEviiiT2_ilT3_illli.uses_vcc, 1
	.set _ZL24rocblas_copy_matrix_trsmILi128ELi8EdPKPKdPKPdEviiiT2_ilT3_illli.uses_flat_scratch, 0
	.set _ZL24rocblas_copy_matrix_trsmILi128ELi8EdPKPKdPKPdEviiiT2_ilT3_illli.has_dyn_sized_stack, 0
	.set _ZL24rocblas_copy_matrix_trsmILi128ELi8EdPKPKdPKPdEviiiT2_ilT3_illli.has_recursion, 0
	.set _ZL24rocblas_copy_matrix_trsmILi128ELi8EdPKPKdPKPdEviiiT2_ilT3_illli.has_indirect_call, 0
	.section	.AMDGPU.csdata,"",@progbits
; Kernel info:
; codeLenInByte = 592
; TotalNumSgprs: 26
; NumVgprs: 14
; ScratchSize: 0
; MemoryBound: 0
; FloatMode: 240
; IeeeMode: 1
; LDSByteSize: 0 bytes/workgroup (compile time only)
; SGPRBlocks: 0
; VGPRBlocks: 1
; NumSGPRsForWavesPerEU: 26
; NumVGPRsForWavesPerEU: 14
; Occupancy: 16
; WaveLimiterHint : 0
; COMPUTE_PGM_RSRC2:SCRATCH_EN: 0
; COMPUTE_PGM_RSRC2:USER_SGPR: 2
; COMPUTE_PGM_RSRC2:TRAP_HANDLER: 0
; COMPUTE_PGM_RSRC2:TGID_X_EN: 1
; COMPUTE_PGM_RSRC2:TGID_Y_EN: 1
; COMPUTE_PGM_RSRC2:TGID_Z_EN: 1
; COMPUTE_PGM_RSRC2:TIDIG_COMP_CNT: 1
	.section	.text._ZL23rocblas_set_matrix_trsmILi128ELi8E19rocblas_complex_numIfEPKPS1_EvlliT2_llT1_li,"axG",@progbits,_ZL23rocblas_set_matrix_trsmILi128ELi8E19rocblas_complex_numIfEPKPS1_EvlliT2_llT1_li,comdat
	.globl	_ZL23rocblas_set_matrix_trsmILi128ELi8E19rocblas_complex_numIfEPKPS1_EvlliT2_llT1_li ; -- Begin function _ZL23rocblas_set_matrix_trsmILi128ELi8E19rocblas_complex_numIfEPKPS1_EvlliT2_llT1_li
	.p2align	8
	.type	_ZL23rocblas_set_matrix_trsmILi128ELi8E19rocblas_complex_numIfEPKPS1_EvlliT2_llT1_li,@function
_ZL23rocblas_set_matrix_trsmILi128ELi8E19rocblas_complex_numIfEPKPS1_EvlliT2_llT1_li: ; @_ZL23rocblas_set_matrix_trsmILi128ELi8E19rocblas_complex_numIfEPKPS1_EvlliT2_llT1_li
; %bb.0:
	s_load_b32 s8, s[0:1], 0x40
	s_lshr_b32 s2, ttmp7, 16
	s_wait_kmcnt 0x0
	s_cmp_ge_u32 s2, s8
	s_cbranch_scc1 .LBB132_5
; %bb.1:
	s_clause 0x1
	s_load_b128 s[4:7], s[0:1], 0x18
	s_load_b128 s[12:15], s[0:1], 0x0
	v_bfe_u32 v1, v0, 10, 10
	s_and_b32 s3, ttmp7, 0xffff
	s_load_b64 s[10:11], s[0:1], 0x38
	v_and_b32_e32 v6, 0x3ff, v0
	v_mov_b32_e32 v0, 0
	v_lshl_add_u32 v1, s3, 3, v1
	s_mov_b32 s3, 0
	s_wait_kmcnt 0x0
	s_delay_alu instid0(VALU_DEP_1) | instskip(NEXT) | instid1(VALU_DEP_1)
	v_mad_co_u64_u32 v[3:4], null, s6, v1, 0
	v_mov_b32_e32 v2, v4
	s_delay_alu instid0(VALU_DEP_1) | instskip(SKIP_3) | instid1(VALU_DEP_2)
	v_mad_co_u64_u32 v[4:5], null, s7, v1, v[2:3]
	v_lshl_add_u32 v5, ttmp9, 7, v6
	v_mov_b32_e32 v6, v0
	v_mov_b32_e32 v2, v0
	v_cmp_gt_u64_e32 vcc_lo, s[12:13], v[5:6]
	s_delay_alu instid0(VALU_DEP_2)
	v_cmp_gt_u64_e64 s0, s[14:15], v[1:2]
	v_lshlrev_b64_e32 v[2:3], 3, v[3:4]
	v_lshlrev_b64_e32 v[4:5], 3, v[5:6]
	s_and_b32 s6, vcc_lo, s0
	s_lshl_b64 s[0:1], s[10:11], 3
	s_branch .LBB132_3
.LBB132_2:                              ;   in Loop: Header=BB132_3 Depth=1
	s_wait_alu 0xfffe
	s_or_b32 exec_lo, exec_lo, s7
	s_add_co_i32 s2, s2, 0x10000
	s_wait_alu 0xfffe
	s_cmp_lt_u32 s2, s8
	s_cbranch_scc0 .LBB132_5
.LBB132_3:                              ; =>This Inner Loop Header: Depth=1
	s_wait_alu 0xfffe
	s_and_saveexec_b32 s7, s6
	s_cbranch_execz .LBB132_2
; %bb.4:                                ;   in Loop: Header=BB132_3 Depth=1
	s_lshl_b64 s[10:11], s[2:3], 3
	s_delay_alu instid0(SALU_CYCLE_1)
	s_add_nc_u64 s[10:11], s[4:5], s[10:11]
	global_load_b64 v[6:7], v0, s[10:11]
	s_wait_loadcnt 0x0
	v_add_co_u32 v1, vcc_lo, v6, s0
	s_wait_alu 0xfffd
	v_add_co_ci_u32_e64 v6, null, s1, v7, vcc_lo
	s_delay_alu instid0(VALU_DEP_2) | instskip(SKIP_1) | instid1(VALU_DEP_2)
	v_add_co_u32 v1, vcc_lo, v1, v2
	s_wait_alu 0xfffd
	v_add_co_ci_u32_e64 v7, null, v6, v3, vcc_lo
	s_delay_alu instid0(VALU_DEP_2) | instskip(SKIP_1) | instid1(VALU_DEP_2)
	v_add_co_u32 v6, vcc_lo, v1, v4
	s_wait_alu 0xfffd
	v_add_co_ci_u32_e64 v7, null, v7, v5, vcc_lo
	v_mov_b32_e32 v1, v0
	flat_store_b64 v[6:7], v[0:1]
	s_branch .LBB132_2
.LBB132_5:
	s_endpgm
	.section	.rodata,"a",@progbits
	.p2align	6, 0x0
	.amdhsa_kernel _ZL23rocblas_set_matrix_trsmILi128ELi8E19rocblas_complex_numIfEPKPS1_EvlliT2_llT1_li
		.amdhsa_group_segment_fixed_size 0
		.amdhsa_private_segment_fixed_size 0
		.amdhsa_kernarg_size 68
		.amdhsa_user_sgpr_count 2
		.amdhsa_user_sgpr_dispatch_ptr 0
		.amdhsa_user_sgpr_queue_ptr 0
		.amdhsa_user_sgpr_kernarg_segment_ptr 1
		.amdhsa_user_sgpr_dispatch_id 0
		.amdhsa_user_sgpr_private_segment_size 0
		.amdhsa_wavefront_size32 1
		.amdhsa_uses_dynamic_stack 0
		.amdhsa_enable_private_segment 0
		.amdhsa_system_sgpr_workgroup_id_x 1
		.amdhsa_system_sgpr_workgroup_id_y 1
		.amdhsa_system_sgpr_workgroup_id_z 1
		.amdhsa_system_sgpr_workgroup_info 0
		.amdhsa_system_vgpr_workitem_id 1
		.amdhsa_next_free_vgpr 8
		.amdhsa_next_free_sgpr 16
		.amdhsa_reserve_vcc 1
		.amdhsa_float_round_mode_32 0
		.amdhsa_float_round_mode_16_64 0
		.amdhsa_float_denorm_mode_32 3
		.amdhsa_float_denorm_mode_16_64 3
		.amdhsa_fp16_overflow 0
		.amdhsa_workgroup_processor_mode 1
		.amdhsa_memory_ordered 1
		.amdhsa_forward_progress 1
		.amdhsa_inst_pref_size 3
		.amdhsa_round_robin_scheduling 0
		.amdhsa_exception_fp_ieee_invalid_op 0
		.amdhsa_exception_fp_denorm_src 0
		.amdhsa_exception_fp_ieee_div_zero 0
		.amdhsa_exception_fp_ieee_overflow 0
		.amdhsa_exception_fp_ieee_underflow 0
		.amdhsa_exception_fp_ieee_inexact 0
		.amdhsa_exception_int_div_zero 0
	.end_amdhsa_kernel
	.section	.text._ZL23rocblas_set_matrix_trsmILi128ELi8E19rocblas_complex_numIfEPKPS1_EvlliT2_llT1_li,"axG",@progbits,_ZL23rocblas_set_matrix_trsmILi128ELi8E19rocblas_complex_numIfEPKPS1_EvlliT2_llT1_li,comdat
.Lfunc_end132:
	.size	_ZL23rocblas_set_matrix_trsmILi128ELi8E19rocblas_complex_numIfEPKPS1_EvlliT2_llT1_li, .Lfunc_end132-_ZL23rocblas_set_matrix_trsmILi128ELi8E19rocblas_complex_numIfEPKPS1_EvlliT2_llT1_li
                                        ; -- End function
	.set _ZL23rocblas_set_matrix_trsmILi128ELi8E19rocblas_complex_numIfEPKPS1_EvlliT2_llT1_li.num_vgpr, 8
	.set _ZL23rocblas_set_matrix_trsmILi128ELi8E19rocblas_complex_numIfEPKPS1_EvlliT2_llT1_li.num_agpr, 0
	.set _ZL23rocblas_set_matrix_trsmILi128ELi8E19rocblas_complex_numIfEPKPS1_EvlliT2_llT1_li.numbered_sgpr, 16
	.set _ZL23rocblas_set_matrix_trsmILi128ELi8E19rocblas_complex_numIfEPKPS1_EvlliT2_llT1_li.num_named_barrier, 0
	.set _ZL23rocblas_set_matrix_trsmILi128ELi8E19rocblas_complex_numIfEPKPS1_EvlliT2_llT1_li.private_seg_size, 0
	.set _ZL23rocblas_set_matrix_trsmILi128ELi8E19rocblas_complex_numIfEPKPS1_EvlliT2_llT1_li.uses_vcc, 1
	.set _ZL23rocblas_set_matrix_trsmILi128ELi8E19rocblas_complex_numIfEPKPS1_EvlliT2_llT1_li.uses_flat_scratch, 0
	.set _ZL23rocblas_set_matrix_trsmILi128ELi8E19rocblas_complex_numIfEPKPS1_EvlliT2_llT1_li.has_dyn_sized_stack, 0
	.set _ZL23rocblas_set_matrix_trsmILi128ELi8E19rocblas_complex_numIfEPKPS1_EvlliT2_llT1_li.has_recursion, 0
	.set _ZL23rocblas_set_matrix_trsmILi128ELi8E19rocblas_complex_numIfEPKPS1_EvlliT2_llT1_li.has_indirect_call, 0
	.section	.AMDGPU.csdata,"",@progbits
; Kernel info:
; codeLenInByte = 336
; TotalNumSgprs: 18
; NumVgprs: 8
; ScratchSize: 0
; MemoryBound: 0
; FloatMode: 240
; IeeeMode: 1
; LDSByteSize: 0 bytes/workgroup (compile time only)
; SGPRBlocks: 0
; VGPRBlocks: 0
; NumSGPRsForWavesPerEU: 18
; NumVGPRsForWavesPerEU: 8
; Occupancy: 16
; WaveLimiterHint : 1
; COMPUTE_PGM_RSRC2:SCRATCH_EN: 0
; COMPUTE_PGM_RSRC2:USER_SGPR: 2
; COMPUTE_PGM_RSRC2:TRAP_HANDLER: 0
; COMPUTE_PGM_RSRC2:TGID_X_EN: 1
; COMPUTE_PGM_RSRC2:TGID_Y_EN: 1
; COMPUTE_PGM_RSRC2:TGID_Z_EN: 1
; COMPUTE_PGM_RSRC2:TIDIG_COMP_CNT: 1
	.section	.text._ZL38rocblas_trsm_small_left_device_sharedBILi4ELi4ELb0E19rocblas_complex_numIfES1_PKPKS1_PKPS1_Ev13rocblas_fill_18rocblas_operation_17rocblas_diagonal_iiT3_T4_lilT5_lili,"axG",@progbits,_ZL38rocblas_trsm_small_left_device_sharedBILi4ELi4ELb0E19rocblas_complex_numIfES1_PKPKS1_PKPS1_Ev13rocblas_fill_18rocblas_operation_17rocblas_diagonal_iiT3_T4_lilT5_lili,comdat
	.globl	_ZL38rocblas_trsm_small_left_device_sharedBILi4ELi4ELb0E19rocblas_complex_numIfES1_PKPKS1_PKPS1_Ev13rocblas_fill_18rocblas_operation_17rocblas_diagonal_iiT3_T4_lilT5_lili ; -- Begin function _ZL38rocblas_trsm_small_left_device_sharedBILi4ELi4ELb0E19rocblas_complex_numIfES1_PKPKS1_PKPS1_Ev13rocblas_fill_18rocblas_operation_17rocblas_diagonal_iiT3_T4_lilT5_lili
	.p2align	8
	.type	_ZL38rocblas_trsm_small_left_device_sharedBILi4ELi4ELb0E19rocblas_complex_numIfES1_PKPKS1_PKPS1_Ev13rocblas_fill_18rocblas_operation_17rocblas_diagonal_iiT3_T4_lilT5_lili,@function
_ZL38rocblas_trsm_small_left_device_sharedBILi4ELi4ELb0E19rocblas_complex_numIfES1_PKPKS1_PKPS1_Ev13rocblas_fill_18rocblas_operation_17rocblas_diagonal_iiT3_T4_lilT5_lili: ; @_ZL38rocblas_trsm_small_left_device_sharedBILi4ELi4ELb0E19rocblas_complex_numIfES1_PKPKS1_PKPS1_Ev13rocblas_fill_18rocblas_operation_17rocblas_diagonal_iiT3_T4_lilT5_lili
; %bb.0:
	s_load_b32 s20, s[2:3], 0x60
	s_lshr_b32 s16, ttmp7, 16
	s_wait_kmcnt 0x0
	s_cmp_ge_u32 s16, s20
	s_cbranch_scc1 .LBB133_66
; %bb.1:
	s_clause 0x1
	s_load_b32 s18, s[2:3], 0x30
	s_load_b32 s26, s[2:3], 0x50
	s_load_b64 s[0:1], s[0:1], 0x4
	s_clause 0x2
	s_load_b128 s[12:15], s[2:3], 0x4
	s_load_b32 s17, s[2:3], 0x68
	s_load_b128 s[4:7], s[2:3], 0x20
	v_bfe_u32 v2, v0, 10, 10
	s_clause 0x1
	s_load_b128 s[8:11], s[2:3], 0x40
	s_load_b64 s[2:3], s[2:3], 0x14
	v_and_b32_e32 v1, 0x3ff, v0
	v_bfe_u32 v0, v0, 20, 10
	s_delay_alu instid0(VALU_DEP_2)
	v_lshlrev_b32_e32 v10, 3, v1
	s_wait_kmcnt 0x0
	s_ashr_i32 s19, s18, 31
	s_ashr_i32 s27, s26, 31
	s_lshr_b32 s0, s0, 16
	s_cmp_lg_u32 s12, 0x71
	v_mul_u32_u24_e32 v2, s1, v2
	s_mul_i32 s0, s0, s1
	s_cselect_b32 s1, -1, 0
	s_min_i32 s21, s14, 4
	s_wait_alu 0xfffe
	s_lshl_b32 s28, ttmp9, 2
	s_add_co_i32 s17, s17, -1
	s_add_co_i32 s22, s21, -1
	s_sub_co_i32 s15, s15, s28
	s_cmp_ge_u32 ttmp9, s17
	v_mul_u32_u24_e32 v3, s0, v1
	s_cselect_b32 s15, s15, 4
	s_ashr_i32 s29, s28, 31
	s_cmp_lg_u32 s13, 0x84
	v_cmp_gt_i32_e32 vcc_lo, s15, v1
	s_cselect_b32 s23, -1, 0
	s_cmp_gt_i32 s14, 0
	v_add3_u32 v0, v3, v2, v0
	s_cselect_b32 s17, -1, 0
	s_cmp_lg_u32 s12, 0x6f
	s_mul_u64 s[30:31], s[26:27], s[28:29]
	s_cselect_b32 s24, -1, 0
	s_lshl_b64 s[14:15], s[28:29], 3
	v_lshl_add_u32 v11, v0, 5, 0x100
	s_wait_alu 0xfffe
	v_or_b32_e32 v0, s14, v10
	s_lshl_b64 s[28:29], s[6:7], 3
	s_lshl_b64 s[6:7], s[10:11], 3
	s_lshl_b32 s12, s21, 5
	s_mov_b32 s13, 0
	v_mul_lo_u32 v7, v0, s27
	v_mad_co_u64_u32 v[4:5], null, v0, s26, s[6:7]
	v_add_co_u32 v0, s10, s28, v10
	s_delay_alu instid0(VALU_DEP_1)
	v_add_co_ci_u32_e64 v13, null, s29, 0, s10
	s_mul_i32 s10, s15, s26
	v_or_b32_e32 v14, 4, v0
	v_mov_b32_e32 v0, 1.0
	v_mad_co_i64_i32 v[2:3], null, s26, v1, 0
	v_lshlrev_b32_e32 v6, 5, v1
	v_cmp_gt_i32_e64 s0, s21, v1
	v_dual_mov_b32 v1, 0 :: v_dual_add_nc_u32 v12, 0x80, v10
	s_wait_alu 0xfffe
	v_add3_u32 v15, s10, v5, v7
	v_or_b32_e32 v16, 4, v4
	v_lshlrev_b64_e32 v[2:3], 3, v[2:3]
	v_add_nc_u32_e32 v17, v10, v6
	s_and_b32 s25, vcc_lo, s17
	s_lshl_b64 s[10:11], s[18:19], 3
	s_sub_co_i32 s26, s12, 32
	s_lshl_b64 s[14:15], s[30:31], 3
	s_branch .LBB133_3
.LBB133_2:                              ;   in Loop: Header=BB133_3 Depth=1
	s_or_b32 exec_lo, exec_lo, s12
	s_add_co_i32 s16, s16, 0x10000
	s_wait_alu 0xfffe
	s_cmp_lt_u32 s16, s20
	s_cbranch_scc0 .LBB133_66
.LBB133_3:                              ; =>This Loop Header: Depth=1
                                        ;     Child Loop BB133_6 Depth 2
                                        ;     Child Loop BB133_20 Depth 2
	;; [unrolled: 1-line block ×3, first 2 shown]
                                        ;       Child Loop BB133_27 Depth 3
                                        ;         Child Loop BB133_28 Depth 4
                                        ;         Child Loop BB133_31 Depth 4
                                        ;           Child Loop BB133_32 Depth 5
                                        ;         Child Loop BB133_36 Depth 4
                                        ;           Child Loop BB133_38 Depth 5
                                        ;     Child Loop BB133_46 Depth 2
                                        ;       Child Loop BB133_49 Depth 3
                                        ;         Child Loop BB133_50 Depth 4
                                        ;         Child Loop BB133_52 Depth 4
                                        ;           Child Loop BB133_53 Depth 5
                                        ;         Child Loop BB133_57 Depth 4
                                        ;           Child Loop BB133_59 Depth 5
                                        ;     Child Loop BB133_65 Depth 2
	s_mov_b32 s17, s13
	s_wait_alu 0xfffe
	s_lshl_b64 s[18:19], s[16:17], 3
	s_delay_alu instid0(SALU_CYCLE_1)
	s_add_nc_u64 s[28:29], s[8:9], s[18:19]
	global_load_b64 v[4:5], v1, s[28:29]
	s_and_saveexec_b32 s12, s0
	s_cbranch_execz .LBB133_18
; %bb.4:                                ;   in Loop: Header=BB133_3 Depth=1
	s_add_nc_u64 s[18:19], s[4:5], s[18:19]
	v_mov_b32_e32 v18, v10
	global_load_b64 v[6:7], v1, s[18:19]
	s_mov_b32 s17, s21
	s_wait_loadcnt 0x0
	v_add_co_u32 v6, vcc_lo, v6, v14
	s_wait_alu 0xfffd
	v_add_co_ci_u32_e64 v7, null, v7, v13, vcc_lo
	s_branch .LBB133_6
.LBB133_5:                              ;   in Loop: Header=BB133_6 Depth=2
	flat_load_b32 v8, v[6:7] offset:-4
	v_add_co_u32 v6, vcc_lo, v6, s10
	s_wait_alu 0xfffd
	v_add_co_ci_u32_e64 v7, null, s11, v7, vcc_lo
	s_add_co_i32 s17, s17, -1
	s_wait_alu 0xfffe
	s_cmp_eq_u32 s17, 0
	s_wait_loadcnt_dscnt 0x0
	ds_store_b64 v18, v[8:9]
	v_add_nc_u32_e32 v18, 32, v18
	s_cbranch_scc1 .LBB133_10
.LBB133_6:                              ;   Parent Loop BB133_3 Depth=1
                                        ; =>  This Inner Loop Header: Depth=2
	s_and_b32 vcc_lo, exec_lo, s1
	s_mov_b32 s18, -1
                                        ; implicit-def: $vgpr9
	s_wait_alu 0xfffe
	s_cbranch_vccz .LBB133_8
; %bb.7:                                ;   in Loop: Header=BB133_6 Depth=2
	flat_load_b32 v9, v[6:7]
	s_mov_b32 s18, 0
.LBB133_8:                              ;   in Loop: Header=BB133_6 Depth=2
	s_delay_alu instid0(SALU_CYCLE_1)
	s_and_not1_b32 vcc_lo, exec_lo, s18
	s_wait_alu 0xfffe
	s_cbranch_vccnz .LBB133_5
; %bb.9:                                ;   in Loop: Header=BB133_6 Depth=2
	flat_load_b32 v8, v[6:7]
	s_wait_loadcnt_dscnt 0x0
	v_xor_b32_e32 v9, 0x80000000, v8
	s_branch .LBB133_5
.LBB133_10:                             ;   in Loop: Header=BB133_3 Depth=1
	s_and_b32 vcc_lo, exec_lo, s23
	s_mov_b32 s17, -1
	s_wait_alu 0xfffe
	s_cbranch_vccz .LBB133_16
; %bb.11:                               ;   in Loop: Header=BB133_3 Depth=1
	ds_load_b64 v[6:7], v17
                                        ; implicit-def: $vgpr8
	s_wait_dscnt 0x0
	v_cmp_ngt_f32_e64 s17, |v6|, |v7|
	s_and_saveexec_b32 s18, s17
	s_delay_alu instid0(SALU_CYCLE_1)
	s_xor_b32 s17, exec_lo, s18
	s_cbranch_execz .LBB133_13
; %bb.12:                               ;   in Loop: Header=BB133_3 Depth=1
	v_div_scale_f32 v8, null, v7, v7, v6
	v_div_scale_f32 v19, vcc_lo, v6, v7, v6
	s_delay_alu instid0(VALU_DEP_2) | instskip(NEXT) | instid1(TRANS32_DEP_1)
	v_rcp_f32_e32 v9, v8
	v_fma_f32 v18, -v8, v9, 1.0
	s_delay_alu instid0(VALU_DEP_1) | instskip(NEXT) | instid1(VALU_DEP_1)
	v_fmac_f32_e32 v9, v18, v9
	v_mul_f32_e32 v18, v19, v9
	s_delay_alu instid0(VALU_DEP_1) | instskip(NEXT) | instid1(VALU_DEP_1)
	v_fma_f32 v20, -v8, v18, v19
	v_fmac_f32_e32 v18, v20, v9
	s_delay_alu instid0(VALU_DEP_1) | instskip(SKIP_1) | instid1(VALU_DEP_1)
	v_fma_f32 v8, -v8, v18, v19
	s_wait_alu 0xfffd
	v_div_fmas_f32 v8, v8, v9, v18
	s_delay_alu instid0(VALU_DEP_1) | instskip(NEXT) | instid1(VALU_DEP_1)
	v_div_fixup_f32 v8, v8, v7, v6
	v_fmac_f32_e32 v7, v6, v8
	s_delay_alu instid0(VALU_DEP_1) | instskip(SKIP_1) | instid1(VALU_DEP_2)
	v_div_scale_f32 v6, null, v7, v7, 1.0
	v_div_scale_f32 v19, vcc_lo, 1.0, v7, 1.0
	v_rcp_f32_e32 v9, v6
	s_delay_alu instid0(TRANS32_DEP_1) | instskip(NEXT) | instid1(VALU_DEP_1)
	v_fma_f32 v18, -v6, v9, 1.0
	v_fmac_f32_e32 v9, v18, v9
	s_delay_alu instid0(VALU_DEP_1) | instskip(NEXT) | instid1(VALU_DEP_1)
	v_mul_f32_e32 v18, v19, v9
	v_fma_f32 v20, -v6, v18, v19
	s_delay_alu instid0(VALU_DEP_1) | instskip(NEXT) | instid1(VALU_DEP_1)
	v_fmac_f32_e32 v18, v20, v9
	v_fma_f32 v6, -v6, v18, v19
	s_wait_alu 0xfffd
	s_delay_alu instid0(VALU_DEP_1) | instskip(SKIP_1) | instid1(VALU_DEP_2)
	v_div_fmas_f32 v6, v6, v9, v18
	v_add_f32_e32 v9, 0, v8
	v_div_fixup_f32 v6, v6, v7, 1.0
	v_fma_f32 v7, v8, 0, -1.0
	s_delay_alu instid0(VALU_DEP_2) | instskip(NEXT) | instid1(VALU_DEP_2)
	v_mul_f32_e32 v8, v9, v6
	v_mul_f32_e32 v9, v7, v6
                                        ; implicit-def: $vgpr6_vgpr7
.LBB133_13:                             ;   in Loop: Header=BB133_3 Depth=1
	s_wait_alu 0xfffe
	s_and_not1_saveexec_b32 s17, s17
	s_cbranch_execz .LBB133_15
; %bb.14:                               ;   in Loop: Header=BB133_3 Depth=1
	v_div_scale_f32 v8, null, v6, v6, v7
	v_div_scale_f32 v19, vcc_lo, v7, v6, v7
	s_delay_alu instid0(VALU_DEP_2) | instskip(NEXT) | instid1(TRANS32_DEP_1)
	v_rcp_f32_e32 v9, v8
	v_fma_f32 v18, -v8, v9, 1.0
	s_delay_alu instid0(VALU_DEP_1) | instskip(NEXT) | instid1(VALU_DEP_1)
	v_fmac_f32_e32 v9, v18, v9
	v_mul_f32_e32 v18, v19, v9
	s_delay_alu instid0(VALU_DEP_1) | instskip(NEXT) | instid1(VALU_DEP_1)
	v_fma_f32 v20, -v8, v18, v19
	v_fmac_f32_e32 v18, v20, v9
	s_delay_alu instid0(VALU_DEP_1) | instskip(SKIP_1) | instid1(VALU_DEP_1)
	v_fma_f32 v8, -v8, v18, v19
	s_wait_alu 0xfffd
	v_div_fmas_f32 v8, v8, v9, v18
	s_delay_alu instid0(VALU_DEP_1) | instskip(NEXT) | instid1(VALU_DEP_1)
	v_div_fixup_f32 v9, v8, v6, v7
	v_fmac_f32_e32 v6, v7, v9
	s_delay_alu instid0(VALU_DEP_1) | instskip(SKIP_1) | instid1(VALU_DEP_2)
	v_div_scale_f32 v7, null, v6, v6, 1.0
	v_div_scale_f32 v19, vcc_lo, 1.0, v6, 1.0
	v_rcp_f32_e32 v8, v7
	s_delay_alu instid0(TRANS32_DEP_1) | instskip(NEXT) | instid1(VALU_DEP_1)
	v_fma_f32 v18, -v7, v8, 1.0
	v_fmac_f32_e32 v8, v18, v8
	s_delay_alu instid0(VALU_DEP_1) | instskip(NEXT) | instid1(VALU_DEP_1)
	v_mul_f32_e32 v18, v19, v8
	v_fma_f32 v20, -v7, v18, v19
	s_delay_alu instid0(VALU_DEP_1) | instskip(NEXT) | instid1(VALU_DEP_1)
	v_fmac_f32_e32 v18, v20, v8
	v_fma_f32 v7, -v7, v18, v19
	s_wait_alu 0xfffd
	s_delay_alu instid0(VALU_DEP_1) | instskip(SKIP_1) | instid1(VALU_DEP_2)
	v_div_fmas_f32 v7, v7, v8, v18
	v_fma_f32 v8, v9, 0, 1.0
	v_div_fixup_f32 v6, v7, v6, 1.0
	s_delay_alu instid0(VALU_DEP_1)
	v_mul_f32_e32 v8, v8, v6
	v_mul_f32_e64 v9, -v9, v6
.LBB133_15:                             ;   in Loop: Header=BB133_3 Depth=1
	s_wait_alu 0xfffe
	s_or_b32 exec_lo, exec_lo, s17
	s_mov_b32 s17, 0
	ds_store_b64 v17, v[8:9]
.LBB133_16:                             ;   in Loop: Header=BB133_3 Depth=1
	s_wait_alu 0xfffe
	s_and_b32 vcc_lo, exec_lo, s17
	s_wait_alu 0xfffe
	s_cbranch_vccz .LBB133_18
; %bb.17:                               ;   in Loop: Header=BB133_3 Depth=1
	ds_store_b64 v17, v[0:1]
.LBB133_18:                             ;   in Loop: Header=BB133_3 Depth=1
	s_or_b32 exec_lo, exec_lo, s12
	s_and_saveexec_b32 s12, s25
	s_cbranch_execz .LBB133_21
; %bb.19:                               ;   in Loop: Header=BB133_3 Depth=1
	s_wait_loadcnt 0x0
	v_add_co_u32 v6, vcc_lo, v4, v16
	s_wait_alu 0xfffd
	v_add_co_ci_u32_e64 v7, null, v5, v15, vcc_lo
	v_mov_b32_e32 v8, v12
	s_mov_b32 s17, s21
.LBB133_20:                             ;   Parent Loop BB133_3 Depth=1
                                        ; =>  This Inner Loop Header: Depth=2
	flat_load_b64 v[18:19], v[6:7] offset:-4
	v_add_co_u32 v6, vcc_lo, v6, 8
	s_wait_alu 0xfffd
	v_add_co_ci_u32_e64 v7, null, 0, v7, vcc_lo
	s_wait_alu 0xfffe
	s_add_co_i32 s17, s17, -1
	s_wait_alu 0xfffe
	s_cmp_lg_u32 s17, 0
	s_wait_loadcnt_dscnt 0x0
	v_mul_f32_e32 v20, s2, v19
	s_delay_alu instid0(VALU_DEP_1) | instskip(NEXT) | instid1(VALU_DEP_1)
	v_dual_mul_f32 v9, s3, v19 :: v_dual_fmac_f32 v20, s3, v18
	v_fma_f32 v19, s2, v18, -v9
	ds_store_b64 v8, v[19:20]
	v_add_nc_u32_e32 v8, 32, v8
	s_cbranch_scc1 .LBB133_20
.LBB133_21:                             ;   in Loop: Header=BB133_3 Depth=1
	s_or_b32 exec_lo, exec_lo, s12
	s_delay_alu instid0(SALU_CYCLE_1)
	s_and_not1_b32 vcc_lo, exec_lo, s24
	s_mov_b32 s12, -1
	; wave barrier
	s_wait_loadcnt_dscnt 0x0
	global_inv scope:SCOPE_SE
	s_wait_alu 0xfffe
	s_cbranch_vccnz .LBB133_43
; %bb.22:                               ;   in Loop: Header=BB133_3 Depth=1
	s_mov_b32 s12, 0
	s_delay_alu instid0(SALU_CYCLE_1)
	s_mov_b32 s17, s12
	s_branch .LBB133_24
.LBB133_23:                             ;   in Loop: Header=BB133_24 Depth=2
	s_cmp_lt_i32 s17, s21
	s_cselect_b32 s18, -1, 0
	s_add_co_i32 s19, s12, 1
	s_cmp_lt_u32 s12, 2
	s_cselect_b32 s12, -1, 0
	s_delay_alu instid0(SALU_CYCLE_1) | instskip(NEXT) | instid1(SALU_CYCLE_1)
	s_and_b32 s12, s18, s12
	s_and_b32 vcc_lo, exec_lo, s12
	s_mov_b32 s12, s19
	s_wait_alu 0xfffe
	s_cbranch_vccz .LBB133_42
.LBB133_24:                             ;   Parent Loop BB133_3 Depth=1
                                        ; =>  This Loop Header: Depth=2
                                        ;       Child Loop BB133_27 Depth 3
                                        ;         Child Loop BB133_28 Depth 4
                                        ;         Child Loop BB133_31 Depth 4
                                        ;           Child Loop BB133_32 Depth 5
                                        ;         Child Loop BB133_36 Depth 4
                                        ;           Child Loop BB133_38 Depth 5
	s_getpc_b64 s[18:19]
	s_sext_i32_i16 s19, s19
	s_add_co_u32 s18, s18, __const._ZL38rocblas_trsm_small_left_device_sharedBILi4ELi4ELb0E19rocblas_complex_numIfES1_PKPKS1_PKPS1_Ev13rocblas_fill_18rocblas_operation_17rocblas_diagonal_iiT3_T4_lilT5_lili.step_sizes@rel32@lo+8
	s_add_co_ci_u32 s19, s19, __const._ZL38rocblas_trsm_small_left_device_sharedBILi4ELi4ELb0E19rocblas_complex_numIfES1_PKPKS1_PKPS1_Ev13rocblas_fill_18rocblas_operation_17rocblas_diagonal_iiT3_T4_lilT5_lili.step_sizes@rel32@hi+16
	s_lshl_b64 s[28:29], s[12:13], 2
	s_wait_alu 0xfffe
	s_add_nc_u64 s[18:19], s[18:19], s[28:29]
	s_load_b32 s18, s[18:19], 0x0
	s_wait_kmcnt 0x0
	s_add_co_i32 s19, s18, -1
	s_delay_alu instid0(SALU_CYCLE_1)
	s_add_co_i32 s27, s19, s17
	s_wait_alu 0xfffe
	s_cmp_ge_i32 s27, s21
	s_cbranch_scc1 .LBB133_23
; %bb.25:                               ;   in Loop: Header=BB133_24 Depth=2
	s_lshl_b32 s27, s17, 5
	s_max_i32 s28, s18, 1
	s_wait_alu 0xfffe
	v_add_nc_u32_e32 v8, s27, v12
	s_lshl_b32 s29, s18, 5
	s_mul_i32 s30, s17, 40
	s_mul_i32 s31, s18, 40
	s_branch .LBB133_27
.LBB133_26:                             ;   in Loop: Header=BB133_27 Depth=3
	s_add_co_i32 s17, s17, s18
	v_add_nc_u32_e32 v8, s29, v8
	s_wait_alu 0xfffe
	s_add_co_i32 s33, s19, s17
	s_add_co_i32 s27, s27, s29
	;; [unrolled: 1-line block ×3, first 2 shown]
	s_wait_alu 0xfffe
	s_cmp_ge_i32 s33, s21
	s_cbranch_scc1 .LBB133_23
.LBB133_27:                             ;   Parent Loop BB133_3 Depth=1
                                        ;     Parent Loop BB133_24 Depth=2
                                        ; =>    This Loop Header: Depth=3
                                        ;         Child Loop BB133_28 Depth 4
                                        ;         Child Loop BB133_31 Depth 4
                                        ;           Child Loop BB133_32 Depth 5
                                        ;         Child Loop BB133_36 Depth 4
                                        ;           Child Loop BB133_38 Depth 5
	v_dual_mov_b32 v6, v11 :: v_dual_mov_b32 v7, v8
	s_mov_b32 s33, s28
.LBB133_28:                             ;   Parent Loop BB133_3 Depth=1
                                        ;     Parent Loop BB133_24 Depth=2
                                        ;       Parent Loop BB133_27 Depth=3
                                        ; =>      This Inner Loop Header: Depth=4
	ds_load_b64 v[18:19], v7
	v_add_nc_u32_e32 v7, 32, v7
	s_wait_alu 0xfffe
	s_add_co_i32 s33, s33, -1
	s_wait_alu 0xfffe
	s_cmp_eq_u32 s33, 0
	s_wait_dscnt 0x0
	ds_store_b64 v6, v[18:19]
	v_add_nc_u32_e32 v6, 8, v6
	s_cbranch_scc0 .LBB133_28
; %bb.29:                               ;   in Loop: Header=BB133_27 Depth=3
	s_cmp_lt_i32 s17, 1
	s_cbranch_scc1 .LBB133_34
; %bb.30:                               ;   in Loop: Header=BB133_27 Depth=3
	s_mov_b32 s33, 0
	s_mov_b32 s34, s27
.LBB133_31:                             ;   Parent Loop BB133_3 Depth=1
                                        ;     Parent Loop BB133_24 Depth=2
                                        ;       Parent Loop BB133_27 Depth=3
                                        ; =>      This Loop Header: Depth=4
                                        ;           Child Loop BB133_32 Depth 5
	s_wait_alu 0xfffe
	v_lshl_add_u32 v6, s33, 5, v12
	v_mov_b32_e32 v9, v11
	s_mov_b32 s35, s34
	s_mov_b32 s36, s28
	ds_load_b64 v[6:7], v6
.LBB133_32:                             ;   Parent Loop BB133_3 Depth=1
                                        ;     Parent Loop BB133_24 Depth=2
                                        ;       Parent Loop BB133_27 Depth=3
                                        ;         Parent Loop BB133_31 Depth=4
                                        ; =>        This Inner Loop Header: Depth=5
	s_wait_alu 0xfffe
	v_mov_b32_e32 v18, s35
	s_add_co_i32 s36, s36, -1
	s_add_co_i32 s35, s35, 32
	s_wait_alu 0xfffe
	s_cmp_eq_u32 s36, 0
	ds_load_b64 v[18:19], v18
	ds_load_b64 v[20:21], v9
	s_wait_dscnt 0x1
	v_mul_f32_e32 v22, v19, v7
	v_mul_f32_e32 v19, v19, v6
	s_delay_alu instid0(VALU_DEP_2) | instskip(SKIP_1) | instid1(VALU_DEP_1)
	v_fma_f32 v22, v18, v6, -v22
	s_wait_dscnt 0x0
	v_dual_fmac_f32 v19, v18, v7 :: v_dual_sub_f32 v18, v20, v22
	s_delay_alu instid0(VALU_DEP_1)
	v_sub_f32_e32 v19, v21, v19
	ds_store_b64 v9, v[18:19]
	v_add_nc_u32_e32 v9, 8, v9
	s_cbranch_scc0 .LBB133_32
; %bb.33:                               ;   in Loop: Header=BB133_31 Depth=4
	s_add_co_i32 s33, s33, 1
	s_add_co_i32 s34, s34, 8
	s_wait_alu 0xfffe
	s_cmp_eq_u32 s33, s17
	s_cbranch_scc0 .LBB133_31
.LBB133_34:                             ;   in Loop: Header=BB133_27 Depth=3
	s_lshl_b32 s33, s17, 5
	s_mov_b32 s34, 0
	s_mov_b32 s35, s30
	s_branch .LBB133_36
.LBB133_35:                             ;   in Loop: Header=BB133_36 Depth=4
	s_wait_alu 0xfffe
	s_mul_i32 s37, s37, 40
	s_add_co_i32 s34, s34, 1
	s_wait_alu 0xfffe
	v_mov_b32_e32 v18, s37
	s_add_co_i32 s35, s35, 32
	s_cmp_eq_u32 s34, s28
	ds_load_b64 v[18:19], v18
	s_wait_dscnt 0x0
	v_mul_f32_e32 v20, v19, v7
	v_mul_f32_e32 v21, v18, v7
	s_delay_alu instid0(VALU_DEP_2) | instskip(NEXT) | instid1(VALU_DEP_2)
	v_fma_f32 v20, v18, v6, -v20
	v_dual_fmac_f32 v21, v19, v6 :: v_dual_add_nc_u32 v6, s36, v12
	ds_store_b64 v9, v[20:21]
	ds_store_b64 v6, v[20:21]
	s_cbranch_scc1 .LBB133_26
.LBB133_36:                             ;   Parent Loop BB133_3 Depth=1
                                        ;     Parent Loop BB133_24 Depth=2
                                        ;       Parent Loop BB133_27 Depth=3
                                        ; =>      This Loop Header: Depth=4
                                        ;           Child Loop BB133_38 Depth 5
	s_wait_alu 0xfffe
	v_lshl_add_u32 v9, s34, 3, v11
	s_cmp_lg_u32 s34, 0
	s_cbranch_scc0 .LBB133_40
; %bb.37:                               ;   in Loop: Header=BB133_36 Depth=4
	ds_load_b64 v[6:7], v9
	v_mov_b32_e32 v18, v11
	s_add_co_i32 s37, s34, s17
	s_mov_b32 s38, s35
	s_wait_alu 0xfffe
	s_lshl_b32 s36, s37, 5
	s_mov_b32 s39, s34
.LBB133_38:                             ;   Parent Loop BB133_3 Depth=1
                                        ;     Parent Loop BB133_24 Depth=2
                                        ;       Parent Loop BB133_27 Depth=3
                                        ;         Parent Loop BB133_36 Depth=4
                                        ; =>        This Inner Loop Header: Depth=5
	v_mov_b32_e32 v21, s38
	s_wait_alu 0xfffe
	s_add_co_i32 s39, s39, -1
	s_add_co_i32 s38, s38, 8
	s_wait_alu 0xfffe
	s_cmp_eq_u32 s39, 0
	ds_load_b64 v[19:20], v18
	ds_load_b64 v[21:22], v21
	s_wait_dscnt 0x0
	v_dual_mul_f32 v23, v22, v20 :: v_dual_add_nc_u32 v18, 8, v18
	v_mul_f32_e32 v20, v21, v20
	s_delay_alu instid0(VALU_DEP_2) | instskip(NEXT) | instid1(VALU_DEP_2)
	v_fma_f32 v21, v21, v19, -v23
	v_fmac_f32_e32 v20, v22, v19
	s_delay_alu instid0(VALU_DEP_1)
	v_dual_sub_f32 v6, v6, v21 :: v_dual_sub_f32 v7, v7, v20
	ds_store_b64 v9, v[6:7]
	s_cbranch_scc0 .LBB133_38
; %bb.39:                               ;   in Loop: Header=BB133_36 Depth=4
	s_branch .LBB133_35
.LBB133_40:                             ;   in Loop: Header=BB133_36 Depth=4
                                        ; implicit-def: $vgpr6
                                        ; implicit-def: $sgpr37
                                        ; implicit-def: $sgpr36
	s_cbranch_execz .LBB133_35
; %bb.41:                               ;   in Loop: Header=BB133_36 Depth=4
	ds_load_b64 v[6:7], v11
	s_mov_b32 s36, s33
	s_mov_b32 s37, s17
	s_branch .LBB133_35
.LBB133_42:                             ;   in Loop: Header=BB133_3 Depth=1
	s_mov_b32 s12, 0
.LBB133_43:                             ;   in Loop: Header=BB133_3 Depth=1
	s_delay_alu instid0(SALU_CYCLE_1)
	s_and_b32 vcc_lo, exec_lo, s12
	s_wait_alu 0xfffe
	s_cbranch_vccz .LBB133_63
; %bb.44:                               ;   in Loop: Header=BB133_3 Depth=1
	s_mov_b32 s12, 0
	s_mov_b32 s17, s22
	s_branch .LBB133_46
.LBB133_45:                             ;   in Loop: Header=BB133_46 Depth=2
	s_cmp_gt_i32 s17, -1
	s_cselect_b32 s18, -1, 0
	s_add_co_i32 s19, s12, 1
	s_cmp_lt_u32 s12, 2
	s_cselect_b32 s12, -1, 0
	s_delay_alu instid0(SALU_CYCLE_1) | instskip(NEXT) | instid1(SALU_CYCLE_1)
	s_and_b32 s12, s18, s12
	s_and_not1_b32 vcc_lo, exec_lo, s12
	s_mov_b32 s12, s19
	s_wait_alu 0xfffe
	s_cbranch_vccnz .LBB133_63
.LBB133_46:                             ;   Parent Loop BB133_3 Depth=1
                                        ; =>  This Loop Header: Depth=2
                                        ;       Child Loop BB133_49 Depth 3
                                        ;         Child Loop BB133_50 Depth 4
                                        ;         Child Loop BB133_52 Depth 4
                                        ;           Child Loop BB133_53 Depth 5
                                        ;         Child Loop BB133_57 Depth 4
                                        ;           Child Loop BB133_59 Depth 5
	s_getpc_b64 s[18:19]
	s_sext_i32_i16 s19, s19
	s_add_co_u32 s18, s18, __const._ZL38rocblas_trsm_small_left_device_sharedBILi4ELi4ELb0E19rocblas_complex_numIfES1_PKPKS1_PKPS1_Ev13rocblas_fill_18rocblas_operation_17rocblas_diagonal_iiT3_T4_lilT5_lili.step_sizes@rel32@lo+8
	s_add_co_ci_u32 s19, s19, __const._ZL38rocblas_trsm_small_left_device_sharedBILi4ELi4ELb0E19rocblas_complex_numIfES1_PKPKS1_PKPS1_Ev13rocblas_fill_18rocblas_operation_17rocblas_diagonal_iiT3_T4_lilT5_lili.step_sizes@rel32@hi+16
	s_lshl_b64 s[28:29], s[12:13], 2
	s_wait_alu 0xfffe
	s_add_nc_u64 s[18:19], s[18:19], s[28:29]
	s_load_b32 s18, s[18:19], 0x0
	s_wait_kmcnt 0x0
	s_add_co_i32 s19, s18, -1
	s_delay_alu instid0(SALU_CYCLE_1)
	s_cmp_lt_i32 s17, s19
	s_cbranch_scc1 .LBB133_45
; %bb.47:                               ;   in Loop: Header=BB133_46 Depth=2
	v_lshl_add_u32 v8, s17, 5, v12
	s_lshl_b32 s28, s18, 5
	s_lshl_b32 s29, s17, 3
	s_lshl_b32 s30, s18, 3
	s_max_i32 s27, s18, 1
	s_wait_alu 0xfffe
	s_sub_co_i32 s28, 0, s28
	s_add_co_i32 s29, s26, s29
	s_sub_co_i32 s30, 0, s30
	s_mul_i32 s31, s17, 40
	s_mul_i32 s33, s18, 0xffffffd8
	s_branch .LBB133_49
.LBB133_48:                             ;   in Loop: Header=BB133_49 Depth=3
	v_add_nc_u32_e32 v8, s28, v8
	s_sub_co_i32 s17, s17, s18
	s_add_co_i32 s29, s29, s30
	s_add_co_i32 s31, s31, s33
	s_wait_alu 0xfffe
	s_cmp_lt_i32 s17, s19
	s_cbranch_scc1 .LBB133_45
.LBB133_49:                             ;   Parent Loop BB133_3 Depth=1
                                        ;     Parent Loop BB133_46 Depth=2
                                        ; =>    This Loop Header: Depth=3
                                        ;         Child Loop BB133_50 Depth 4
                                        ;         Child Loop BB133_52 Depth 4
                                        ;           Child Loop BB133_53 Depth 5
                                        ;         Child Loop BB133_57 Depth 4
                                        ;           Child Loop BB133_59 Depth 5
	v_dual_mov_b32 v6, v11 :: v_dual_mov_b32 v7, v8
	s_mov_b32 s34, s27
.LBB133_50:                             ;   Parent Loop BB133_3 Depth=1
                                        ;     Parent Loop BB133_46 Depth=2
                                        ;       Parent Loop BB133_49 Depth=3
                                        ; =>      This Inner Loop Header: Depth=4
	ds_load_b64 v[18:19], v7
	v_subrev_nc_u32_e32 v7, 32, v7
	s_wait_alu 0xfffe
	s_add_co_i32 s34, s34, -1
	s_wait_alu 0xfffe
	s_cmp_eq_u32 s34, 0
	s_wait_dscnt 0x0
	ds_store_b64 v6, v[18:19]
	v_add_nc_u32_e32 v6, 8, v6
	s_cbranch_scc0 .LBB133_50
; %bb.51:                               ;   in Loop: Header=BB133_49 Depth=3
	s_cmp_le_i32 s22, s17
	s_mov_b32 s34, s29
	s_mov_b32 s35, s22
	s_cbranch_scc1 .LBB133_55
.LBB133_52:                             ;   Parent Loop BB133_3 Depth=1
                                        ;     Parent Loop BB133_46 Depth=2
                                        ;       Parent Loop BB133_49 Depth=3
                                        ; =>      This Loop Header: Depth=4
                                        ;           Child Loop BB133_53 Depth 5
	s_wait_alu 0xfffe
	v_lshl_add_u32 v6, s35, 5, v12
	v_mov_b32_e32 v9, v11
	s_mov_b32 s36, s34
	s_mov_b32 s37, s27
	ds_load_b64 v[6:7], v6
.LBB133_53:                             ;   Parent Loop BB133_3 Depth=1
                                        ;     Parent Loop BB133_46 Depth=2
                                        ;       Parent Loop BB133_49 Depth=3
                                        ;         Parent Loop BB133_52 Depth=4
                                        ; =>        This Inner Loop Header: Depth=5
	s_wait_alu 0xfffe
	v_mov_b32_e32 v18, s36
	s_add_co_i32 s37, s37, -1
	s_add_co_i32 s36, s36, -8
	s_wait_alu 0xfffe
	s_cmp_eq_u32 s37, 0
	ds_load_b64 v[18:19], v18
	ds_load_b64 v[20:21], v9
	s_wait_dscnt 0x1
	v_mul_f32_e32 v22, v19, v7
	v_mul_f32_e32 v19, v19, v6
	s_delay_alu instid0(VALU_DEP_2) | instskip(SKIP_1) | instid1(VALU_DEP_1)
	v_fma_f32 v22, v18, v6, -v22
	s_wait_dscnt 0x0
	v_dual_fmac_f32 v19, v18, v7 :: v_dual_sub_f32 v18, v20, v22
	s_delay_alu instid0(VALU_DEP_1)
	v_sub_f32_e32 v19, v21, v19
	ds_store_b64 v9, v[18:19]
	v_add_nc_u32_e32 v9, 8, v9
	s_cbranch_scc0 .LBB133_53
; %bb.54:                               ;   in Loop: Header=BB133_52 Depth=4
	s_add_co_i32 s35, s35, -1
	s_sub_co_i32 s34, s34, 32
	s_wait_alu 0xfffe
	s_cmp_le_i32 s35, s17
	s_cbranch_scc0 .LBB133_52
.LBB133_55:                             ;   in Loop: Header=BB133_49 Depth=3
	s_mov_b32 s34, 0
	s_mov_b32 s35, s31
	s_branch .LBB133_57
.LBB133_56:                             ;   in Loop: Header=BB133_57 Depth=4
	s_wait_alu 0xfffe
	s_mul_i32 s37, s36, 40
	s_add_co_i32 s34, s34, 1
	s_wait_alu 0xfffe
	v_mov_b32_e32 v18, s37
	s_add_co_i32 s35, s35, -8
	s_cmp_eq_u32 s34, s27
	ds_load_b64 v[18:19], v18
	s_wait_dscnt 0x0
	v_mul_f32_e32 v20, v19, v7
	v_mul_f32_e32 v21, v18, v7
	s_delay_alu instid0(VALU_DEP_2) | instskip(NEXT) | instid1(VALU_DEP_2)
	v_fma_f32 v20, v18, v6, -v20
	v_fmac_f32_e32 v21, v19, v6
	v_lshl_add_u32 v6, s36, 5, v12
	ds_store_b64 v9, v[20:21]
	ds_store_b64 v6, v[20:21]
	s_cbranch_scc1 .LBB133_48
.LBB133_57:                             ;   Parent Loop BB133_3 Depth=1
                                        ;     Parent Loop BB133_46 Depth=2
                                        ;       Parent Loop BB133_49 Depth=3
                                        ; =>      This Loop Header: Depth=4
                                        ;           Child Loop BB133_59 Depth 5
	s_wait_alu 0xfffe
	v_lshl_add_u32 v9, s34, 3, v11
	s_cmp_lg_u32 s34, 0
	s_cbranch_scc0 .LBB133_61
; %bb.58:                               ;   in Loop: Header=BB133_57 Depth=4
	ds_load_b64 v[6:7], v9
	v_mov_b32_e32 v18, v11
	s_sub_co_i32 s36, s17, s34
	s_mov_b32 s37, s35
	s_mov_b32 s38, s34
.LBB133_59:                             ;   Parent Loop BB133_3 Depth=1
                                        ;     Parent Loop BB133_46 Depth=2
                                        ;       Parent Loop BB133_49 Depth=3
                                        ;         Parent Loop BB133_57 Depth=4
                                        ; =>        This Inner Loop Header: Depth=5
	s_wait_alu 0xfffe
	v_mov_b32_e32 v21, s37
	s_add_co_i32 s38, s38, -1
	s_sub_co_i32 s37, s37, 32
	s_wait_alu 0xfffe
	s_cmp_eq_u32 s38, 0
	ds_load_b64 v[19:20], v18
	ds_load_b64 v[21:22], v21
	s_wait_dscnt 0x0
	v_dual_mul_f32 v23, v22, v20 :: v_dual_add_nc_u32 v18, 8, v18
	v_mul_f32_e32 v20, v21, v20
	s_delay_alu instid0(VALU_DEP_2) | instskip(NEXT) | instid1(VALU_DEP_2)
	v_fma_f32 v21, v21, v19, -v23
	v_fmac_f32_e32 v20, v22, v19
	s_delay_alu instid0(VALU_DEP_1)
	v_dual_sub_f32 v6, v6, v21 :: v_dual_sub_f32 v7, v7, v20
	ds_store_b64 v9, v[6:7]
	s_cbranch_scc0 .LBB133_59
; %bb.60:                               ;   in Loop: Header=BB133_57 Depth=4
	s_branch .LBB133_56
.LBB133_61:                             ;   in Loop: Header=BB133_57 Depth=4
                                        ; implicit-def: $vgpr6
                                        ; implicit-def: $sgpr36
	s_cbranch_execz .LBB133_56
; %bb.62:                               ;   in Loop: Header=BB133_57 Depth=4
	ds_load_b64 v[6:7], v11
	s_mov_b32 s36, s17
	s_branch .LBB133_56
.LBB133_63:                             ;   in Loop: Header=BB133_3 Depth=1
	; wave barrier
	s_wait_loadcnt_dscnt 0x0
	global_inv scope:SCOPE_SE
	s_and_saveexec_b32 s12, s25
	s_cbranch_execz .LBB133_2
; %bb.64:                               ;   in Loop: Header=BB133_3 Depth=1
	v_add_co_u32 v4, vcc_lo, v4, s6
	s_wait_alu 0xfffd
	v_add_co_ci_u32_e64 v5, null, s7, v5, vcc_lo
	v_mov_b32_e32 v6, v12
	s_delay_alu instid0(VALU_DEP_3) | instskip(SKIP_1) | instid1(VALU_DEP_3)
	v_add_co_u32 v4, vcc_lo, v4, s14
	s_wait_alu 0xfffd
	v_add_co_ci_u32_e64 v5, null, s15, v5, vcc_lo
	s_mov_b32 s17, s21
	v_add_co_u32 v4, vcc_lo, v4, v2
	s_wait_alu 0xfffd
	v_add_co_ci_u32_e64 v5, null, v5, v3, vcc_lo
.LBB133_65:                             ;   Parent Loop BB133_3 Depth=1
                                        ; =>  This Inner Loop Header: Depth=2
	ds_load_b64 v[7:8], v6
	v_add_nc_u32_e32 v6, 32, v6
	s_wait_alu 0xfffe
	s_add_co_i32 s17, s17, -1
	s_wait_alu 0xfffe
	s_cmp_lg_u32 s17, 0
	s_wait_dscnt 0x0
	flat_store_b64 v[4:5], v[7:8]
	v_add_co_u32 v4, vcc_lo, v4, 8
	s_wait_alu 0xfffd
	v_add_co_ci_u32_e64 v5, null, 0, v5, vcc_lo
	s_cbranch_scc1 .LBB133_65
	s_branch .LBB133_2
.LBB133_66:
	s_endpgm
	.section	.rodata,"a",@progbits
	.p2align	6, 0x0
	.amdhsa_kernel _ZL38rocblas_trsm_small_left_device_sharedBILi4ELi4ELb0E19rocblas_complex_numIfES1_PKPKS1_PKPS1_Ev13rocblas_fill_18rocblas_operation_17rocblas_diagonal_iiT3_T4_lilT5_lili
		.amdhsa_group_segment_fixed_size 384
		.amdhsa_private_segment_fixed_size 0
		.amdhsa_kernarg_size 360
		.amdhsa_user_sgpr_count 4
		.amdhsa_user_sgpr_dispatch_ptr 1
		.amdhsa_user_sgpr_queue_ptr 0
		.amdhsa_user_sgpr_kernarg_segment_ptr 1
		.amdhsa_user_sgpr_dispatch_id 0
		.amdhsa_user_sgpr_private_segment_size 0
		.amdhsa_wavefront_size32 1
		.amdhsa_uses_dynamic_stack 0
		.amdhsa_enable_private_segment 0
		.amdhsa_system_sgpr_workgroup_id_x 1
		.amdhsa_system_sgpr_workgroup_id_y 0
		.amdhsa_system_sgpr_workgroup_id_z 1
		.amdhsa_system_sgpr_workgroup_info 0
		.amdhsa_system_vgpr_workitem_id 2
		.amdhsa_next_free_vgpr 24
		.amdhsa_next_free_sgpr 40
		.amdhsa_reserve_vcc 1
		.amdhsa_float_round_mode_32 0
		.amdhsa_float_round_mode_16_64 0
		.amdhsa_float_denorm_mode_32 3
		.amdhsa_float_denorm_mode_16_64 3
		.amdhsa_fp16_overflow 0
		.amdhsa_workgroup_processor_mode 1
		.amdhsa_memory_ordered 1
		.amdhsa_forward_progress 1
		.amdhsa_inst_pref_size 24
		.amdhsa_round_robin_scheduling 0
		.amdhsa_exception_fp_ieee_invalid_op 0
		.amdhsa_exception_fp_denorm_src 0
		.amdhsa_exception_fp_ieee_div_zero 0
		.amdhsa_exception_fp_ieee_overflow 0
		.amdhsa_exception_fp_ieee_underflow 0
		.amdhsa_exception_fp_ieee_inexact 0
		.amdhsa_exception_int_div_zero 0
	.end_amdhsa_kernel
	.section	.text._ZL38rocblas_trsm_small_left_device_sharedBILi4ELi4ELb0E19rocblas_complex_numIfES1_PKPKS1_PKPS1_Ev13rocblas_fill_18rocblas_operation_17rocblas_diagonal_iiT3_T4_lilT5_lili,"axG",@progbits,_ZL38rocblas_trsm_small_left_device_sharedBILi4ELi4ELb0E19rocblas_complex_numIfES1_PKPKS1_PKPS1_Ev13rocblas_fill_18rocblas_operation_17rocblas_diagonal_iiT3_T4_lilT5_lili,comdat
.Lfunc_end133:
	.size	_ZL38rocblas_trsm_small_left_device_sharedBILi4ELi4ELb0E19rocblas_complex_numIfES1_PKPKS1_PKPS1_Ev13rocblas_fill_18rocblas_operation_17rocblas_diagonal_iiT3_T4_lilT5_lili, .Lfunc_end133-_ZL38rocblas_trsm_small_left_device_sharedBILi4ELi4ELb0E19rocblas_complex_numIfES1_PKPKS1_PKPS1_Ev13rocblas_fill_18rocblas_operation_17rocblas_diagonal_iiT3_T4_lilT5_lili
                                        ; -- End function
	.set _ZL38rocblas_trsm_small_left_device_sharedBILi4ELi4ELb0E19rocblas_complex_numIfES1_PKPKS1_PKPS1_Ev13rocblas_fill_18rocblas_operation_17rocblas_diagonal_iiT3_T4_lilT5_lili.num_vgpr, 24
	.set _ZL38rocblas_trsm_small_left_device_sharedBILi4ELi4ELb0E19rocblas_complex_numIfES1_PKPKS1_PKPS1_Ev13rocblas_fill_18rocblas_operation_17rocblas_diagonal_iiT3_T4_lilT5_lili.num_agpr, 0
	.set _ZL38rocblas_trsm_small_left_device_sharedBILi4ELi4ELb0E19rocblas_complex_numIfES1_PKPKS1_PKPS1_Ev13rocblas_fill_18rocblas_operation_17rocblas_diagonal_iiT3_T4_lilT5_lili.numbered_sgpr, 40
	.set _ZL38rocblas_trsm_small_left_device_sharedBILi4ELi4ELb0E19rocblas_complex_numIfES1_PKPKS1_PKPS1_Ev13rocblas_fill_18rocblas_operation_17rocblas_diagonal_iiT3_T4_lilT5_lili.num_named_barrier, 0
	.set _ZL38rocblas_trsm_small_left_device_sharedBILi4ELi4ELb0E19rocblas_complex_numIfES1_PKPKS1_PKPS1_Ev13rocblas_fill_18rocblas_operation_17rocblas_diagonal_iiT3_T4_lilT5_lili.private_seg_size, 0
	.set _ZL38rocblas_trsm_small_left_device_sharedBILi4ELi4ELb0E19rocblas_complex_numIfES1_PKPKS1_PKPS1_Ev13rocblas_fill_18rocblas_operation_17rocblas_diagonal_iiT3_T4_lilT5_lili.uses_vcc, 1
	.set _ZL38rocblas_trsm_small_left_device_sharedBILi4ELi4ELb0E19rocblas_complex_numIfES1_PKPKS1_PKPS1_Ev13rocblas_fill_18rocblas_operation_17rocblas_diagonal_iiT3_T4_lilT5_lili.uses_flat_scratch, 0
	.set _ZL38rocblas_trsm_small_left_device_sharedBILi4ELi4ELb0E19rocblas_complex_numIfES1_PKPKS1_PKPS1_Ev13rocblas_fill_18rocblas_operation_17rocblas_diagonal_iiT3_T4_lilT5_lili.has_dyn_sized_stack, 0
	.set _ZL38rocblas_trsm_small_left_device_sharedBILi4ELi4ELb0E19rocblas_complex_numIfES1_PKPKS1_PKPS1_Ev13rocblas_fill_18rocblas_operation_17rocblas_diagonal_iiT3_T4_lilT5_lili.has_recursion, 0
	.set _ZL38rocblas_trsm_small_left_device_sharedBILi4ELi4ELb0E19rocblas_complex_numIfES1_PKPKS1_PKPS1_Ev13rocblas_fill_18rocblas_operation_17rocblas_diagonal_iiT3_T4_lilT5_lili.has_indirect_call, 0
	.section	.AMDGPU.csdata,"",@progbits
; Kernel info:
; codeLenInByte = 3000
; TotalNumSgprs: 42
; NumVgprs: 24
; ScratchSize: 0
; MemoryBound: 0
; FloatMode: 240
; IeeeMode: 1
; LDSByteSize: 384 bytes/workgroup (compile time only)
; SGPRBlocks: 0
; VGPRBlocks: 2
; NumSGPRsForWavesPerEU: 42
; NumVGPRsForWavesPerEU: 24
; Occupancy: 16
; WaveLimiterHint : 0
; COMPUTE_PGM_RSRC2:SCRATCH_EN: 0
; COMPUTE_PGM_RSRC2:USER_SGPR: 4
; COMPUTE_PGM_RSRC2:TRAP_HANDLER: 0
; COMPUTE_PGM_RSRC2:TGID_X_EN: 1
; COMPUTE_PGM_RSRC2:TGID_Y_EN: 0
; COMPUTE_PGM_RSRC2:TGID_Z_EN: 1
; COMPUTE_PGM_RSRC2:TIDIG_COMP_CNT: 2
	.section	.text._ZL30rocblas_trsm_small_left_deviceILi4ELi4ELb0E19rocblas_complex_numIfES1_PKPKS1_PKPS1_Ev13rocblas_fill_18rocblas_operation_17rocblas_diagonal_iiT3_T4_lilT5_lili,"axG",@progbits,_ZL30rocblas_trsm_small_left_deviceILi4ELi4ELb0E19rocblas_complex_numIfES1_PKPKS1_PKPS1_Ev13rocblas_fill_18rocblas_operation_17rocblas_diagonal_iiT3_T4_lilT5_lili,comdat
	.globl	_ZL30rocblas_trsm_small_left_deviceILi4ELi4ELb0E19rocblas_complex_numIfES1_PKPKS1_PKPS1_Ev13rocblas_fill_18rocblas_operation_17rocblas_diagonal_iiT3_T4_lilT5_lili ; -- Begin function _ZL30rocblas_trsm_small_left_deviceILi4ELi4ELb0E19rocblas_complex_numIfES1_PKPKS1_PKPS1_Ev13rocblas_fill_18rocblas_operation_17rocblas_diagonal_iiT3_T4_lilT5_lili
	.p2align	8
	.type	_ZL30rocblas_trsm_small_left_deviceILi4ELi4ELb0E19rocblas_complex_numIfES1_PKPKS1_PKPS1_Ev13rocblas_fill_18rocblas_operation_17rocblas_diagonal_iiT3_T4_lilT5_lili,@function
_ZL30rocblas_trsm_small_left_deviceILi4ELi4ELb0E19rocblas_complex_numIfES1_PKPKS1_PKPS1_Ev13rocblas_fill_18rocblas_operation_17rocblas_diagonal_iiT3_T4_lilT5_lili: ; @_ZL30rocblas_trsm_small_left_deviceILi4ELi4ELb0E19rocblas_complex_numIfES1_PKPKS1_PKPS1_Ev13rocblas_fill_18rocblas_operation_17rocblas_diagonal_iiT3_T4_lilT5_lili
; %bb.0:
	s_load_b32 s26, s[2:3], 0x60
	s_lshr_b32 s16, ttmp7, 16
	s_wait_kmcnt 0x0
	s_cmp_ge_u32 s16, s26
	s_cbranch_scc1 .LBB134_62
; %bb.1:
	s_load_b32 s18, s[2:3], 0x30
	s_load_b64 s[0:1], s[0:1], 0x4
	s_clause 0x5
	s_load_b128 s[12:15], s[2:3], 0x4
	s_load_b32 s17, s[2:3], 0x68
	s_load_b128 s[4:7], s[2:3], 0x20
	s_load_b128 s[8:11], s[2:3], 0x40
	s_load_b32 s20, s[2:3], 0x50
	s_load_b64 s[2:3], s[2:3], 0x14
	v_bfe_u32 v2, v0, 10, 10
	v_and_b32_e32 v1, 0x3ff, v0
	v_bfe_u32 v0, v0, 20, 10
	s_mov_b32 s34, 0
	s_delay_alu instid0(VALU_DEP_2)
	v_lshlrev_b32_e32 v10, 3, v1
	s_wait_kmcnt 0x0
	s_ashr_i32 s19, s18, 31
	s_lshr_b32 s0, s0, 16
	s_cmp_lg_u32 s12, 0x71
	v_mul_u32_u24_e32 v2, s1, v2
	s_mul_i32 s0, s0, s1
	s_cselect_b32 s27, -1, 0
	s_wait_alu 0xfffe
	s_lshl_b32 s1, ttmp9, 2
	v_mul_u32_u24_e32 v3, s0, v1
	s_wait_alu 0xfffe
	v_or_b32_e32 v5, s1, v1
	s_min_i32 s28, s14, 4
	s_add_co_i32 s17, s17, -1
	s_add_co_i32 s29, s28, -1
	s_sub_co_i32 s14, s15, s1
	v_add3_u32 v0, v3, v2, v0
	v_mad_co_i64_i32 v[2:3], null, s20, v5, 0
	s_cmp_ge_u32 ttmp9, s17
	s_cselect_b32 s1, s14, 4
	s_cmp_lg_u32 s13, 0x84
	v_lshl_add_u32 v11, v0, 5, 0x80
	s_cselect_b32 s30, -1, 0
	s_cmp_lg_u32 s12, 0x6f
	v_lshlrev_b64_e32 v[2:3], 3, v[2:3]
	s_cselect_b32 s31, -1, 0
	s_lshl_b64 s[6:7], s[6:7], 3
	s_lshl_b32 s12, s28, 5
	v_add_co_u32 v0, s6, s6, v10
	s_wait_alu 0xf1ff
	v_add_co_ci_u32_e64 v12, null, s7, 0, s6
	s_lshl_b64 s[6:7], s[10:11], 3
	v_or_b32_e32 v13, 4, v0
	s_wait_alu 0xfffe
	v_add_co_u32 v5, vcc_lo, v2, s6
	v_mov_b32_e32 v0, 1.0
	v_lshlrev_b32_e32 v4, 5, v1
	v_cmp_gt_i32_e64 s0, s28, v1
	v_cmp_gt_i32_e64 s1, s1, v1
	v_mov_b32_e32 v1, 0
	v_add_co_ci_u32_e64 v14, null, s7, v3, vcc_lo
	v_or_b32_e32 v15, 4, v5
	v_add_nc_u32_e32 v16, v10, v4
	s_lshl_b64 s[10:11], s[18:19], 3
	s_sub_co_i32 s33, s12, 32
	s_mov_b32 s13, 0
	s_branch .LBB134_4
.LBB134_2:                              ;   in Loop: Header=BB134_4 Depth=1
	s_add_co_i32 s16, s16, 0x10000
	s_delay_alu instid0(SALU_CYCLE_1)
	s_cmp_ge_u32 s16, s26
	s_cselect_b32 s12, -1, 0
	s_wait_alu 0xfffe
	s_or_not1_b32 s12, s12, exec_lo
.LBB134_3:                              ;   in Loop: Header=BB134_4 Depth=1
	s_or_b32 exec_lo, exec_lo, s17
	s_wait_alu 0xfffe
	s_and_b32 s12, exec_lo, s12
	s_wait_alu 0xfffe
	s_or_b32 s34, s12, s34
	s_delay_alu instid0(SALU_CYCLE_1)
	s_and_not1_b32 exec_lo, exec_lo, s34
	s_cbranch_execz .LBB134_62
.LBB134_4:                              ; =>This Loop Header: Depth=1
                                        ;     Child Loop BB134_7 Depth 2
                                        ;     Child Loop BB134_23 Depth 2
                                        ;       Child Loop BB134_26 Depth 3
                                        ;         Child Loop BB134_27 Depth 4
                                        ;         Child Loop BB134_30 Depth 4
                                        ;           Child Loop BB134_31 Depth 5
                                        ;         Child Loop BB134_35 Depth 4
                                        ;           Child Loop BB134_37 Depth 5
                                        ;     Child Loop BB134_45 Depth 2
                                        ;       Child Loop BB134_48 Depth 3
                                        ;         Child Loop BB134_49 Depth 4
                                        ;         Child Loop BB134_51 Depth 4
                                        ;           Child Loop BB134_52 Depth 5
                                        ;         Child Loop BB134_56 Depth 4
                                        ;           Child Loop BB134_58 Depth 5
	s_mov_b32 s17, s13
	s_delay_alu instid0(SALU_CYCLE_1) | instskip(NEXT) | instid1(SALU_CYCLE_1)
	s_lshl_b64 s[14:15], s[16:17], 3
	s_add_nc_u64 s[18:19], s[8:9], s[14:15]
	global_load_b64 v[4:5], v1, s[18:19]
	s_and_saveexec_b32 s12, s0
	s_cbranch_execz .LBB134_19
; %bb.5:                                ;   in Loop: Header=BB134_4 Depth=1
	s_add_nc_u64 s[14:15], s[4:5], s[14:15]
	v_mov_b32_e32 v17, v10
	global_load_b64 v[6:7], v1, s[14:15]
	s_mov_b32 s14, s28
	s_wait_loadcnt 0x0
	v_add_co_u32 v6, vcc_lo, v6, v13
	s_wait_alu 0xfffd
	v_add_co_ci_u32_e64 v7, null, v7, v12, vcc_lo
	s_branch .LBB134_7
.LBB134_6:                              ;   in Loop: Header=BB134_7 Depth=2
	flat_load_b32 v8, v[6:7] offset:-4
	v_add_co_u32 v6, vcc_lo, v6, s10
	s_wait_alu 0xfffd
	v_add_co_ci_u32_e64 v7, null, s11, v7, vcc_lo
	s_add_co_i32 s14, s14, -1
	s_delay_alu instid0(SALU_CYCLE_1)
	s_cmp_eq_u32 s14, 0
	s_wait_loadcnt_dscnt 0x0
	ds_store_b64 v17, v[8:9]
	v_add_nc_u32_e32 v17, 32, v17
	s_cbranch_scc1 .LBB134_11
.LBB134_7:                              ;   Parent Loop BB134_4 Depth=1
                                        ; =>  This Inner Loop Header: Depth=2
	s_and_b32 vcc_lo, exec_lo, s27
	s_mov_b32 s15, -1
                                        ; implicit-def: $vgpr9
	s_wait_alu 0xfffe
	s_cbranch_vccz .LBB134_9
; %bb.8:                                ;   in Loop: Header=BB134_7 Depth=2
	flat_load_b32 v9, v[6:7]
	s_mov_b32 s15, 0
.LBB134_9:                              ;   in Loop: Header=BB134_7 Depth=2
	s_delay_alu instid0(SALU_CYCLE_1)
	s_and_not1_b32 vcc_lo, exec_lo, s15
	s_wait_alu 0xfffe
	s_cbranch_vccnz .LBB134_6
; %bb.10:                               ;   in Loop: Header=BB134_7 Depth=2
	flat_load_b32 v8, v[6:7]
	s_wait_loadcnt_dscnt 0x0
	v_xor_b32_e32 v9, 0x80000000, v8
	s_branch .LBB134_6
.LBB134_11:                             ;   in Loop: Header=BB134_4 Depth=1
	s_and_b32 vcc_lo, exec_lo, s30
	s_mov_b32 s14, -1
	s_wait_alu 0xfffe
	s_cbranch_vccz .LBB134_17
; %bb.12:                               ;   in Loop: Header=BB134_4 Depth=1
	ds_load_b64 v[6:7], v16
                                        ; implicit-def: $vgpr8
	s_wait_dscnt 0x0
	v_cmp_ngt_f32_e64 s14, |v6|, |v7|
	s_and_saveexec_b32 s15, s14
	s_delay_alu instid0(SALU_CYCLE_1)
	s_xor_b32 s14, exec_lo, s15
	s_cbranch_execz .LBB134_14
; %bb.13:                               ;   in Loop: Header=BB134_4 Depth=1
	v_div_scale_f32 v8, null, v7, v7, v6
	v_div_scale_f32 v18, vcc_lo, v6, v7, v6
	s_delay_alu instid0(VALU_DEP_2) | instskip(NEXT) | instid1(TRANS32_DEP_1)
	v_rcp_f32_e32 v9, v8
	v_fma_f32 v17, -v8, v9, 1.0
	s_delay_alu instid0(VALU_DEP_1) | instskip(NEXT) | instid1(VALU_DEP_1)
	v_fmac_f32_e32 v9, v17, v9
	v_mul_f32_e32 v17, v18, v9
	s_delay_alu instid0(VALU_DEP_1) | instskip(NEXT) | instid1(VALU_DEP_1)
	v_fma_f32 v19, -v8, v17, v18
	v_fmac_f32_e32 v17, v19, v9
	s_delay_alu instid0(VALU_DEP_1) | instskip(SKIP_1) | instid1(VALU_DEP_1)
	v_fma_f32 v8, -v8, v17, v18
	s_wait_alu 0xfffd
	v_div_fmas_f32 v8, v8, v9, v17
	s_delay_alu instid0(VALU_DEP_1) | instskip(NEXT) | instid1(VALU_DEP_1)
	v_div_fixup_f32 v8, v8, v7, v6
	v_fmac_f32_e32 v7, v6, v8
	s_delay_alu instid0(VALU_DEP_1) | instskip(SKIP_1) | instid1(VALU_DEP_2)
	v_div_scale_f32 v6, null, v7, v7, 1.0
	v_div_scale_f32 v18, vcc_lo, 1.0, v7, 1.0
	v_rcp_f32_e32 v9, v6
	s_delay_alu instid0(TRANS32_DEP_1) | instskip(NEXT) | instid1(VALU_DEP_1)
	v_fma_f32 v17, -v6, v9, 1.0
	v_fmac_f32_e32 v9, v17, v9
	s_delay_alu instid0(VALU_DEP_1) | instskip(NEXT) | instid1(VALU_DEP_1)
	v_mul_f32_e32 v17, v18, v9
	v_fma_f32 v19, -v6, v17, v18
	s_delay_alu instid0(VALU_DEP_1) | instskip(NEXT) | instid1(VALU_DEP_1)
	v_fmac_f32_e32 v17, v19, v9
	v_fma_f32 v6, -v6, v17, v18
	s_wait_alu 0xfffd
	s_delay_alu instid0(VALU_DEP_1) | instskip(SKIP_1) | instid1(VALU_DEP_2)
	v_div_fmas_f32 v6, v6, v9, v17
	v_add_f32_e32 v9, 0, v8
	v_div_fixup_f32 v6, v6, v7, 1.0
	v_fma_f32 v7, v8, 0, -1.0
	s_delay_alu instid0(VALU_DEP_2) | instskip(NEXT) | instid1(VALU_DEP_2)
	v_mul_f32_e32 v8, v9, v6
	v_mul_f32_e32 v9, v7, v6
                                        ; implicit-def: $vgpr6_vgpr7
.LBB134_14:                             ;   in Loop: Header=BB134_4 Depth=1
	s_and_not1_saveexec_b32 s14, s14
	s_cbranch_execz .LBB134_16
; %bb.15:                               ;   in Loop: Header=BB134_4 Depth=1
	v_div_scale_f32 v8, null, v6, v6, v7
	v_div_scale_f32 v18, vcc_lo, v7, v6, v7
	s_delay_alu instid0(VALU_DEP_2) | instskip(NEXT) | instid1(TRANS32_DEP_1)
	v_rcp_f32_e32 v9, v8
	v_fma_f32 v17, -v8, v9, 1.0
	s_delay_alu instid0(VALU_DEP_1) | instskip(NEXT) | instid1(VALU_DEP_1)
	v_fmac_f32_e32 v9, v17, v9
	v_mul_f32_e32 v17, v18, v9
	s_delay_alu instid0(VALU_DEP_1) | instskip(NEXT) | instid1(VALU_DEP_1)
	v_fma_f32 v19, -v8, v17, v18
	v_fmac_f32_e32 v17, v19, v9
	s_delay_alu instid0(VALU_DEP_1) | instskip(SKIP_1) | instid1(VALU_DEP_1)
	v_fma_f32 v8, -v8, v17, v18
	s_wait_alu 0xfffd
	v_div_fmas_f32 v8, v8, v9, v17
	s_delay_alu instid0(VALU_DEP_1) | instskip(NEXT) | instid1(VALU_DEP_1)
	v_div_fixup_f32 v9, v8, v6, v7
	v_fmac_f32_e32 v6, v7, v9
	s_delay_alu instid0(VALU_DEP_1) | instskip(SKIP_1) | instid1(VALU_DEP_2)
	v_div_scale_f32 v7, null, v6, v6, 1.0
	v_div_scale_f32 v18, vcc_lo, 1.0, v6, 1.0
	v_rcp_f32_e32 v8, v7
	s_delay_alu instid0(TRANS32_DEP_1) | instskip(NEXT) | instid1(VALU_DEP_1)
	v_fma_f32 v17, -v7, v8, 1.0
	v_fmac_f32_e32 v8, v17, v8
	s_delay_alu instid0(VALU_DEP_1) | instskip(NEXT) | instid1(VALU_DEP_1)
	v_mul_f32_e32 v17, v18, v8
	v_fma_f32 v19, -v7, v17, v18
	s_delay_alu instid0(VALU_DEP_1) | instskip(NEXT) | instid1(VALU_DEP_1)
	v_fmac_f32_e32 v17, v19, v8
	v_fma_f32 v7, -v7, v17, v18
	s_wait_alu 0xfffd
	s_delay_alu instid0(VALU_DEP_1) | instskip(SKIP_1) | instid1(VALU_DEP_2)
	v_div_fmas_f32 v7, v7, v8, v17
	v_fma_f32 v8, v9, 0, 1.0
	v_div_fixup_f32 v6, v7, v6, 1.0
	s_delay_alu instid0(VALU_DEP_1)
	v_mul_f32_e32 v8, v8, v6
	v_mul_f32_e64 v9, -v9, v6
.LBB134_16:                             ;   in Loop: Header=BB134_4 Depth=1
	s_or_b32 exec_lo, exec_lo, s14
	s_mov_b32 s14, 0
	ds_store_b64 v16, v[8:9]
.LBB134_17:                             ;   in Loop: Header=BB134_4 Depth=1
	s_and_b32 vcc_lo, exec_lo, s14
	s_wait_alu 0xfffe
	s_cbranch_vccz .LBB134_19
; %bb.18:                               ;   in Loop: Header=BB134_4 Depth=1
	ds_store_b64 v16, v[0:1]
.LBB134_19:                             ;   in Loop: Header=BB134_4 Depth=1
	s_wait_alu 0xfffe
	s_or_b32 exec_lo, exec_lo, s12
	s_mov_b32 s12, -1
	; wave barrier
	s_wait_loadcnt_dscnt 0x0
	global_inv scope:SCOPE_SE
	s_and_saveexec_b32 s17, s1
	s_cbranch_execz .LBB134_3
; %bb.20:                               ;   in Loop: Header=BB134_4 Depth=1
	v_add_co_u32 v6, vcc_lo, v4, s6
	s_wait_alu 0xfffd
	v_add_co_ci_u32_e64 v7, null, s7, v5, vcc_lo
	s_delay_alu instid0(VALU_DEP_2) | instskip(SKIP_1) | instid1(VALU_DEP_2)
	v_add_co_u32 v17, vcc_lo, v6, v2
	s_wait_alu 0xfffd
	v_add_co_ci_u32_e64 v18, null, v7, v3, vcc_lo
	s_and_not1_b32 vcc_lo, exec_lo, s31
	s_wait_alu 0xfffe
	s_cbranch_vccnz .LBB134_42
; %bb.21:                               ;   in Loop: Header=BB134_4 Depth=1
	v_add_co_u32 v19, vcc_lo, v4, v15
	s_wait_alu 0xfffd
	v_add_co_ci_u32_e64 v20, null, v5, v14, vcc_lo
	s_mov_b32 s18, 0
	s_mov_b32 s14, 0
	s_branch .LBB134_23
.LBB134_22:                             ;   in Loop: Header=BB134_23 Depth=2
	s_cmp_lt_i32 s14, s28
	s_cselect_b32 s12, -1, 0
	s_add_co_i32 s15, s18, 1
	s_cmp_lt_u32 s18, 2
	s_cselect_b32 s18, -1, 0
	s_wait_alu 0xfffe
	s_and_b32 s12, s12, s18
	s_mov_b32 s18, s15
	s_wait_alu 0xfffe
	s_and_b32 vcc_lo, exec_lo, s12
	s_wait_alu 0xfffe
	s_cbranch_vccz .LBB134_41
.LBB134_23:                             ;   Parent Loop BB134_4 Depth=1
                                        ; =>  This Loop Header: Depth=2
                                        ;       Child Loop BB134_26 Depth 3
                                        ;         Child Loop BB134_27 Depth 4
                                        ;         Child Loop BB134_30 Depth 4
                                        ;           Child Loop BB134_31 Depth 5
                                        ;         Child Loop BB134_35 Depth 4
                                        ;           Child Loop BB134_37 Depth 5
	s_mov_b32 s19, s13
	s_getpc_b64 s[20:21]
	s_wait_alu 0xfffe
	s_sext_i32_i16 s21, s21
	s_add_co_u32 s20, s20, __const._ZL30rocblas_trsm_small_left_deviceILi4ELi4ELb0E19rocblas_complex_numIfES1_PKPKS1_PKPS1_Ev13rocblas_fill_18rocblas_operation_17rocblas_diagonal_iiT3_T4_lilT5_lili.step_sizes@rel32@lo+12
	s_wait_alu 0xfffe
	s_add_co_ci_u32 s21, s21, __const._ZL30rocblas_trsm_small_left_deviceILi4ELi4ELb0E19rocblas_complex_numIfES1_PKPKS1_PKPS1_Ev13rocblas_fill_18rocblas_operation_17rocblas_diagonal_iiT3_T4_lilT5_lili.step_sizes@rel32@hi+24
	s_lshl_b64 s[22:23], s[18:19], 2
	s_wait_alu 0xfffe
	s_add_nc_u64 s[20:21], s[20:21], s[22:23]
	s_load_b32 s20, s[20:21], 0x0
	s_wait_kmcnt 0x0
	s_add_co_i32 s19, s20, -1
	s_wait_alu 0xfffe
	s_add_co_i32 s12, s19, s14
	s_wait_alu 0xfffe
	s_cmp_ge_i32 s12, s28
	s_cbranch_scc1 .LBB134_22
; %bb.24:                               ;   in Loop: Header=BB134_23 Depth=2
	s_ashr_i32 s15, s14, 31
	s_ashr_i32 s21, s20, 31
	s_lshl_b64 s[22:23], s[14:15], 3
	s_max_i32 s35, s20, 1
	s_wait_alu 0xfffe
	v_add_co_u32 v6, vcc_lo, v19, s22
	s_wait_alu 0xfffd
	v_add_co_ci_u32_e64 v7, null, s23, v20, vcc_lo
	s_lshl_b64 s[22:23], s[20:21], 3
	s_lshl_b32 s15, s14, 5
	s_lshl_b32 s21, s20, 5
	s_mul_i32 s36, s14, 40
	s_mul_i32 s37, s20, 40
	s_branch .LBB134_26
.LBB134_25:                             ;   in Loop: Header=BB134_26 Depth=3
	v_add_co_u32 v6, vcc_lo, v6, s22
	s_add_co_i32 s14, s14, s20
	s_wait_alu 0xfffd
	v_add_co_ci_u32_e64 v7, null, s23, v7, vcc_lo
	s_add_co_i32 s12, s19, s14
	s_add_co_i32 s15, s15, s21
	;; [unrolled: 1-line block ×3, first 2 shown]
	s_wait_alu 0xfffe
	s_cmp_ge_i32 s12, s28
	s_cbranch_scc1 .LBB134_22
.LBB134_26:                             ;   Parent Loop BB134_4 Depth=1
                                        ;     Parent Loop BB134_23 Depth=2
                                        ; =>    This Loop Header: Depth=3
                                        ;         Child Loop BB134_27 Depth 4
                                        ;         Child Loop BB134_30 Depth 4
                                        ;           Child Loop BB134_31 Depth 5
                                        ;         Child Loop BB134_35 Depth 4
                                        ;           Child Loop BB134_37 Depth 5
	v_mov_b32_e32 v9, v7
	v_dual_mov_b32 v21, v11 :: v_dual_mov_b32 v8, v6
	s_mov_b32 s12, s35
.LBB134_27:                             ;   Parent Loop BB134_4 Depth=1
                                        ;     Parent Loop BB134_23 Depth=2
                                        ;       Parent Loop BB134_26 Depth=3
                                        ; =>      This Inner Loop Header: Depth=4
	flat_load_b64 v[22:23], v[8:9] offset:-4
	v_add_co_u32 v8, vcc_lo, v8, 8
	s_wait_alu 0xfffd
	v_add_co_ci_u32_e64 v9, null, 0, v9, vcc_lo
	s_wait_alu 0xfffe
	s_add_co_i32 s12, s12, -1
	s_wait_alu 0xfffe
	s_cmp_eq_u32 s12, 0
	s_wait_loadcnt_dscnt 0x0
	v_mul_f32_e32 v24, s2, v23
	s_delay_alu instid0(VALU_DEP_1) | instskip(NEXT) | instid1(VALU_DEP_1)
	v_dual_mul_f32 v25, s3, v23 :: v_dual_fmac_f32 v24, s3, v22
	v_fma_f32 v23, v22, s2, -v25
	ds_store_b64 v21, v[23:24]
	v_add_nc_u32_e32 v21, 8, v21
	s_cbranch_scc0 .LBB134_27
; %bb.28:                               ;   in Loop: Header=BB134_26 Depth=3
	s_cmp_lt_i32 s14, 1
	s_cbranch_scc1 .LBB134_33
; %bb.29:                               ;   in Loop: Header=BB134_26 Depth=3
	s_mov_b32 s12, 0
	s_mov_b32 s24, s15
.LBB134_30:                             ;   Parent Loop BB134_4 Depth=1
                                        ;     Parent Loop BB134_23 Depth=2
                                        ;       Parent Loop BB134_26 Depth=3
                                        ; =>      This Loop Header: Depth=4
                                        ;           Child Loop BB134_31 Depth 5
	s_wait_alu 0xfffe
	s_lshl_b64 s[38:39], s[12:13], 3
	v_mov_b32_e32 v21, v11
	s_wait_alu 0xfffe
	v_add_co_u32 v8, vcc_lo, v17, s38
	s_wait_alu 0xfffd
	v_add_co_ci_u32_e64 v9, null, s39, v18, vcc_lo
	s_mov_b32 s25, s24
	s_mov_b32 s38, s35
	flat_load_b64 v[8:9], v[8:9]
.LBB134_31:                             ;   Parent Loop BB134_4 Depth=1
                                        ;     Parent Loop BB134_23 Depth=2
                                        ;       Parent Loop BB134_26 Depth=3
                                        ;         Parent Loop BB134_30 Depth=4
                                        ; =>        This Inner Loop Header: Depth=5
	s_wait_alu 0xfffe
	v_mov_b32_e32 v22, s25
	s_add_co_i32 s38, s38, -1
	s_add_co_i32 s25, s25, 32
	s_wait_alu 0xfffe
	s_cmp_eq_u32 s38, 0
	ds_load_b64 v[22:23], v22
	ds_load_b64 v[24:25], v21
	s_wait_loadcnt_dscnt 0x1
	v_mul_f32_e32 v26, v23, v9
	v_mul_f32_e32 v23, v23, v8
	s_delay_alu instid0(VALU_DEP_1) | instskip(SKIP_1) | instid1(VALU_DEP_1)
	v_fmac_f32_e32 v23, v22, v9
	s_wait_dscnt 0x0
	v_sub_f32_e32 v23, v25, v23
	v_fma_f32 v26, v22, v8, -v26
	s_delay_alu instid0(VALU_DEP_1)
	v_sub_f32_e32 v22, v24, v26
	ds_store_b64 v21, v[22:23]
	v_add_nc_u32_e32 v21, 8, v21
	s_cbranch_scc0 .LBB134_31
; %bb.32:                               ;   in Loop: Header=BB134_30 Depth=4
	s_add_co_i32 s12, s12, 1
	s_add_co_i32 s24, s24, 8
	s_wait_alu 0xfffe
	s_cmp_eq_u32 s12, s14
	s_cbranch_scc0 .LBB134_30
.LBB134_33:                             ;   in Loop: Header=BB134_26 Depth=3
	s_mov_b32 s12, 0
	s_mov_b32 s38, s36
	s_branch .LBB134_35
.LBB134_34:                             ;   in Loop: Header=BB134_35 Depth=4
	s_wait_alu 0xfffe
	s_mul_i32 s25, s24, 40
	s_add_co_i32 s12, s12, 1
	s_wait_alu 0xfffe
	v_mov_b32_e32 v22, s25
	s_ashr_i32 s25, s24, 31
	s_add_co_i32 s38, s38, 32
	s_wait_alu 0xfffe
	s_lshl_b64 s[24:25], s[24:25], 3
	s_cmp_eq_u32 s12, s35
	ds_load_b64 v[22:23], v22
	s_wait_dscnt 0x0
	v_mul_f32_e32 v24, v23, v9
	v_mul_f32_e32 v25, v22, v9
	s_delay_alu instid0(VALU_DEP_2) | instskip(NEXT) | instid1(VALU_DEP_2)
	v_fma_f32 v24, v22, v8, -v24
	v_fmac_f32_e32 v25, v23, v8
	s_wait_alu 0xfffe
	v_add_co_u32 v8, vcc_lo, v17, s24
	s_wait_alu 0xfffd
	v_add_co_ci_u32_e64 v9, null, s25, v18, vcc_lo
	ds_store_b64 v21, v[24:25]
	flat_store_b64 v[8:9], v[24:25]
	s_cbranch_scc1 .LBB134_25
.LBB134_35:                             ;   Parent Loop BB134_4 Depth=1
                                        ;     Parent Loop BB134_23 Depth=2
                                        ;       Parent Loop BB134_26 Depth=3
                                        ; =>      This Loop Header: Depth=4
                                        ;           Child Loop BB134_37 Depth 5
	s_wait_alu 0xfffe
	v_lshl_add_u32 v21, s12, 3, v11
	s_cmp_lg_u32 s12, 0
	s_cbranch_scc0 .LBB134_39
; %bb.36:                               ;   in Loop: Header=BB134_35 Depth=4
	ds_load_b64 v[8:9], v21
	v_mov_b32_e32 v22, v11
	s_add_co_i32 s24, s12, s14
	s_mov_b32 s25, s38
	s_mov_b32 s39, s12
.LBB134_37:                             ;   Parent Loop BB134_4 Depth=1
                                        ;     Parent Loop BB134_23 Depth=2
                                        ;       Parent Loop BB134_26 Depth=3
                                        ;         Parent Loop BB134_35 Depth=4
                                        ; =>        This Inner Loop Header: Depth=5
	s_wait_alu 0xfffe
	v_mov_b32_e32 v25, s25
	s_add_co_i32 s39, s39, -1
	s_add_co_i32 s25, s25, 8
	s_wait_alu 0xfffe
	s_cmp_eq_u32 s39, 0
	ds_load_b64 v[23:24], v22
	ds_load_b64 v[25:26], v25
	s_wait_dscnt 0x0
	v_dual_mul_f32 v27, v26, v24 :: v_dual_add_nc_u32 v22, 8, v22
	v_mul_f32_e32 v24, v25, v24
	s_delay_alu instid0(VALU_DEP_2) | instskip(NEXT) | instid1(VALU_DEP_2)
	v_fma_f32 v25, v25, v23, -v27
	v_fmac_f32_e32 v24, v26, v23
	s_delay_alu instid0(VALU_DEP_1)
	v_dual_sub_f32 v8, v8, v25 :: v_dual_sub_f32 v9, v9, v24
	ds_store_b64 v21, v[8:9]
	s_cbranch_scc0 .LBB134_37
; %bb.38:                               ;   in Loop: Header=BB134_35 Depth=4
	s_branch .LBB134_34
.LBB134_39:                             ;   in Loop: Header=BB134_35 Depth=4
                                        ; implicit-def: $vgpr8
                                        ; implicit-def: $sgpr24
	s_cbranch_execz .LBB134_34
; %bb.40:                               ;   in Loop: Header=BB134_35 Depth=4
	ds_load_b64 v[8:9], v11
	s_mov_b32 s24, s14
	s_branch .LBB134_34
.LBB134_41:                             ;   in Loop: Header=BB134_4 Depth=1
	s_mov_b32 s12, 0
.LBB134_42:                             ;   in Loop: Header=BB134_4 Depth=1
	s_wait_alu 0xfffe
	s_and_b32 vcc_lo, exec_lo, s12
	s_wait_alu 0xfffe
	s_cbranch_vccz .LBB134_2
; %bb.43:                               ;   in Loop: Header=BB134_4 Depth=1
	v_add_co_u32 v6, vcc_lo, v4, v15
	s_wait_alu 0xfffd
	v_add_co_ci_u32_e64 v7, null, v5, v14, vcc_lo
	s_mov_b32 s12, 0
	s_mov_b32 s14, s29
	s_branch .LBB134_45
.LBB134_44:                             ;   in Loop: Header=BB134_45 Depth=2
	s_cmp_gt_i32 s14, -1
	s_cselect_b32 s15, -1, 0
	s_add_co_i32 s18, s12, 1
	s_cmp_lt_u32 s12, 2
	s_cselect_b32 s12, -1, 0
	s_wait_alu 0xfffe
	s_and_b32 s12, s15, s12
	s_wait_alu 0xfffe
	s_and_not1_b32 vcc_lo, exec_lo, s12
	s_mov_b32 s12, s18
	s_wait_alu 0xfffe
	s_cbranch_vccnz .LBB134_2
.LBB134_45:                             ;   Parent Loop BB134_4 Depth=1
                                        ; =>  This Loop Header: Depth=2
                                        ;       Child Loop BB134_48 Depth 3
                                        ;         Child Loop BB134_49 Depth 4
                                        ;         Child Loop BB134_51 Depth 4
                                        ;           Child Loop BB134_52 Depth 5
                                        ;         Child Loop BB134_56 Depth 4
                                        ;           Child Loop BB134_58 Depth 5
	s_getpc_b64 s[18:19]
	s_wait_alu 0xfffe
	s_sext_i32_i16 s19, s19
	s_add_co_u32 s18, s18, __const._ZL30rocblas_trsm_small_left_deviceILi4ELi4ELb0E19rocblas_complex_numIfES1_PKPKS1_PKPS1_Ev13rocblas_fill_18rocblas_operation_17rocblas_diagonal_iiT3_T4_lilT5_lili.step_sizes@rel32@lo+12
	s_wait_alu 0xfffe
	s_add_co_ci_u32 s19, s19, __const._ZL30rocblas_trsm_small_left_deviceILi4ELi4ELb0E19rocblas_complex_numIfES1_PKPKS1_PKPS1_Ev13rocblas_fill_18rocblas_operation_17rocblas_diagonal_iiT3_T4_lilT5_lili.step_sizes@rel32@hi+24
	s_lshl_b64 s[20:21], s[12:13], 2
	s_wait_alu 0xfffe
	s_add_nc_u64 s[18:19], s[18:19], s[20:21]
	s_load_b32 s22, s[18:19], 0x0
	s_wait_kmcnt 0x0
	s_add_co_i32 s23, s22, -1
	s_wait_alu 0xfffe
	s_cmp_lt_i32 s14, s23
	s_cbranch_scc1 .LBB134_44
; %bb.46:                               ;   in Loop: Header=BB134_45 Depth=2
	s_lshl_b32 s15, s14, 3
	s_lshl_b32 s18, s22, 3
	s_max_i32 s24, s22, 1
	s_add_co_i32 s25, s33, s15
	s_wait_alu 0xfffe
	s_sub_co_i32 s35, 0, s18
	s_mul_i32 s36, s14, 40
	s_mul_i32 s37, s22, 0xffffffd8
	s_branch .LBB134_48
.LBB134_47:                             ;   in Loop: Header=BB134_48 Depth=3
	s_sub_co_i32 s14, s14, s22
	s_add_co_i32 s25, s25, s35
	s_add_co_i32 s36, s36, s37
	s_cmp_lt_i32 s14, s23
	s_cbranch_scc1 .LBB134_44
.LBB134_48:                             ;   Parent Loop BB134_4 Depth=1
                                        ;     Parent Loop BB134_45 Depth=2
                                        ; =>    This Loop Header: Depth=3
                                        ;         Child Loop BB134_49 Depth 4
                                        ;         Child Loop BB134_51 Depth 4
                                        ;           Child Loop BB134_52 Depth 5
                                        ;         Child Loop BB134_56 Depth 4
                                        ;           Child Loop BB134_58 Depth 5
	s_ashr_i32 s15, s14, 31
	v_mov_b32_e32 v8, v11
	s_lshl_b64 s[18:19], s[14:15], 3
	s_wait_alu 0xfffe
	v_add_co_u32 v4, vcc_lo, v6, s18
	s_wait_alu 0xfffd
	v_add_co_ci_u32_e64 v5, null, s19, v7, vcc_lo
	s_mov_b32 s18, s24
.LBB134_49:                             ;   Parent Loop BB134_4 Depth=1
                                        ;     Parent Loop BB134_45 Depth=2
                                        ;       Parent Loop BB134_48 Depth=3
                                        ; =>      This Inner Loop Header: Depth=4
	flat_load_b64 v[19:20], v[4:5] offset:-4
	v_add_co_u32 v4, vcc_lo, v4, -8
	s_wait_alu 0xfffd
	v_add_co_ci_u32_e64 v5, null, -1, v5, vcc_lo
	s_wait_alu 0xfffe
	s_add_co_i32 s18, s18, -1
	s_wait_alu 0xfffe
	s_cmp_eq_u32 s18, 0
	s_wait_loadcnt_dscnt 0x0
	v_mul_f32_e32 v9, s3, v20
	v_mul_f32_e32 v21, s2, v20
	s_delay_alu instid0(VALU_DEP_2) | instskip(NEXT) | instid1(VALU_DEP_2)
	v_fma_f32 v20, v19, s2, -v9
	v_fmac_f32_e32 v21, s3, v19
	ds_store_b64 v8, v[20:21]
	v_add_nc_u32_e32 v8, 8, v8
	s_cbranch_scc0 .LBB134_49
; %bb.50:                               ;   in Loop: Header=BB134_48 Depth=3
	s_cmp_le_i32 s29, s14
	s_mov_b32 s20, s25
	s_mov_b32 s18, s29
	s_cbranch_scc1 .LBB134_54
.LBB134_51:                             ;   Parent Loop BB134_4 Depth=1
                                        ;     Parent Loop BB134_45 Depth=2
                                        ;       Parent Loop BB134_48 Depth=3
                                        ; =>      This Loop Header: Depth=4
                                        ;           Child Loop BB134_52 Depth 5
	s_wait_alu 0xfffe
	s_ashr_i32 s19, s18, 31
	v_mov_b32_e32 v8, v11
	s_wait_alu 0xfffe
	s_lshl_b64 s[38:39], s[18:19], 3
	s_mov_b32 s19, s20
	s_wait_alu 0xfffe
	v_add_co_u32 v4, vcc_lo, v17, s38
	s_wait_alu 0xfffd
	v_add_co_ci_u32_e64 v5, null, s39, v18, vcc_lo
	s_mov_b32 s21, s24
	flat_load_b64 v[4:5], v[4:5]
.LBB134_52:                             ;   Parent Loop BB134_4 Depth=1
                                        ;     Parent Loop BB134_45 Depth=2
                                        ;       Parent Loop BB134_48 Depth=3
                                        ;         Parent Loop BB134_51 Depth=4
                                        ; =>        This Inner Loop Header: Depth=5
	v_mov_b32_e32 v9, s19
	s_wait_alu 0xfffe
	s_add_co_i32 s21, s21, -1
	s_add_co_i32 s19, s19, -8
	s_wait_alu 0xfffe
	s_cmp_eq_u32 s21, 0
	ds_load_b64 v[19:20], v9
	ds_load_b64 v[21:22], v8
	s_wait_loadcnt_dscnt 0x1
	v_mul_f32_e32 v9, v20, v5
	v_mul_f32_e32 v20, v20, v4
	s_delay_alu instid0(VALU_DEP_1) | instskip(SKIP_1) | instid1(VALU_DEP_1)
	v_fmac_f32_e32 v20, v19, v5
	s_wait_dscnt 0x0
	v_sub_f32_e32 v20, v22, v20
	v_fma_f32 v9, v19, v4, -v9
	s_delay_alu instid0(VALU_DEP_1)
	v_sub_f32_e32 v19, v21, v9
	ds_store_b64 v8, v[19:20]
	v_add_nc_u32_e32 v8, 8, v8
	s_cbranch_scc0 .LBB134_52
; %bb.53:                               ;   in Loop: Header=BB134_51 Depth=4
	s_add_co_i32 s18, s18, -1
	s_sub_co_i32 s20, s20, 32
	s_wait_alu 0xfffe
	s_cmp_le_i32 s18, s14
	s_cbranch_scc0 .LBB134_51
.LBB134_54:                             ;   in Loop: Header=BB134_48 Depth=3
	s_mov_b32 s38, 0
	s_mov_b32 s39, s36
	s_branch .LBB134_56
.LBB134_55:                             ;   in Loop: Header=BB134_56 Depth=4
	s_wait_alu 0xfffe
	s_mul_i32 s20, s20, 40
	s_lshl_b64 s[18:19], s[18:19], 3
	s_wait_alu 0xfffe
	v_mov_b32_e32 v9, s20
	s_add_co_i32 s38, s38, 1
	s_add_co_i32 s39, s39, -8
	s_wait_alu 0xfffe
	s_cmp_eq_u32 s38, s24
	ds_load_b64 v[19:20], v9
	s_wait_dscnt 0x0
	v_mul_f32_e32 v9, v20, v5
	v_mul_f32_e32 v22, v19, v5
	s_delay_alu instid0(VALU_DEP_2) | instskip(NEXT) | instid1(VALU_DEP_2)
	v_fma_f32 v21, v19, v4, -v9
	v_fmac_f32_e32 v22, v20, v4
	v_add_co_u32 v4, vcc_lo, v17, s18
	s_wait_alu 0xfffd
	v_add_co_ci_u32_e64 v5, null, s19, v18, vcc_lo
	ds_store_b64 v8, v[21:22]
	flat_store_b64 v[4:5], v[21:22]
	s_cbranch_scc1 .LBB134_47
.LBB134_56:                             ;   Parent Loop BB134_4 Depth=1
                                        ;     Parent Loop BB134_45 Depth=2
                                        ;       Parent Loop BB134_48 Depth=3
                                        ; =>      This Loop Header: Depth=4
                                        ;           Child Loop BB134_58 Depth 5
	s_wait_alu 0xfffe
	v_lshl_add_u32 v8, s38, 3, v11
	s_cmp_lg_u32 s38, 0
	s_cbranch_scc0 .LBB134_60
; %bb.57:                               ;   in Loop: Header=BB134_56 Depth=4
	ds_load_b64 v[4:5], v8
	v_mov_b32_e32 v9, v11
	s_mov_b32 s18, s39
	s_mov_b32 s19, s38
.LBB134_58:                             ;   Parent Loop BB134_4 Depth=1
                                        ;     Parent Loop BB134_45 Depth=2
                                        ;       Parent Loop BB134_48 Depth=3
                                        ;         Parent Loop BB134_56 Depth=4
                                        ; =>        This Inner Loop Header: Depth=5
	s_wait_alu 0xfffe
	v_mov_b32_e32 v21, s18
	s_add_co_i32 s19, s19, -1
	s_sub_co_i32 s18, s18, 32
	s_wait_alu 0xfffe
	s_cmp_eq_u32 s19, 0
	ds_load_b64 v[19:20], v9
	ds_load_b64 v[21:22], v21
	v_add_nc_u32_e32 v9, 8, v9
	s_wait_dscnt 0x0
	v_mul_f32_e32 v23, v22, v20
	v_mul_f32_e32 v20, v21, v20
	s_delay_alu instid0(VALU_DEP_2) | instskip(NEXT) | instid1(VALU_DEP_2)
	v_fma_f32 v21, v21, v19, -v23
	v_fmac_f32_e32 v20, v22, v19
	s_delay_alu instid0(VALU_DEP_1)
	v_dual_sub_f32 v4, v4, v21 :: v_dual_sub_f32 v5, v5, v20
	ds_store_b64 v8, v[4:5]
	s_cbranch_scc0 .LBB134_58
; %bb.59:                               ;   in Loop: Header=BB134_56 Depth=4
	s_sub_co_i32 s20, s14, s38
	s_wait_alu 0xfffe
	s_ashr_i32 s21, s20, 31
	s_wait_alu 0xfffe
	s_mov_b64 s[18:19], s[20:21]
	s_branch .LBB134_55
.LBB134_60:                             ;   in Loop: Header=BB134_56 Depth=4
                                        ; implicit-def: $vgpr4
                                        ; implicit-def: $sgpr20
                                        ; implicit-def: $sgpr18_sgpr19
	s_cbranch_execz .LBB134_55
; %bb.61:                               ;   in Loop: Header=BB134_56 Depth=4
	ds_load_b64 v[4:5], v11
	s_mov_b64 s[18:19], s[14:15]
	s_mov_b32 s20, s14
	s_branch .LBB134_55
.LBB134_62:
	s_endpgm
	.section	.rodata,"a",@progbits
	.p2align	6, 0x0
	.amdhsa_kernel _ZL30rocblas_trsm_small_left_deviceILi4ELi4ELb0E19rocblas_complex_numIfES1_PKPKS1_PKPS1_Ev13rocblas_fill_18rocblas_operation_17rocblas_diagonal_iiT3_T4_lilT5_lili
		.amdhsa_group_segment_fixed_size 256
		.amdhsa_private_segment_fixed_size 0
		.amdhsa_kernarg_size 360
		.amdhsa_user_sgpr_count 4
		.amdhsa_user_sgpr_dispatch_ptr 1
		.amdhsa_user_sgpr_queue_ptr 0
		.amdhsa_user_sgpr_kernarg_segment_ptr 1
		.amdhsa_user_sgpr_dispatch_id 0
		.amdhsa_user_sgpr_private_segment_size 0
		.amdhsa_wavefront_size32 1
		.amdhsa_uses_dynamic_stack 0
		.amdhsa_enable_private_segment 0
		.amdhsa_system_sgpr_workgroup_id_x 1
		.amdhsa_system_sgpr_workgroup_id_y 0
		.amdhsa_system_sgpr_workgroup_id_z 1
		.amdhsa_system_sgpr_workgroup_info 0
		.amdhsa_system_vgpr_workitem_id 2
		.amdhsa_next_free_vgpr 28
		.amdhsa_next_free_sgpr 40
		.amdhsa_reserve_vcc 1
		.amdhsa_float_round_mode_32 0
		.amdhsa_float_round_mode_16_64 0
		.amdhsa_float_denorm_mode_32 3
		.amdhsa_float_denorm_mode_16_64 3
		.amdhsa_fp16_overflow 0
		.amdhsa_workgroup_processor_mode 1
		.amdhsa_memory_ordered 1
		.amdhsa_forward_progress 1
		.amdhsa_inst_pref_size 24
		.amdhsa_round_robin_scheduling 0
		.amdhsa_exception_fp_ieee_invalid_op 0
		.amdhsa_exception_fp_denorm_src 0
		.amdhsa_exception_fp_ieee_div_zero 0
		.amdhsa_exception_fp_ieee_overflow 0
		.amdhsa_exception_fp_ieee_underflow 0
		.amdhsa_exception_fp_ieee_inexact 0
		.amdhsa_exception_int_div_zero 0
	.end_amdhsa_kernel
	.section	.text._ZL30rocblas_trsm_small_left_deviceILi4ELi4ELb0E19rocblas_complex_numIfES1_PKPKS1_PKPS1_Ev13rocblas_fill_18rocblas_operation_17rocblas_diagonal_iiT3_T4_lilT5_lili,"axG",@progbits,_ZL30rocblas_trsm_small_left_deviceILi4ELi4ELb0E19rocblas_complex_numIfES1_PKPKS1_PKPS1_Ev13rocblas_fill_18rocblas_operation_17rocblas_diagonal_iiT3_T4_lilT5_lili,comdat
.Lfunc_end134:
	.size	_ZL30rocblas_trsm_small_left_deviceILi4ELi4ELb0E19rocblas_complex_numIfES1_PKPKS1_PKPS1_Ev13rocblas_fill_18rocblas_operation_17rocblas_diagonal_iiT3_T4_lilT5_lili, .Lfunc_end134-_ZL30rocblas_trsm_small_left_deviceILi4ELi4ELb0E19rocblas_complex_numIfES1_PKPKS1_PKPS1_Ev13rocblas_fill_18rocblas_operation_17rocblas_diagonal_iiT3_T4_lilT5_lili
                                        ; -- End function
	.set _ZL30rocblas_trsm_small_left_deviceILi4ELi4ELb0E19rocblas_complex_numIfES1_PKPKS1_PKPS1_Ev13rocblas_fill_18rocblas_operation_17rocblas_diagonal_iiT3_T4_lilT5_lili.num_vgpr, 28
	.set _ZL30rocblas_trsm_small_left_deviceILi4ELi4ELb0E19rocblas_complex_numIfES1_PKPKS1_PKPS1_Ev13rocblas_fill_18rocblas_operation_17rocblas_diagonal_iiT3_T4_lilT5_lili.num_agpr, 0
	.set _ZL30rocblas_trsm_small_left_deviceILi4ELi4ELb0E19rocblas_complex_numIfES1_PKPKS1_PKPS1_Ev13rocblas_fill_18rocblas_operation_17rocblas_diagonal_iiT3_T4_lilT5_lili.numbered_sgpr, 40
	.set _ZL30rocblas_trsm_small_left_deviceILi4ELi4ELb0E19rocblas_complex_numIfES1_PKPKS1_PKPS1_Ev13rocblas_fill_18rocblas_operation_17rocblas_diagonal_iiT3_T4_lilT5_lili.num_named_barrier, 0
	.set _ZL30rocblas_trsm_small_left_deviceILi4ELi4ELb0E19rocblas_complex_numIfES1_PKPKS1_PKPS1_Ev13rocblas_fill_18rocblas_operation_17rocblas_diagonal_iiT3_T4_lilT5_lili.private_seg_size, 0
	.set _ZL30rocblas_trsm_small_left_deviceILi4ELi4ELb0E19rocblas_complex_numIfES1_PKPKS1_PKPS1_Ev13rocblas_fill_18rocblas_operation_17rocblas_diagonal_iiT3_T4_lilT5_lili.uses_vcc, 1
	.set _ZL30rocblas_trsm_small_left_deviceILi4ELi4ELb0E19rocblas_complex_numIfES1_PKPKS1_PKPS1_Ev13rocblas_fill_18rocblas_operation_17rocblas_diagonal_iiT3_T4_lilT5_lili.uses_flat_scratch, 0
	.set _ZL30rocblas_trsm_small_left_deviceILi4ELi4ELb0E19rocblas_complex_numIfES1_PKPKS1_PKPS1_Ev13rocblas_fill_18rocblas_operation_17rocblas_diagonal_iiT3_T4_lilT5_lili.has_dyn_sized_stack, 0
	.set _ZL30rocblas_trsm_small_left_deviceILi4ELi4ELb0E19rocblas_complex_numIfES1_PKPKS1_PKPS1_Ev13rocblas_fill_18rocblas_operation_17rocblas_diagonal_iiT3_T4_lilT5_lili.has_recursion, 0
	.set _ZL30rocblas_trsm_small_left_deviceILi4ELi4ELb0E19rocblas_complex_numIfES1_PKPKS1_PKPS1_Ev13rocblas_fill_18rocblas_operation_17rocblas_diagonal_iiT3_T4_lilT5_lili.has_indirect_call, 0
	.section	.AMDGPU.csdata,"",@progbits
; Kernel info:
; codeLenInByte = 3040
; TotalNumSgprs: 42
; NumVgprs: 28
; ScratchSize: 0
; MemoryBound: 0
; FloatMode: 240
; IeeeMode: 1
; LDSByteSize: 256 bytes/workgroup (compile time only)
; SGPRBlocks: 0
; VGPRBlocks: 3
; NumSGPRsForWavesPerEU: 42
; NumVGPRsForWavesPerEU: 28
; Occupancy: 16
; WaveLimiterHint : 1
; COMPUTE_PGM_RSRC2:SCRATCH_EN: 0
; COMPUTE_PGM_RSRC2:USER_SGPR: 4
; COMPUTE_PGM_RSRC2:TRAP_HANDLER: 0
; COMPUTE_PGM_RSRC2:TGID_X_EN: 1
; COMPUTE_PGM_RSRC2:TGID_Y_EN: 0
; COMPUTE_PGM_RSRC2:TGID_Z_EN: 1
; COMPUTE_PGM_RSRC2:TIDIG_COMP_CNT: 2
	.section	.text._ZL38rocblas_trsm_small_left_device_sharedBILi4ELi4ELb1E19rocblas_complex_numIfES1_PKPKS1_PKPS1_Ev13rocblas_fill_18rocblas_operation_17rocblas_diagonal_iiT3_T4_lilT5_lili,"axG",@progbits,_ZL38rocblas_trsm_small_left_device_sharedBILi4ELi4ELb1E19rocblas_complex_numIfES1_PKPKS1_PKPS1_Ev13rocblas_fill_18rocblas_operation_17rocblas_diagonal_iiT3_T4_lilT5_lili,comdat
	.globl	_ZL38rocblas_trsm_small_left_device_sharedBILi4ELi4ELb1E19rocblas_complex_numIfES1_PKPKS1_PKPS1_Ev13rocblas_fill_18rocblas_operation_17rocblas_diagonal_iiT3_T4_lilT5_lili ; -- Begin function _ZL38rocblas_trsm_small_left_device_sharedBILi4ELi4ELb1E19rocblas_complex_numIfES1_PKPKS1_PKPS1_Ev13rocblas_fill_18rocblas_operation_17rocblas_diagonal_iiT3_T4_lilT5_lili
	.p2align	8
	.type	_ZL38rocblas_trsm_small_left_device_sharedBILi4ELi4ELb1E19rocblas_complex_numIfES1_PKPKS1_PKPS1_Ev13rocblas_fill_18rocblas_operation_17rocblas_diagonal_iiT3_T4_lilT5_lili,@function
_ZL38rocblas_trsm_small_left_device_sharedBILi4ELi4ELb1E19rocblas_complex_numIfES1_PKPKS1_PKPS1_Ev13rocblas_fill_18rocblas_operation_17rocblas_diagonal_iiT3_T4_lilT5_lili: ; @_ZL38rocblas_trsm_small_left_device_sharedBILi4ELi4ELb1E19rocblas_complex_numIfES1_PKPKS1_PKPS1_Ev13rocblas_fill_18rocblas_operation_17rocblas_diagonal_iiT3_T4_lilT5_lili
; %bb.0:
	s_load_b32 s20, s[2:3], 0x60
	s_lshr_b32 s16, ttmp7, 16
	s_wait_kmcnt 0x0
	s_cmp_ge_u32 s16, s20
	s_cbranch_scc1 .LBB135_66
; %bb.1:
	s_clause 0x1
	s_load_b32 s18, s[2:3], 0x30
	s_load_b32 s26, s[2:3], 0x50
	s_load_b64 s[0:1], s[0:1], 0x4
	s_clause 0x2
	s_load_b128 s[12:15], s[2:3], 0x4
	s_load_b32 s17, s[2:3], 0x68
	s_load_b128 s[4:7], s[2:3], 0x20
	v_bfe_u32 v2, v0, 10, 10
	s_clause 0x1
	s_load_b128 s[8:11], s[2:3], 0x40
	s_load_b64 s[2:3], s[2:3], 0x14
	v_and_b32_e32 v1, 0x3ff, v0
	v_bfe_u32 v0, v0, 20, 10
	s_delay_alu instid0(VALU_DEP_2)
	v_lshlrev_b32_e32 v10, 3, v1
	s_wait_kmcnt 0x0
	s_ashr_i32 s19, s18, 31
	s_ashr_i32 s27, s26, 31
	s_lshr_b32 s0, s0, 16
	s_cmp_lg_u32 s12, 0x71
	v_mul_u32_u24_e32 v2, s1, v2
	s_mul_i32 s0, s0, s1
	s_cselect_b32 s1, -1, 0
	s_min_i32 s21, s14, 4
	s_wait_alu 0xfffe
	s_lshl_b32 s28, ttmp9, 2
	s_add_co_i32 s17, s17, -1
	s_add_co_i32 s22, s21, -1
	s_sub_co_i32 s15, s15, s28
	s_cmp_ge_u32 ttmp9, s17
	v_mul_u32_u24_e32 v3, s0, v1
	s_cselect_b32 s15, s15, 4
	s_ashr_i32 s29, s28, 31
	s_cmp_lg_u32 s13, 0x84
	v_cmp_gt_i32_e32 vcc_lo, s15, v1
	s_cselect_b32 s23, -1, 0
	s_cmp_gt_i32 s14, 0
	v_add3_u32 v0, v3, v2, v0
	s_cselect_b32 s17, -1, 0
	s_cmp_lg_u32 s12, 0x6f
	s_mul_u64 s[30:31], s[26:27], s[28:29]
	s_cselect_b32 s24, -1, 0
	s_lshl_b64 s[14:15], s[28:29], 3
	v_lshl_add_u32 v11, v0, 5, 0x100
	s_wait_alu 0xfffe
	v_or_b32_e32 v0, s14, v10
	s_lshl_b64 s[28:29], s[6:7], 3
	s_lshl_b64 s[6:7], s[10:11], 3
	s_mov_b32 s13, 0
	s_and_b32 s25, vcc_lo, s17
	v_mul_lo_u32 v7, v0, s27
	v_mad_co_u64_u32 v[4:5], null, v0, s26, s[6:7]
	v_add_co_u32 v0, s10, s28, v10
	s_delay_alu instid0(VALU_DEP_1)
	v_add_co_ci_u32_e64 v13, null, s29, 0, s10
	s_mul_i32 s10, s15, s26
	v_or_b32_e32 v14, 4, v0
	v_mov_b32_e32 v0, 1.0
	v_mad_co_i64_i32 v[2:3], null, s26, v1, 0
	v_lshlrev_b32_e32 v6, 5, v1
	v_cmp_gt_i32_e64 s0, s21, v1
	v_dual_mov_b32 v1, 0 :: v_dual_add_nc_u32 v12, 0x80, v10
	s_wait_alu 0xfffe
	v_add3_u32 v15, s10, v5, v7
	v_or_b32_e32 v16, 4, v4
	v_lshlrev_b64_e32 v[2:3], 3, v[2:3]
	v_add_nc_u32_e32 v17, v10, v6
	s_lshl_b32 s26, s21, 3
	s_lshl_b64 s[10:11], s[18:19], 3
	s_wait_alu 0xfffe
	s_add_co_i32 s26, s26, -8
	s_lshl_b64 s[14:15], s[30:31], 3
	s_branch .LBB135_3
.LBB135_2:                              ;   in Loop: Header=BB135_3 Depth=1
	s_or_b32 exec_lo, exec_lo, s12
	s_add_co_i32 s16, s16, 0x10000
	s_wait_alu 0xfffe
	s_cmp_lt_u32 s16, s20
	s_cbranch_scc0 .LBB135_66
.LBB135_3:                              ; =>This Loop Header: Depth=1
                                        ;     Child Loop BB135_6 Depth 2
                                        ;     Child Loop BB135_20 Depth 2
	;; [unrolled: 1-line block ×3, first 2 shown]
                                        ;       Child Loop BB135_27 Depth 3
                                        ;         Child Loop BB135_28 Depth 4
                                        ;         Child Loop BB135_30 Depth 4
                                        ;           Child Loop BB135_31 Depth 5
                                        ;         Child Loop BB135_35 Depth 4
                                        ;           Child Loop BB135_37 Depth 5
                                        ;     Child Loop BB135_45 Depth 2
                                        ;       Child Loop BB135_48 Depth 3
                                        ;         Child Loop BB135_49 Depth 4
                                        ;         Child Loop BB135_52 Depth 4
                                        ;           Child Loop BB135_53 Depth 5
                                        ;         Child Loop BB135_57 Depth 4
                                        ;           Child Loop BB135_59 Depth 5
                                        ;     Child Loop BB135_65 Depth 2
	s_mov_b32 s17, s13
	s_wait_alu 0xfffe
	s_lshl_b64 s[18:19], s[16:17], 3
	s_delay_alu instid0(SALU_CYCLE_1)
	s_add_nc_u64 s[28:29], s[8:9], s[18:19]
	global_load_b64 v[4:5], v1, s[28:29]
	s_and_saveexec_b32 s12, s0
	s_cbranch_execz .LBB135_18
; %bb.4:                                ;   in Loop: Header=BB135_3 Depth=1
	s_add_nc_u64 s[18:19], s[4:5], s[18:19]
	v_mov_b32_e32 v18, v10
	global_load_b64 v[6:7], v1, s[18:19]
	s_mov_b32 s17, s21
	s_wait_loadcnt 0x0
	v_add_co_u32 v6, vcc_lo, v6, v14
	s_wait_alu 0xfffd
	v_add_co_ci_u32_e64 v7, null, v7, v13, vcc_lo
	s_branch .LBB135_6
.LBB135_5:                              ;   in Loop: Header=BB135_6 Depth=2
	flat_load_b32 v8, v[6:7] offset:-4
	v_add_co_u32 v6, vcc_lo, v6, s10
	s_wait_alu 0xfffd
	v_add_co_ci_u32_e64 v7, null, s11, v7, vcc_lo
	s_add_co_i32 s17, s17, -1
	s_wait_alu 0xfffe
	s_cmp_eq_u32 s17, 0
	s_wait_loadcnt_dscnt 0x0
	ds_store_b64 v18, v[8:9]
	v_add_nc_u32_e32 v18, 32, v18
	s_cbranch_scc1 .LBB135_10
.LBB135_6:                              ;   Parent Loop BB135_3 Depth=1
                                        ; =>  This Inner Loop Header: Depth=2
	s_and_b32 vcc_lo, exec_lo, s1
	s_mov_b32 s18, -1
                                        ; implicit-def: $vgpr9
	s_wait_alu 0xfffe
	s_cbranch_vccz .LBB135_8
; %bb.7:                                ;   in Loop: Header=BB135_6 Depth=2
	flat_load_b32 v9, v[6:7]
	s_mov_b32 s18, 0
.LBB135_8:                              ;   in Loop: Header=BB135_6 Depth=2
	s_delay_alu instid0(SALU_CYCLE_1)
	s_and_not1_b32 vcc_lo, exec_lo, s18
	s_wait_alu 0xfffe
	s_cbranch_vccnz .LBB135_5
; %bb.9:                                ;   in Loop: Header=BB135_6 Depth=2
	flat_load_b32 v8, v[6:7]
	s_wait_loadcnt_dscnt 0x0
	v_xor_b32_e32 v9, 0x80000000, v8
	s_branch .LBB135_5
.LBB135_10:                             ;   in Loop: Header=BB135_3 Depth=1
	s_and_b32 vcc_lo, exec_lo, s23
	s_mov_b32 s17, -1
	s_wait_alu 0xfffe
	s_cbranch_vccz .LBB135_16
; %bb.11:                               ;   in Loop: Header=BB135_3 Depth=1
	ds_load_b64 v[6:7], v17
                                        ; implicit-def: $vgpr8
	s_wait_dscnt 0x0
	v_cmp_ngt_f32_e64 s17, |v6|, |v7|
	s_and_saveexec_b32 s18, s17
	s_delay_alu instid0(SALU_CYCLE_1)
	s_xor_b32 s17, exec_lo, s18
	s_cbranch_execz .LBB135_13
; %bb.12:                               ;   in Loop: Header=BB135_3 Depth=1
	v_div_scale_f32 v8, null, v7, v7, v6
	v_div_scale_f32 v19, vcc_lo, v6, v7, v6
	s_delay_alu instid0(VALU_DEP_2) | instskip(NEXT) | instid1(TRANS32_DEP_1)
	v_rcp_f32_e32 v9, v8
	v_fma_f32 v18, -v8, v9, 1.0
	s_delay_alu instid0(VALU_DEP_1) | instskip(NEXT) | instid1(VALU_DEP_1)
	v_fmac_f32_e32 v9, v18, v9
	v_mul_f32_e32 v18, v19, v9
	s_delay_alu instid0(VALU_DEP_1) | instskip(NEXT) | instid1(VALU_DEP_1)
	v_fma_f32 v20, -v8, v18, v19
	v_fmac_f32_e32 v18, v20, v9
	s_delay_alu instid0(VALU_DEP_1) | instskip(SKIP_1) | instid1(VALU_DEP_1)
	v_fma_f32 v8, -v8, v18, v19
	s_wait_alu 0xfffd
	v_div_fmas_f32 v8, v8, v9, v18
	s_delay_alu instid0(VALU_DEP_1) | instskip(NEXT) | instid1(VALU_DEP_1)
	v_div_fixup_f32 v8, v8, v7, v6
	v_fmac_f32_e32 v7, v6, v8
	s_delay_alu instid0(VALU_DEP_1) | instskip(SKIP_1) | instid1(VALU_DEP_2)
	v_div_scale_f32 v6, null, v7, v7, 1.0
	v_div_scale_f32 v19, vcc_lo, 1.0, v7, 1.0
	v_rcp_f32_e32 v9, v6
	s_delay_alu instid0(TRANS32_DEP_1) | instskip(NEXT) | instid1(VALU_DEP_1)
	v_fma_f32 v18, -v6, v9, 1.0
	v_fmac_f32_e32 v9, v18, v9
	s_delay_alu instid0(VALU_DEP_1) | instskip(NEXT) | instid1(VALU_DEP_1)
	v_mul_f32_e32 v18, v19, v9
	v_fma_f32 v20, -v6, v18, v19
	s_delay_alu instid0(VALU_DEP_1) | instskip(NEXT) | instid1(VALU_DEP_1)
	v_fmac_f32_e32 v18, v20, v9
	v_fma_f32 v6, -v6, v18, v19
	s_wait_alu 0xfffd
	s_delay_alu instid0(VALU_DEP_1) | instskip(SKIP_1) | instid1(VALU_DEP_2)
	v_div_fmas_f32 v6, v6, v9, v18
	v_add_f32_e32 v9, 0, v8
	v_div_fixup_f32 v6, v6, v7, 1.0
	v_fma_f32 v7, v8, 0, -1.0
	s_delay_alu instid0(VALU_DEP_2) | instskip(NEXT) | instid1(VALU_DEP_2)
	v_mul_f32_e32 v8, v9, v6
	v_mul_f32_e32 v9, v7, v6
                                        ; implicit-def: $vgpr6_vgpr7
.LBB135_13:                             ;   in Loop: Header=BB135_3 Depth=1
	s_wait_alu 0xfffe
	s_and_not1_saveexec_b32 s17, s17
	s_cbranch_execz .LBB135_15
; %bb.14:                               ;   in Loop: Header=BB135_3 Depth=1
	v_div_scale_f32 v8, null, v6, v6, v7
	v_div_scale_f32 v19, vcc_lo, v7, v6, v7
	s_delay_alu instid0(VALU_DEP_2) | instskip(NEXT) | instid1(TRANS32_DEP_1)
	v_rcp_f32_e32 v9, v8
	v_fma_f32 v18, -v8, v9, 1.0
	s_delay_alu instid0(VALU_DEP_1) | instskip(NEXT) | instid1(VALU_DEP_1)
	v_fmac_f32_e32 v9, v18, v9
	v_mul_f32_e32 v18, v19, v9
	s_delay_alu instid0(VALU_DEP_1) | instskip(NEXT) | instid1(VALU_DEP_1)
	v_fma_f32 v20, -v8, v18, v19
	v_fmac_f32_e32 v18, v20, v9
	s_delay_alu instid0(VALU_DEP_1) | instskip(SKIP_1) | instid1(VALU_DEP_1)
	v_fma_f32 v8, -v8, v18, v19
	s_wait_alu 0xfffd
	v_div_fmas_f32 v8, v8, v9, v18
	s_delay_alu instid0(VALU_DEP_1) | instskip(NEXT) | instid1(VALU_DEP_1)
	v_div_fixup_f32 v9, v8, v6, v7
	v_fmac_f32_e32 v6, v7, v9
	s_delay_alu instid0(VALU_DEP_1) | instskip(SKIP_1) | instid1(VALU_DEP_2)
	v_div_scale_f32 v7, null, v6, v6, 1.0
	v_div_scale_f32 v19, vcc_lo, 1.0, v6, 1.0
	v_rcp_f32_e32 v8, v7
	s_delay_alu instid0(TRANS32_DEP_1) | instskip(NEXT) | instid1(VALU_DEP_1)
	v_fma_f32 v18, -v7, v8, 1.0
	v_fmac_f32_e32 v8, v18, v8
	s_delay_alu instid0(VALU_DEP_1) | instskip(NEXT) | instid1(VALU_DEP_1)
	v_mul_f32_e32 v18, v19, v8
	v_fma_f32 v20, -v7, v18, v19
	s_delay_alu instid0(VALU_DEP_1) | instskip(NEXT) | instid1(VALU_DEP_1)
	v_fmac_f32_e32 v18, v20, v8
	v_fma_f32 v7, -v7, v18, v19
	s_wait_alu 0xfffd
	s_delay_alu instid0(VALU_DEP_1) | instskip(SKIP_1) | instid1(VALU_DEP_2)
	v_div_fmas_f32 v7, v7, v8, v18
	v_fma_f32 v8, v9, 0, 1.0
	v_div_fixup_f32 v6, v7, v6, 1.0
	s_delay_alu instid0(VALU_DEP_1)
	v_mul_f32_e32 v8, v8, v6
	v_mul_f32_e64 v9, -v9, v6
.LBB135_15:                             ;   in Loop: Header=BB135_3 Depth=1
	s_wait_alu 0xfffe
	s_or_b32 exec_lo, exec_lo, s17
	s_mov_b32 s17, 0
	ds_store_b64 v17, v[8:9]
.LBB135_16:                             ;   in Loop: Header=BB135_3 Depth=1
	s_wait_alu 0xfffe
	s_and_b32 vcc_lo, exec_lo, s17
	s_wait_alu 0xfffe
	s_cbranch_vccz .LBB135_18
; %bb.17:                               ;   in Loop: Header=BB135_3 Depth=1
	ds_store_b64 v17, v[0:1]
.LBB135_18:                             ;   in Loop: Header=BB135_3 Depth=1
	s_or_b32 exec_lo, exec_lo, s12
	s_and_saveexec_b32 s12, s25
	s_cbranch_execz .LBB135_21
; %bb.19:                               ;   in Loop: Header=BB135_3 Depth=1
	s_wait_loadcnt 0x0
	v_add_co_u32 v6, vcc_lo, v4, v16
	s_wait_alu 0xfffd
	v_add_co_ci_u32_e64 v7, null, v5, v15, vcc_lo
	v_mov_b32_e32 v8, v12
	s_mov_b32 s17, s21
.LBB135_20:                             ;   Parent Loop BB135_3 Depth=1
                                        ; =>  This Inner Loop Header: Depth=2
	flat_load_b64 v[18:19], v[6:7] offset:-4
	v_add_co_u32 v6, vcc_lo, v6, 8
	s_wait_alu 0xfffd
	v_add_co_ci_u32_e64 v7, null, 0, v7, vcc_lo
	s_wait_alu 0xfffe
	s_add_co_i32 s17, s17, -1
	s_wait_alu 0xfffe
	s_cmp_lg_u32 s17, 0
	s_wait_loadcnt_dscnt 0x0
	v_mul_f32_e32 v20, s2, v19
	s_delay_alu instid0(VALU_DEP_1) | instskip(NEXT) | instid1(VALU_DEP_1)
	v_dual_mul_f32 v9, s3, v19 :: v_dual_fmac_f32 v20, s3, v18
	v_fma_f32 v19, s2, v18, -v9
	ds_store_b64 v8, v[19:20]
	v_add_nc_u32_e32 v8, 32, v8
	s_cbranch_scc1 .LBB135_20
.LBB135_21:                             ;   in Loop: Header=BB135_3 Depth=1
	s_or_b32 exec_lo, exec_lo, s12
	s_delay_alu instid0(SALU_CYCLE_1)
	s_and_not1_b32 vcc_lo, exec_lo, s24
	s_mov_b32 s12, -1
	; wave barrier
	s_wait_loadcnt_dscnt 0x0
	global_inv scope:SCOPE_SE
	s_wait_alu 0xfffe
	s_cbranch_vccnz .LBB135_42
; %bb.22:                               ;   in Loop: Header=BB135_3 Depth=1
	s_mov_b32 s12, 0
	s_mov_b32 s17, s22
	s_branch .LBB135_24
.LBB135_23:                             ;   in Loop: Header=BB135_24 Depth=2
	s_cmp_gt_i32 s17, -1
	s_cselect_b32 s18, -1, 0
	s_add_co_i32 s19, s12, 1
	s_cmp_lt_u32 s12, 2
	s_cselect_b32 s12, -1, 0
	s_delay_alu instid0(SALU_CYCLE_1) | instskip(NEXT) | instid1(SALU_CYCLE_1)
	s_and_b32 s12, s18, s12
	s_and_b32 vcc_lo, exec_lo, s12
	s_mov_b32 s12, s19
	s_wait_alu 0xfffe
	s_cbranch_vccz .LBB135_41
.LBB135_24:                             ;   Parent Loop BB135_3 Depth=1
                                        ; =>  This Loop Header: Depth=2
                                        ;       Child Loop BB135_27 Depth 3
                                        ;         Child Loop BB135_28 Depth 4
                                        ;         Child Loop BB135_30 Depth 4
                                        ;           Child Loop BB135_31 Depth 5
                                        ;         Child Loop BB135_35 Depth 4
                                        ;           Child Loop BB135_37 Depth 5
	s_getpc_b64 s[18:19]
	s_sext_i32_i16 s19, s19
	s_add_co_u32 s18, s18, __const._ZL38rocblas_trsm_small_left_device_sharedBILi4ELi4ELb1E19rocblas_complex_numIfES1_PKPKS1_PKPS1_Ev13rocblas_fill_18rocblas_operation_17rocblas_diagonal_iiT3_T4_lilT5_lili.step_sizes@rel32@lo+8
	s_add_co_ci_u32 s19, s19, __const._ZL38rocblas_trsm_small_left_device_sharedBILi4ELi4ELb1E19rocblas_complex_numIfES1_PKPKS1_PKPS1_Ev13rocblas_fill_18rocblas_operation_17rocblas_diagonal_iiT3_T4_lilT5_lili.step_sizes@rel32@hi+16
	s_lshl_b64 s[28:29], s[12:13], 2
	s_wait_alu 0xfffe
	s_add_nc_u64 s[18:19], s[18:19], s[28:29]
	s_load_b32 s18, s[18:19], 0x0
	s_wait_kmcnt 0x0
	s_add_co_i32 s19, s18, -1
	s_delay_alu instid0(SALU_CYCLE_1)
	s_cmp_lt_i32 s17, s19
	s_cbranch_scc1 .LBB135_23
; %bb.25:                               ;   in Loop: Header=BB135_24 Depth=2
	s_lshl_b32 s29, s17, 5
	s_lshl_b32 s28, s18, 5
	s_wait_alu 0xfffe
	v_add_nc_u32_e32 v8, s29, v12
	s_max_i32 s27, s18, 1
	s_sub_co_i32 s28, 0, s28
	s_add_co_i32 s29, s26, s29
	s_mul_i32 s30, s17, 40
	s_mul_i32 s31, s18, 0xffffffd8
	s_branch .LBB135_27
.LBB135_26:                             ;   in Loop: Header=BB135_27 Depth=3
	v_add_nc_u32_e32 v8, s28, v8
	s_sub_co_i32 s17, s17, s18
	s_add_co_i32 s29, s29, s28
	s_add_co_i32 s30, s30, s31
	s_wait_alu 0xfffe
	s_cmp_lt_i32 s17, s19
	s_cbranch_scc1 .LBB135_23
.LBB135_27:                             ;   Parent Loop BB135_3 Depth=1
                                        ;     Parent Loop BB135_24 Depth=2
                                        ; =>    This Loop Header: Depth=3
                                        ;         Child Loop BB135_28 Depth 4
                                        ;         Child Loop BB135_30 Depth 4
                                        ;           Child Loop BB135_31 Depth 5
                                        ;         Child Loop BB135_35 Depth 4
                                        ;           Child Loop BB135_37 Depth 5
	v_dual_mov_b32 v6, v11 :: v_dual_mov_b32 v7, v8
	s_wait_alu 0xfffe
	s_mov_b32 s33, s27
.LBB135_28:                             ;   Parent Loop BB135_3 Depth=1
                                        ;     Parent Loop BB135_24 Depth=2
                                        ;       Parent Loop BB135_27 Depth=3
                                        ; =>      This Inner Loop Header: Depth=4
	ds_load_b64 v[18:19], v7
	v_subrev_nc_u32_e32 v7, 32, v7
	s_add_co_i32 s33, s33, -1
	s_delay_alu instid0(SALU_CYCLE_1)
	s_cmp_eq_u32 s33, 0
	s_wait_dscnt 0x0
	ds_store_b64 v6, v[18:19]
	v_add_nc_u32_e32 v6, 8, v6
	s_cbranch_scc0 .LBB135_28
; %bb.29:                               ;   in Loop: Header=BB135_27 Depth=3
	s_cmp_le_i32 s22, s17
	s_mov_b32 s33, s29
	s_mov_b32 s34, s22
	s_cbranch_scc1 .LBB135_33
.LBB135_30:                             ;   Parent Loop BB135_3 Depth=1
                                        ;     Parent Loop BB135_24 Depth=2
                                        ;       Parent Loop BB135_27 Depth=3
                                        ; =>      This Loop Header: Depth=4
                                        ;           Child Loop BB135_31 Depth 5
	s_wait_alu 0xfffe
	v_lshl_add_u32 v6, s34, 5, v12
	v_mov_b32_e32 v9, v11
	s_mov_b32 s35, s33
	s_mov_b32 s36, s27
	ds_load_b64 v[6:7], v6
.LBB135_31:                             ;   Parent Loop BB135_3 Depth=1
                                        ;     Parent Loop BB135_24 Depth=2
                                        ;       Parent Loop BB135_27 Depth=3
                                        ;         Parent Loop BB135_30 Depth=4
                                        ; =>        This Inner Loop Header: Depth=5
	s_wait_alu 0xfffe
	v_mov_b32_e32 v18, s35
	s_add_co_i32 s36, s36, -1
	s_sub_co_i32 s35, s35, 32
	s_wait_alu 0xfffe
	s_cmp_eq_u32 s36, 0
	ds_load_b64 v[18:19], v18
	ds_load_b64 v[20:21], v9
	s_wait_dscnt 0x1
	v_mul_f32_e32 v22, v19, v7
	v_mul_f32_e32 v19, v19, v6
	s_delay_alu instid0(VALU_DEP_2) | instskip(SKIP_1) | instid1(VALU_DEP_1)
	v_fma_f32 v22, v18, v6, -v22
	s_wait_dscnt 0x0
	v_dual_fmac_f32 v19, v18, v7 :: v_dual_sub_f32 v18, v20, v22
	s_delay_alu instid0(VALU_DEP_1)
	v_sub_f32_e32 v19, v21, v19
	ds_store_b64 v9, v[18:19]
	v_add_nc_u32_e32 v9, 8, v9
	s_cbranch_scc0 .LBB135_31
; %bb.32:                               ;   in Loop: Header=BB135_30 Depth=4
	s_add_co_i32 s34, s34, -1
	s_add_co_i32 s33, s33, -8
	s_wait_alu 0xfffe
	s_cmp_le_i32 s34, s17
	s_cbranch_scc0 .LBB135_30
.LBB135_33:                             ;   in Loop: Header=BB135_27 Depth=3
	s_lshl_b32 s33, s17, 5
	s_mov_b32 s34, 0
	s_mov_b32 s35, s30
	s_branch .LBB135_35
.LBB135_34:                             ;   in Loop: Header=BB135_35 Depth=4
	s_wait_alu 0xfffe
	s_mul_i32 s37, s37, 40
	s_add_co_i32 s34, s34, 1
	s_wait_alu 0xfffe
	v_mov_b32_e32 v18, s37
	s_sub_co_i32 s35, s35, 32
	s_cmp_eq_u32 s34, s27
	ds_load_b64 v[18:19], v18
	s_wait_dscnt 0x0
	v_mul_f32_e32 v20, v19, v7
	v_mul_f32_e32 v21, v18, v7
	s_delay_alu instid0(VALU_DEP_2) | instskip(NEXT) | instid1(VALU_DEP_2)
	v_fma_f32 v20, v18, v6, -v20
	v_dual_fmac_f32 v21, v19, v6 :: v_dual_add_nc_u32 v6, s36, v12
	ds_store_b64 v9, v[20:21]
	ds_store_b64 v6, v[20:21]
	s_cbranch_scc1 .LBB135_26
.LBB135_35:                             ;   Parent Loop BB135_3 Depth=1
                                        ;     Parent Loop BB135_24 Depth=2
                                        ;       Parent Loop BB135_27 Depth=3
                                        ; =>      This Loop Header: Depth=4
                                        ;           Child Loop BB135_37 Depth 5
	s_wait_alu 0xfffe
	v_lshl_add_u32 v9, s34, 3, v11
	s_cmp_lg_u32 s34, 0
	s_cbranch_scc0 .LBB135_39
; %bb.36:                               ;   in Loop: Header=BB135_35 Depth=4
	ds_load_b64 v[6:7], v9
	v_mov_b32_e32 v18, v11
	s_sub_co_i32 s37, s17, s34
	s_mov_b32 s38, s35
	s_wait_alu 0xfffe
	s_lshl_b32 s36, s37, 5
	s_mov_b32 s39, s34
.LBB135_37:                             ;   Parent Loop BB135_3 Depth=1
                                        ;     Parent Loop BB135_24 Depth=2
                                        ;       Parent Loop BB135_27 Depth=3
                                        ;         Parent Loop BB135_35 Depth=4
                                        ; =>        This Inner Loop Header: Depth=5
	v_mov_b32_e32 v21, s38
	s_wait_alu 0xfffe
	s_add_co_i32 s39, s39, -1
	s_add_co_i32 s38, s38, -8
	s_wait_alu 0xfffe
	s_cmp_eq_u32 s39, 0
	ds_load_b64 v[19:20], v18
	ds_load_b64 v[21:22], v21
	s_wait_dscnt 0x0
	v_dual_mul_f32 v23, v22, v20 :: v_dual_add_nc_u32 v18, 8, v18
	v_mul_f32_e32 v20, v21, v20
	s_delay_alu instid0(VALU_DEP_2) | instskip(NEXT) | instid1(VALU_DEP_2)
	v_fma_f32 v21, v21, v19, -v23
	v_fmac_f32_e32 v20, v22, v19
	s_delay_alu instid0(VALU_DEP_1)
	v_dual_sub_f32 v6, v6, v21 :: v_dual_sub_f32 v7, v7, v20
	ds_store_b64 v9, v[6:7]
	s_cbranch_scc0 .LBB135_37
; %bb.38:                               ;   in Loop: Header=BB135_35 Depth=4
	s_branch .LBB135_34
.LBB135_39:                             ;   in Loop: Header=BB135_35 Depth=4
                                        ; implicit-def: $vgpr6
                                        ; implicit-def: $sgpr37
                                        ; implicit-def: $sgpr36
	s_cbranch_execz .LBB135_34
; %bb.40:                               ;   in Loop: Header=BB135_35 Depth=4
	ds_load_b64 v[6:7], v11
	s_mov_b32 s36, s33
	s_mov_b32 s37, s17
	s_branch .LBB135_34
.LBB135_41:                             ;   in Loop: Header=BB135_3 Depth=1
	s_mov_b32 s12, 0
.LBB135_42:                             ;   in Loop: Header=BB135_3 Depth=1
	s_delay_alu instid0(SALU_CYCLE_1)
	s_and_b32 vcc_lo, exec_lo, s12
	s_wait_alu 0xfffe
	s_cbranch_vccz .LBB135_63
; %bb.43:                               ;   in Loop: Header=BB135_3 Depth=1
	s_mov_b32 s12, 0
	s_delay_alu instid0(SALU_CYCLE_1)
	s_mov_b32 s17, s12
	s_branch .LBB135_45
.LBB135_44:                             ;   in Loop: Header=BB135_45 Depth=2
	s_cmp_lt_i32 s17, s21
	s_cselect_b32 s18, -1, 0
	s_add_co_i32 s19, s12, 1
	s_cmp_lt_u32 s12, 2
	s_cselect_b32 s12, -1, 0
	s_delay_alu instid0(SALU_CYCLE_1) | instskip(NEXT) | instid1(SALU_CYCLE_1)
	s_and_b32 s12, s18, s12
	s_and_not1_b32 vcc_lo, exec_lo, s12
	s_mov_b32 s12, s19
	s_wait_alu 0xfffe
	s_cbranch_vccnz .LBB135_63
.LBB135_45:                             ;   Parent Loop BB135_3 Depth=1
                                        ; =>  This Loop Header: Depth=2
                                        ;       Child Loop BB135_48 Depth 3
                                        ;         Child Loop BB135_49 Depth 4
                                        ;         Child Loop BB135_52 Depth 4
                                        ;           Child Loop BB135_53 Depth 5
                                        ;         Child Loop BB135_57 Depth 4
                                        ;           Child Loop BB135_59 Depth 5
	s_getpc_b64 s[18:19]
	s_sext_i32_i16 s19, s19
	s_add_co_u32 s18, s18, __const._ZL38rocblas_trsm_small_left_device_sharedBILi4ELi4ELb1E19rocblas_complex_numIfES1_PKPKS1_PKPS1_Ev13rocblas_fill_18rocblas_operation_17rocblas_diagonal_iiT3_T4_lilT5_lili.step_sizes@rel32@lo+8
	s_add_co_ci_u32 s19, s19, __const._ZL38rocblas_trsm_small_left_device_sharedBILi4ELi4ELb1E19rocblas_complex_numIfES1_PKPKS1_PKPS1_Ev13rocblas_fill_18rocblas_operation_17rocblas_diagonal_iiT3_T4_lilT5_lili.step_sizes@rel32@hi+16
	s_lshl_b64 s[28:29], s[12:13], 2
	s_wait_alu 0xfffe
	s_add_nc_u64 s[18:19], s[18:19], s[28:29]
	s_load_b32 s18, s[18:19], 0x0
	s_wait_kmcnt 0x0
	s_add_co_i32 s19, s18, -1
	s_delay_alu instid0(SALU_CYCLE_1)
	s_add_co_i32 s27, s19, s17
	s_wait_alu 0xfffe
	s_cmp_ge_i32 s27, s21
	s_cbranch_scc1 .LBB135_44
; %bb.46:                               ;   in Loop: Header=BB135_45 Depth=2
	v_lshl_add_u32 v8, s17, 5, v12
	s_max_i32 s27, s18, 1
	s_lshl_b32 s28, s18, 5
	s_lshl_b32 s29, s17, 3
	;; [unrolled: 1-line block ×3, first 2 shown]
	s_mul_i32 s31, s17, 40
	s_mul_i32 s33, s18, 40
	s_branch .LBB135_48
.LBB135_47:                             ;   in Loop: Header=BB135_48 Depth=3
	s_add_co_i32 s17, s17, s18
	v_add_nc_u32_e32 v8, s28, v8
	s_wait_alu 0xfffe
	s_add_co_i32 s34, s19, s17
	s_add_co_i32 s29, s29, s30
	;; [unrolled: 1-line block ×3, first 2 shown]
	s_wait_alu 0xfffe
	s_cmp_ge_i32 s34, s21
	s_cbranch_scc1 .LBB135_44
.LBB135_48:                             ;   Parent Loop BB135_3 Depth=1
                                        ;     Parent Loop BB135_45 Depth=2
                                        ; =>    This Loop Header: Depth=3
                                        ;         Child Loop BB135_49 Depth 4
                                        ;         Child Loop BB135_52 Depth 4
                                        ;           Child Loop BB135_53 Depth 5
                                        ;         Child Loop BB135_57 Depth 4
                                        ;           Child Loop BB135_59 Depth 5
	v_dual_mov_b32 v6, v11 :: v_dual_mov_b32 v7, v8
	s_wait_alu 0xfffe
	s_mov_b32 s34, s27
.LBB135_49:                             ;   Parent Loop BB135_3 Depth=1
                                        ;     Parent Loop BB135_45 Depth=2
                                        ;       Parent Loop BB135_48 Depth=3
                                        ; =>      This Inner Loop Header: Depth=4
	ds_load_b64 v[18:19], v7
	v_add_nc_u32_e32 v7, 32, v7
	s_wait_alu 0xfffe
	s_add_co_i32 s34, s34, -1
	s_wait_alu 0xfffe
	s_cmp_eq_u32 s34, 0
	s_wait_dscnt 0x0
	ds_store_b64 v6, v[18:19]
	v_add_nc_u32_e32 v6, 8, v6
	s_cbranch_scc0 .LBB135_49
; %bb.50:                               ;   in Loop: Header=BB135_48 Depth=3
	s_cmp_lt_i32 s17, 1
	s_cbranch_scc1 .LBB135_55
; %bb.51:                               ;   in Loop: Header=BB135_48 Depth=3
	s_mov_b32 s34, 0
	s_mov_b32 s35, s29
.LBB135_52:                             ;   Parent Loop BB135_3 Depth=1
                                        ;     Parent Loop BB135_45 Depth=2
                                        ;       Parent Loop BB135_48 Depth=3
                                        ; =>      This Loop Header: Depth=4
                                        ;           Child Loop BB135_53 Depth 5
	s_wait_alu 0xfffe
	v_lshl_add_u32 v6, s34, 5, v12
	v_mov_b32_e32 v9, v11
	s_mov_b32 s36, s35
	s_mov_b32 s37, s27
	ds_load_b64 v[6:7], v6
.LBB135_53:                             ;   Parent Loop BB135_3 Depth=1
                                        ;     Parent Loop BB135_45 Depth=2
                                        ;       Parent Loop BB135_48 Depth=3
                                        ;         Parent Loop BB135_52 Depth=4
                                        ; =>        This Inner Loop Header: Depth=5
	s_wait_alu 0xfffe
	v_mov_b32_e32 v18, s36
	s_add_co_i32 s37, s37, -1
	s_add_co_i32 s36, s36, 8
	s_wait_alu 0xfffe
	s_cmp_eq_u32 s37, 0
	ds_load_b64 v[18:19], v18
	ds_load_b64 v[20:21], v9
	s_wait_dscnt 0x1
	v_mul_f32_e32 v22, v19, v7
	v_mul_f32_e32 v19, v19, v6
	s_delay_alu instid0(VALU_DEP_2) | instskip(SKIP_1) | instid1(VALU_DEP_1)
	v_fma_f32 v22, v18, v6, -v22
	s_wait_dscnt 0x0
	v_dual_fmac_f32 v19, v18, v7 :: v_dual_sub_f32 v18, v20, v22
	s_delay_alu instid0(VALU_DEP_1)
	v_sub_f32_e32 v19, v21, v19
	ds_store_b64 v9, v[18:19]
	v_add_nc_u32_e32 v9, 8, v9
	s_cbranch_scc0 .LBB135_53
; %bb.54:                               ;   in Loop: Header=BB135_52 Depth=4
	s_add_co_i32 s34, s34, 1
	s_add_co_i32 s35, s35, 32
	s_wait_alu 0xfffe
	s_cmp_eq_u32 s34, s17
	s_cbranch_scc0 .LBB135_52
.LBB135_55:                             ;   in Loop: Header=BB135_48 Depth=3
	s_mov_b32 s34, 0
	s_mov_b32 s35, s31
	s_branch .LBB135_57
.LBB135_56:                             ;   in Loop: Header=BB135_57 Depth=4
	s_add_co_i32 s36, s34, s17
	s_add_co_i32 s34, s34, 1
	s_wait_alu 0xfffe
	s_mul_i32 s37, s36, 40
	s_add_co_i32 s35, s35, 8
	s_wait_alu 0xfffe
	v_mov_b32_e32 v18, s37
	s_cmp_eq_u32 s34, s27
	ds_load_b64 v[18:19], v18
	s_wait_dscnt 0x0
	v_mul_f32_e32 v20, v19, v7
	v_mul_f32_e32 v21, v18, v7
	s_delay_alu instid0(VALU_DEP_2) | instskip(NEXT) | instid1(VALU_DEP_2)
	v_fma_f32 v20, v18, v6, -v20
	v_fmac_f32_e32 v21, v19, v6
	v_lshl_add_u32 v6, s36, 5, v12
	ds_store_b64 v9, v[20:21]
	ds_store_b64 v6, v[20:21]
	s_cbranch_scc1 .LBB135_47
.LBB135_57:                             ;   Parent Loop BB135_3 Depth=1
                                        ;     Parent Loop BB135_45 Depth=2
                                        ;       Parent Loop BB135_48 Depth=3
                                        ; =>      This Loop Header: Depth=4
                                        ;           Child Loop BB135_59 Depth 5
	s_wait_alu 0xfffe
	v_lshl_add_u32 v9, s34, 3, v11
	s_cmp_lg_u32 s34, 0
	s_cbranch_scc0 .LBB135_61
; %bb.58:                               ;   in Loop: Header=BB135_57 Depth=4
	ds_load_b64 v[6:7], v9
	v_mov_b32_e32 v18, v11
	s_mov_b32 s36, s35
	s_mov_b32 s37, s34
.LBB135_59:                             ;   Parent Loop BB135_3 Depth=1
                                        ;     Parent Loop BB135_45 Depth=2
                                        ;       Parent Loop BB135_48 Depth=3
                                        ;         Parent Loop BB135_57 Depth=4
                                        ; =>        This Inner Loop Header: Depth=5
	s_wait_alu 0xfffe
	v_mov_b32_e32 v21, s36
	s_add_co_i32 s37, s37, -1
	s_add_co_i32 s36, s36, 32
	s_wait_alu 0xfffe
	s_cmp_eq_u32 s37, 0
	ds_load_b64 v[19:20], v18
	ds_load_b64 v[21:22], v21
	s_wait_dscnt 0x0
	v_dual_mul_f32 v23, v22, v20 :: v_dual_add_nc_u32 v18, 8, v18
	v_mul_f32_e32 v20, v21, v20
	s_delay_alu instid0(VALU_DEP_2) | instskip(NEXT) | instid1(VALU_DEP_2)
	v_fma_f32 v21, v21, v19, -v23
	v_fmac_f32_e32 v20, v22, v19
	s_delay_alu instid0(VALU_DEP_1)
	v_dual_sub_f32 v6, v6, v21 :: v_dual_sub_f32 v7, v7, v20
	ds_store_b64 v9, v[6:7]
	s_cbranch_scc0 .LBB135_59
; %bb.60:                               ;   in Loop: Header=BB135_57 Depth=4
	s_branch .LBB135_56
.LBB135_61:                             ;   in Loop: Header=BB135_57 Depth=4
                                        ; implicit-def: $vgpr6
	s_cbranch_execz .LBB135_56
; %bb.62:                               ;   in Loop: Header=BB135_57 Depth=4
	ds_load_b64 v[6:7], v11
	s_branch .LBB135_56
.LBB135_63:                             ;   in Loop: Header=BB135_3 Depth=1
	; wave barrier
	s_wait_loadcnt_dscnt 0x0
	global_inv scope:SCOPE_SE
	s_and_saveexec_b32 s12, s25
	s_cbranch_execz .LBB135_2
; %bb.64:                               ;   in Loop: Header=BB135_3 Depth=1
	v_add_co_u32 v4, vcc_lo, v4, s6
	s_wait_alu 0xfffd
	v_add_co_ci_u32_e64 v5, null, s7, v5, vcc_lo
	v_mov_b32_e32 v6, v12
	s_delay_alu instid0(VALU_DEP_3) | instskip(SKIP_1) | instid1(VALU_DEP_3)
	v_add_co_u32 v4, vcc_lo, v4, s14
	s_wait_alu 0xfffd
	v_add_co_ci_u32_e64 v5, null, s15, v5, vcc_lo
	s_mov_b32 s17, s21
	v_add_co_u32 v4, vcc_lo, v4, v2
	s_wait_alu 0xfffd
	v_add_co_ci_u32_e64 v5, null, v5, v3, vcc_lo
.LBB135_65:                             ;   Parent Loop BB135_3 Depth=1
                                        ; =>  This Inner Loop Header: Depth=2
	ds_load_b64 v[7:8], v6
	v_add_nc_u32_e32 v6, 32, v6
	s_wait_alu 0xfffe
	s_add_co_i32 s17, s17, -1
	s_wait_alu 0xfffe
	s_cmp_lg_u32 s17, 0
	s_wait_dscnt 0x0
	flat_store_b64 v[4:5], v[7:8]
	v_add_co_u32 v4, vcc_lo, v4, 8
	s_wait_alu 0xfffd
	v_add_co_ci_u32_e64 v5, null, 0, v5, vcc_lo
	s_cbranch_scc1 .LBB135_65
	s_branch .LBB135_2
.LBB135_66:
	s_endpgm
	.section	.rodata,"a",@progbits
	.p2align	6, 0x0
	.amdhsa_kernel _ZL38rocblas_trsm_small_left_device_sharedBILi4ELi4ELb1E19rocblas_complex_numIfES1_PKPKS1_PKPS1_Ev13rocblas_fill_18rocblas_operation_17rocblas_diagonal_iiT3_T4_lilT5_lili
		.amdhsa_group_segment_fixed_size 384
		.amdhsa_private_segment_fixed_size 0
		.amdhsa_kernarg_size 360
		.amdhsa_user_sgpr_count 4
		.amdhsa_user_sgpr_dispatch_ptr 1
		.amdhsa_user_sgpr_queue_ptr 0
		.amdhsa_user_sgpr_kernarg_segment_ptr 1
		.amdhsa_user_sgpr_dispatch_id 0
		.amdhsa_user_sgpr_private_segment_size 0
		.amdhsa_wavefront_size32 1
		.amdhsa_uses_dynamic_stack 0
		.amdhsa_enable_private_segment 0
		.amdhsa_system_sgpr_workgroup_id_x 1
		.amdhsa_system_sgpr_workgroup_id_y 0
		.amdhsa_system_sgpr_workgroup_id_z 1
		.amdhsa_system_sgpr_workgroup_info 0
		.amdhsa_system_vgpr_workitem_id 2
		.amdhsa_next_free_vgpr 24
		.amdhsa_next_free_sgpr 40
		.amdhsa_reserve_vcc 1
		.amdhsa_float_round_mode_32 0
		.amdhsa_float_round_mode_16_64 0
		.amdhsa_float_denorm_mode_32 3
		.amdhsa_float_denorm_mode_16_64 3
		.amdhsa_fp16_overflow 0
		.amdhsa_workgroup_processor_mode 1
		.amdhsa_memory_ordered 1
		.amdhsa_forward_progress 1
		.amdhsa_inst_pref_size 24
		.amdhsa_round_robin_scheduling 0
		.amdhsa_exception_fp_ieee_invalid_op 0
		.amdhsa_exception_fp_denorm_src 0
		.amdhsa_exception_fp_ieee_div_zero 0
		.amdhsa_exception_fp_ieee_overflow 0
		.amdhsa_exception_fp_ieee_underflow 0
		.amdhsa_exception_fp_ieee_inexact 0
		.amdhsa_exception_int_div_zero 0
	.end_amdhsa_kernel
	.section	.text._ZL38rocblas_trsm_small_left_device_sharedBILi4ELi4ELb1E19rocblas_complex_numIfES1_PKPKS1_PKPS1_Ev13rocblas_fill_18rocblas_operation_17rocblas_diagonal_iiT3_T4_lilT5_lili,"axG",@progbits,_ZL38rocblas_trsm_small_left_device_sharedBILi4ELi4ELb1E19rocblas_complex_numIfES1_PKPKS1_PKPS1_Ev13rocblas_fill_18rocblas_operation_17rocblas_diagonal_iiT3_T4_lilT5_lili,comdat
.Lfunc_end135:
	.size	_ZL38rocblas_trsm_small_left_device_sharedBILi4ELi4ELb1E19rocblas_complex_numIfES1_PKPKS1_PKPS1_Ev13rocblas_fill_18rocblas_operation_17rocblas_diagonal_iiT3_T4_lilT5_lili, .Lfunc_end135-_ZL38rocblas_trsm_small_left_device_sharedBILi4ELi4ELb1E19rocblas_complex_numIfES1_PKPKS1_PKPS1_Ev13rocblas_fill_18rocblas_operation_17rocblas_diagonal_iiT3_T4_lilT5_lili
                                        ; -- End function
	.set _ZL38rocblas_trsm_small_left_device_sharedBILi4ELi4ELb1E19rocblas_complex_numIfES1_PKPKS1_PKPS1_Ev13rocblas_fill_18rocblas_operation_17rocblas_diagonal_iiT3_T4_lilT5_lili.num_vgpr, 24
	.set _ZL38rocblas_trsm_small_left_device_sharedBILi4ELi4ELb1E19rocblas_complex_numIfES1_PKPKS1_PKPS1_Ev13rocblas_fill_18rocblas_operation_17rocblas_diagonal_iiT3_T4_lilT5_lili.num_agpr, 0
	.set _ZL38rocblas_trsm_small_left_device_sharedBILi4ELi4ELb1E19rocblas_complex_numIfES1_PKPKS1_PKPS1_Ev13rocblas_fill_18rocblas_operation_17rocblas_diagonal_iiT3_T4_lilT5_lili.numbered_sgpr, 40
	.set _ZL38rocblas_trsm_small_left_device_sharedBILi4ELi4ELb1E19rocblas_complex_numIfES1_PKPKS1_PKPS1_Ev13rocblas_fill_18rocblas_operation_17rocblas_diagonal_iiT3_T4_lilT5_lili.num_named_barrier, 0
	.set _ZL38rocblas_trsm_small_left_device_sharedBILi4ELi4ELb1E19rocblas_complex_numIfES1_PKPKS1_PKPS1_Ev13rocblas_fill_18rocblas_operation_17rocblas_diagonal_iiT3_T4_lilT5_lili.private_seg_size, 0
	.set _ZL38rocblas_trsm_small_left_device_sharedBILi4ELi4ELb1E19rocblas_complex_numIfES1_PKPKS1_PKPS1_Ev13rocblas_fill_18rocblas_operation_17rocblas_diagonal_iiT3_T4_lilT5_lili.uses_vcc, 1
	.set _ZL38rocblas_trsm_small_left_device_sharedBILi4ELi4ELb1E19rocblas_complex_numIfES1_PKPKS1_PKPS1_Ev13rocblas_fill_18rocblas_operation_17rocblas_diagonal_iiT3_T4_lilT5_lili.uses_flat_scratch, 0
	.set _ZL38rocblas_trsm_small_left_device_sharedBILi4ELi4ELb1E19rocblas_complex_numIfES1_PKPKS1_PKPS1_Ev13rocblas_fill_18rocblas_operation_17rocblas_diagonal_iiT3_T4_lilT5_lili.has_dyn_sized_stack, 0
	.set _ZL38rocblas_trsm_small_left_device_sharedBILi4ELi4ELb1E19rocblas_complex_numIfES1_PKPKS1_PKPS1_Ev13rocblas_fill_18rocblas_operation_17rocblas_diagonal_iiT3_T4_lilT5_lili.has_recursion, 0
	.set _ZL38rocblas_trsm_small_left_device_sharedBILi4ELi4ELb1E19rocblas_complex_numIfES1_PKPKS1_PKPS1_Ev13rocblas_fill_18rocblas_operation_17rocblas_diagonal_iiT3_T4_lilT5_lili.has_indirect_call, 0
	.section	.AMDGPU.csdata,"",@progbits
; Kernel info:
; codeLenInByte = 2996
; TotalNumSgprs: 42
; NumVgprs: 24
; ScratchSize: 0
; MemoryBound: 0
; FloatMode: 240
; IeeeMode: 1
; LDSByteSize: 384 bytes/workgroup (compile time only)
; SGPRBlocks: 0
; VGPRBlocks: 2
; NumSGPRsForWavesPerEU: 42
; NumVGPRsForWavesPerEU: 24
; Occupancy: 16
; WaveLimiterHint : 0
; COMPUTE_PGM_RSRC2:SCRATCH_EN: 0
; COMPUTE_PGM_RSRC2:USER_SGPR: 4
; COMPUTE_PGM_RSRC2:TRAP_HANDLER: 0
; COMPUTE_PGM_RSRC2:TGID_X_EN: 1
; COMPUTE_PGM_RSRC2:TGID_Y_EN: 0
; COMPUTE_PGM_RSRC2:TGID_Z_EN: 1
; COMPUTE_PGM_RSRC2:TIDIG_COMP_CNT: 2
	.section	.text._ZL30rocblas_trsm_small_left_deviceILi4ELi4ELb1E19rocblas_complex_numIfES1_PKPKS1_PKPS1_Ev13rocblas_fill_18rocblas_operation_17rocblas_diagonal_iiT3_T4_lilT5_lili,"axG",@progbits,_ZL30rocblas_trsm_small_left_deviceILi4ELi4ELb1E19rocblas_complex_numIfES1_PKPKS1_PKPS1_Ev13rocblas_fill_18rocblas_operation_17rocblas_diagonal_iiT3_T4_lilT5_lili,comdat
	.globl	_ZL30rocblas_trsm_small_left_deviceILi4ELi4ELb1E19rocblas_complex_numIfES1_PKPKS1_PKPS1_Ev13rocblas_fill_18rocblas_operation_17rocblas_diagonal_iiT3_T4_lilT5_lili ; -- Begin function _ZL30rocblas_trsm_small_left_deviceILi4ELi4ELb1E19rocblas_complex_numIfES1_PKPKS1_PKPS1_Ev13rocblas_fill_18rocblas_operation_17rocblas_diagonal_iiT3_T4_lilT5_lili
	.p2align	8
	.type	_ZL30rocblas_trsm_small_left_deviceILi4ELi4ELb1E19rocblas_complex_numIfES1_PKPKS1_PKPS1_Ev13rocblas_fill_18rocblas_operation_17rocblas_diagonal_iiT3_T4_lilT5_lili,@function
_ZL30rocblas_trsm_small_left_deviceILi4ELi4ELb1E19rocblas_complex_numIfES1_PKPKS1_PKPS1_Ev13rocblas_fill_18rocblas_operation_17rocblas_diagonal_iiT3_T4_lilT5_lili: ; @_ZL30rocblas_trsm_small_left_deviceILi4ELi4ELb1E19rocblas_complex_numIfES1_PKPKS1_PKPS1_Ev13rocblas_fill_18rocblas_operation_17rocblas_diagonal_iiT3_T4_lilT5_lili
; %bb.0:
	s_load_b32 s24, s[2:3], 0x60
	s_lshr_b32 s16, ttmp7, 16
	s_wait_kmcnt 0x0
	s_cmp_ge_u32 s16, s24
	s_cbranch_scc1 .LBB136_62
; %bb.1:
	s_load_b32 s18, s[2:3], 0x30
	s_load_b64 s[0:1], s[0:1], 0x4
	s_clause 0x5
	s_load_b128 s[12:15], s[2:3], 0x4
	s_load_b32 s17, s[2:3], 0x68
	s_load_b128 s[4:7], s[2:3], 0x20
	s_load_b128 s[8:11], s[2:3], 0x40
	s_load_b32 s20, s[2:3], 0x50
	s_load_b64 s[2:3], s[2:3], 0x14
	v_bfe_u32 v2, v0, 10, 10
	v_and_b32_e32 v1, 0x3ff, v0
	v_bfe_u32 v0, v0, 20, 10
	s_mov_b32 s31, 0
	s_delay_alu instid0(VALU_DEP_2)
	v_lshlrev_b32_e32 v10, 3, v1
	s_wait_kmcnt 0x0
	s_ashr_i32 s19, s18, 31
	s_lshr_b32 s0, s0, 16
	s_cmp_lg_u32 s12, 0x71
	v_mul_u32_u24_e32 v2, s1, v2
	s_mul_i32 s0, s0, s1
	s_cselect_b32 s25, -1, 0
	s_wait_alu 0xfffe
	s_lshl_b32 s1, ttmp9, 2
	v_mul_u32_u24_e32 v3, s0, v1
	s_wait_alu 0xfffe
	v_or_b32_e32 v5, s1, v1
	s_min_i32 s26, s14, 4
	s_add_co_i32 s17, s17, -1
	s_add_co_i32 s27, s26, -1
	s_sub_co_i32 s14, s15, s1
	v_add3_u32 v0, v3, v2, v0
	v_mad_co_i64_i32 v[2:3], null, s20, v5, 0
	s_cmp_ge_u32 ttmp9, s17
	s_cselect_b32 s1, s14, 4
	s_cmp_lg_u32 s13, 0x84
	v_lshl_add_u32 v11, v0, 5, 0x80
	s_cselect_b32 s28, -1, 0
	s_cmp_lg_u32 s12, 0x6f
	v_lshlrev_b64_e32 v[2:3], 3, v[2:3]
	s_cselect_b32 s29, -1, 0
	s_lshl_b64 s[6:7], s[6:7], 3
	s_lshl_b32 s30, s26, 3
	v_add_co_u32 v0, s6, s6, v10
	s_wait_alu 0xf1ff
	v_add_co_ci_u32_e64 v12, null, s7, 0, s6
	s_lshl_b64 s[6:7], s[10:11], 3
	v_or_b32_e32 v13, 4, v0
	s_wait_alu 0xfffe
	v_add_co_u32 v5, vcc_lo, v2, s6
	v_mov_b32_e32 v0, 1.0
	v_lshlrev_b32_e32 v4, 5, v1
	v_cmp_gt_i32_e64 s0, s26, v1
	v_cmp_gt_i32_e64 s1, s1, v1
	v_mov_b32_e32 v1, 0
	v_add_co_ci_u32_e64 v14, null, s7, v3, vcc_lo
	v_or_b32_e32 v15, 4, v5
	v_add_nc_u32_e32 v16, v10, v4
	s_lshl_b64 s[10:11], s[18:19], 3
	s_add_co_i32 s30, s30, -8
	s_mov_b32 s13, 0
	s_branch .LBB136_4
.LBB136_2:                              ;   in Loop: Header=BB136_4 Depth=1
	s_add_co_i32 s16, s16, 0x10000
	s_delay_alu instid0(SALU_CYCLE_1)
	s_cmp_ge_u32 s16, s24
	s_cselect_b32 s12, -1, 0
	s_wait_alu 0xfffe
	s_or_not1_b32 s12, s12, exec_lo
.LBB136_3:                              ;   in Loop: Header=BB136_4 Depth=1
	s_or_b32 exec_lo, exec_lo, s17
	s_wait_alu 0xfffe
	s_and_b32 s12, exec_lo, s12
	s_wait_alu 0xfffe
	s_or_b32 s31, s12, s31
	s_delay_alu instid0(SALU_CYCLE_1)
	s_and_not1_b32 exec_lo, exec_lo, s31
	s_cbranch_execz .LBB136_62
.LBB136_4:                              ; =>This Loop Header: Depth=1
                                        ;     Child Loop BB136_7 Depth 2
                                        ;     Child Loop BB136_23 Depth 2
                                        ;       Child Loop BB136_26 Depth 3
                                        ;         Child Loop BB136_27 Depth 4
                                        ;         Child Loop BB136_29 Depth 4
                                        ;           Child Loop BB136_30 Depth 5
                                        ;         Child Loop BB136_34 Depth 4
                                        ;           Child Loop BB136_36 Depth 5
                                        ;     Child Loop BB136_44 Depth 2
                                        ;       Child Loop BB136_47 Depth 3
                                        ;         Child Loop BB136_48 Depth 4
                                        ;         Child Loop BB136_51 Depth 4
                                        ;           Child Loop BB136_52 Depth 5
                                        ;         Child Loop BB136_56 Depth 4
                                        ;           Child Loop BB136_58 Depth 5
	s_mov_b32 s17, s13
	s_delay_alu instid0(SALU_CYCLE_1) | instskip(NEXT) | instid1(SALU_CYCLE_1)
	s_lshl_b64 s[14:15], s[16:17], 3
	s_add_nc_u64 s[18:19], s[8:9], s[14:15]
	global_load_b64 v[4:5], v1, s[18:19]
	s_and_saveexec_b32 s12, s0
	s_cbranch_execz .LBB136_19
; %bb.5:                                ;   in Loop: Header=BB136_4 Depth=1
	s_add_nc_u64 s[14:15], s[4:5], s[14:15]
	v_mov_b32_e32 v17, v10
	global_load_b64 v[6:7], v1, s[14:15]
	s_mov_b32 s14, s26
	s_wait_loadcnt 0x0
	v_add_co_u32 v6, vcc_lo, v6, v13
	s_wait_alu 0xfffd
	v_add_co_ci_u32_e64 v7, null, v7, v12, vcc_lo
	s_branch .LBB136_7
.LBB136_6:                              ;   in Loop: Header=BB136_7 Depth=2
	flat_load_b32 v8, v[6:7] offset:-4
	v_add_co_u32 v6, vcc_lo, v6, s10
	s_wait_alu 0xfffd
	v_add_co_ci_u32_e64 v7, null, s11, v7, vcc_lo
	s_add_co_i32 s14, s14, -1
	s_delay_alu instid0(SALU_CYCLE_1)
	s_cmp_eq_u32 s14, 0
	s_wait_loadcnt_dscnt 0x0
	ds_store_b64 v17, v[8:9]
	v_add_nc_u32_e32 v17, 32, v17
	s_cbranch_scc1 .LBB136_11
.LBB136_7:                              ;   Parent Loop BB136_4 Depth=1
                                        ; =>  This Inner Loop Header: Depth=2
	s_and_b32 vcc_lo, exec_lo, s25
	s_mov_b32 s15, -1
                                        ; implicit-def: $vgpr9
	s_wait_alu 0xfffe
	s_cbranch_vccz .LBB136_9
; %bb.8:                                ;   in Loop: Header=BB136_7 Depth=2
	flat_load_b32 v9, v[6:7]
	s_mov_b32 s15, 0
.LBB136_9:                              ;   in Loop: Header=BB136_7 Depth=2
	s_delay_alu instid0(SALU_CYCLE_1)
	s_and_not1_b32 vcc_lo, exec_lo, s15
	s_wait_alu 0xfffe
	s_cbranch_vccnz .LBB136_6
; %bb.10:                               ;   in Loop: Header=BB136_7 Depth=2
	flat_load_b32 v8, v[6:7]
	s_wait_loadcnt_dscnt 0x0
	v_xor_b32_e32 v9, 0x80000000, v8
	s_branch .LBB136_6
.LBB136_11:                             ;   in Loop: Header=BB136_4 Depth=1
	s_and_b32 vcc_lo, exec_lo, s28
	s_mov_b32 s14, -1
	s_wait_alu 0xfffe
	s_cbranch_vccz .LBB136_17
; %bb.12:                               ;   in Loop: Header=BB136_4 Depth=1
	ds_load_b64 v[6:7], v16
                                        ; implicit-def: $vgpr8
	s_wait_dscnt 0x0
	v_cmp_ngt_f32_e64 s14, |v6|, |v7|
	s_and_saveexec_b32 s15, s14
	s_delay_alu instid0(SALU_CYCLE_1)
	s_xor_b32 s14, exec_lo, s15
	s_cbranch_execz .LBB136_14
; %bb.13:                               ;   in Loop: Header=BB136_4 Depth=1
	v_div_scale_f32 v8, null, v7, v7, v6
	v_div_scale_f32 v18, vcc_lo, v6, v7, v6
	s_delay_alu instid0(VALU_DEP_2) | instskip(NEXT) | instid1(TRANS32_DEP_1)
	v_rcp_f32_e32 v9, v8
	v_fma_f32 v17, -v8, v9, 1.0
	s_delay_alu instid0(VALU_DEP_1) | instskip(NEXT) | instid1(VALU_DEP_1)
	v_fmac_f32_e32 v9, v17, v9
	v_mul_f32_e32 v17, v18, v9
	s_delay_alu instid0(VALU_DEP_1) | instskip(NEXT) | instid1(VALU_DEP_1)
	v_fma_f32 v19, -v8, v17, v18
	v_fmac_f32_e32 v17, v19, v9
	s_delay_alu instid0(VALU_DEP_1) | instskip(SKIP_1) | instid1(VALU_DEP_1)
	v_fma_f32 v8, -v8, v17, v18
	s_wait_alu 0xfffd
	v_div_fmas_f32 v8, v8, v9, v17
	s_delay_alu instid0(VALU_DEP_1) | instskip(NEXT) | instid1(VALU_DEP_1)
	v_div_fixup_f32 v8, v8, v7, v6
	v_fmac_f32_e32 v7, v6, v8
	s_delay_alu instid0(VALU_DEP_1) | instskip(SKIP_1) | instid1(VALU_DEP_2)
	v_div_scale_f32 v6, null, v7, v7, 1.0
	v_div_scale_f32 v18, vcc_lo, 1.0, v7, 1.0
	v_rcp_f32_e32 v9, v6
	s_delay_alu instid0(TRANS32_DEP_1) | instskip(NEXT) | instid1(VALU_DEP_1)
	v_fma_f32 v17, -v6, v9, 1.0
	v_fmac_f32_e32 v9, v17, v9
	s_delay_alu instid0(VALU_DEP_1) | instskip(NEXT) | instid1(VALU_DEP_1)
	v_mul_f32_e32 v17, v18, v9
	v_fma_f32 v19, -v6, v17, v18
	s_delay_alu instid0(VALU_DEP_1) | instskip(NEXT) | instid1(VALU_DEP_1)
	v_fmac_f32_e32 v17, v19, v9
	v_fma_f32 v6, -v6, v17, v18
	s_wait_alu 0xfffd
	s_delay_alu instid0(VALU_DEP_1) | instskip(SKIP_1) | instid1(VALU_DEP_2)
	v_div_fmas_f32 v6, v6, v9, v17
	v_add_f32_e32 v9, 0, v8
	v_div_fixup_f32 v6, v6, v7, 1.0
	v_fma_f32 v7, v8, 0, -1.0
	s_delay_alu instid0(VALU_DEP_2) | instskip(NEXT) | instid1(VALU_DEP_2)
	v_mul_f32_e32 v8, v9, v6
	v_mul_f32_e32 v9, v7, v6
                                        ; implicit-def: $vgpr6_vgpr7
.LBB136_14:                             ;   in Loop: Header=BB136_4 Depth=1
	s_and_not1_saveexec_b32 s14, s14
	s_cbranch_execz .LBB136_16
; %bb.15:                               ;   in Loop: Header=BB136_4 Depth=1
	v_div_scale_f32 v8, null, v6, v6, v7
	v_div_scale_f32 v18, vcc_lo, v7, v6, v7
	s_delay_alu instid0(VALU_DEP_2) | instskip(NEXT) | instid1(TRANS32_DEP_1)
	v_rcp_f32_e32 v9, v8
	v_fma_f32 v17, -v8, v9, 1.0
	s_delay_alu instid0(VALU_DEP_1) | instskip(NEXT) | instid1(VALU_DEP_1)
	v_fmac_f32_e32 v9, v17, v9
	v_mul_f32_e32 v17, v18, v9
	s_delay_alu instid0(VALU_DEP_1) | instskip(NEXT) | instid1(VALU_DEP_1)
	v_fma_f32 v19, -v8, v17, v18
	v_fmac_f32_e32 v17, v19, v9
	s_delay_alu instid0(VALU_DEP_1) | instskip(SKIP_1) | instid1(VALU_DEP_1)
	v_fma_f32 v8, -v8, v17, v18
	s_wait_alu 0xfffd
	v_div_fmas_f32 v8, v8, v9, v17
	s_delay_alu instid0(VALU_DEP_1) | instskip(NEXT) | instid1(VALU_DEP_1)
	v_div_fixup_f32 v9, v8, v6, v7
	v_fmac_f32_e32 v6, v7, v9
	s_delay_alu instid0(VALU_DEP_1) | instskip(SKIP_1) | instid1(VALU_DEP_2)
	v_div_scale_f32 v7, null, v6, v6, 1.0
	v_div_scale_f32 v18, vcc_lo, 1.0, v6, 1.0
	v_rcp_f32_e32 v8, v7
	s_delay_alu instid0(TRANS32_DEP_1) | instskip(NEXT) | instid1(VALU_DEP_1)
	v_fma_f32 v17, -v7, v8, 1.0
	v_fmac_f32_e32 v8, v17, v8
	s_delay_alu instid0(VALU_DEP_1) | instskip(NEXT) | instid1(VALU_DEP_1)
	v_mul_f32_e32 v17, v18, v8
	v_fma_f32 v19, -v7, v17, v18
	s_delay_alu instid0(VALU_DEP_1) | instskip(NEXT) | instid1(VALU_DEP_1)
	v_fmac_f32_e32 v17, v19, v8
	v_fma_f32 v7, -v7, v17, v18
	s_wait_alu 0xfffd
	s_delay_alu instid0(VALU_DEP_1) | instskip(SKIP_1) | instid1(VALU_DEP_2)
	v_div_fmas_f32 v7, v7, v8, v17
	v_fma_f32 v8, v9, 0, 1.0
	v_div_fixup_f32 v6, v7, v6, 1.0
	s_delay_alu instid0(VALU_DEP_1)
	v_mul_f32_e32 v8, v8, v6
	v_mul_f32_e64 v9, -v9, v6
.LBB136_16:                             ;   in Loop: Header=BB136_4 Depth=1
	s_or_b32 exec_lo, exec_lo, s14
	s_mov_b32 s14, 0
	ds_store_b64 v16, v[8:9]
.LBB136_17:                             ;   in Loop: Header=BB136_4 Depth=1
	s_and_b32 vcc_lo, exec_lo, s14
	s_wait_alu 0xfffe
	s_cbranch_vccz .LBB136_19
; %bb.18:                               ;   in Loop: Header=BB136_4 Depth=1
	ds_store_b64 v16, v[0:1]
.LBB136_19:                             ;   in Loop: Header=BB136_4 Depth=1
	s_wait_alu 0xfffe
	s_or_b32 exec_lo, exec_lo, s12
	s_mov_b32 s12, -1
	; wave barrier
	s_wait_loadcnt_dscnt 0x0
	global_inv scope:SCOPE_SE
	s_and_saveexec_b32 s17, s1
	s_cbranch_execz .LBB136_3
; %bb.20:                               ;   in Loop: Header=BB136_4 Depth=1
	v_add_co_u32 v6, vcc_lo, v4, s6
	s_wait_alu 0xfffd
	v_add_co_ci_u32_e64 v7, null, s7, v5, vcc_lo
	s_delay_alu instid0(VALU_DEP_2) | instskip(SKIP_1) | instid1(VALU_DEP_2)
	v_add_co_u32 v8, vcc_lo, v6, v2
	s_wait_alu 0xfffd
	v_add_co_ci_u32_e64 v9, null, v7, v3, vcc_lo
	s_and_not1_b32 vcc_lo, exec_lo, s29
	s_wait_alu 0xfffe
	s_cbranch_vccnz .LBB136_41
; %bb.21:                               ;   in Loop: Header=BB136_4 Depth=1
	v_add_co_u32 v17, vcc_lo, v4, v15
	s_wait_alu 0xfffd
	v_add_co_ci_u32_e64 v18, null, v5, v14, vcc_lo
	s_mov_b32 s12, 0
	s_mov_b32 s14, s27
	s_branch .LBB136_23
.LBB136_22:                             ;   in Loop: Header=BB136_23 Depth=2
	s_cmp_gt_i32 s14, -1
	s_cselect_b32 s15, -1, 0
	s_add_co_i32 s18, s12, 1
	s_cmp_lt_u32 s12, 2
	s_cselect_b32 s12, -1, 0
	s_wait_alu 0xfffe
	s_and_b32 s12, s15, s12
	s_wait_alu 0xfffe
	s_and_b32 vcc_lo, exec_lo, s12
	s_mov_b32 s12, s18
	s_wait_alu 0xfffe
	s_cbranch_vccz .LBB136_40
.LBB136_23:                             ;   Parent Loop BB136_4 Depth=1
                                        ; =>  This Loop Header: Depth=2
                                        ;       Child Loop BB136_26 Depth 3
                                        ;         Child Loop BB136_27 Depth 4
                                        ;         Child Loop BB136_29 Depth 4
                                        ;           Child Loop BB136_30 Depth 5
                                        ;         Child Loop BB136_34 Depth 4
                                        ;           Child Loop BB136_36 Depth 5
	s_getpc_b64 s[18:19]
	s_wait_alu 0xfffe
	s_sext_i32_i16 s19, s19
	s_add_co_u32 s18, s18, __const._ZL30rocblas_trsm_small_left_deviceILi4ELi4ELb1E19rocblas_complex_numIfES1_PKPKS1_PKPS1_Ev13rocblas_fill_18rocblas_operation_17rocblas_diagonal_iiT3_T4_lilT5_lili.step_sizes@rel32@lo+12
	s_wait_alu 0xfffe
	s_add_co_ci_u32 s19, s19, __const._ZL30rocblas_trsm_small_left_deviceILi4ELi4ELb1E19rocblas_complex_numIfES1_PKPKS1_PKPS1_Ev13rocblas_fill_18rocblas_operation_17rocblas_diagonal_iiT3_T4_lilT5_lili.step_sizes@rel32@hi+24
	s_lshl_b64 s[20:21], s[12:13], 2
	s_wait_alu 0xfffe
	s_add_nc_u64 s[18:19], s[18:19], s[20:21]
	s_load_b32 s22, s[18:19], 0x0
	s_wait_kmcnt 0x0
	s_add_co_i32 s23, s22, -1
	s_wait_alu 0xfffe
	s_cmp_lt_i32 s14, s23
	s_cbranch_scc1 .LBB136_22
; %bb.24:                               ;   in Loop: Header=BB136_23 Depth=2
	s_lshl_b32 s15, s14, 5
	s_lshl_b32 s18, s22, 5
	s_max_i32 s33, s22, 1
	s_add_co_i32 s34, s30, s15
	s_wait_alu 0xfffe
	s_sub_co_i32 s35, 0, s18
	s_mul_i32 s36, s14, 40
	s_mul_i32 s37, s22, 0xffffffd8
	s_branch .LBB136_26
.LBB136_25:                             ;   in Loop: Header=BB136_26 Depth=3
	s_sub_co_i32 s14, s14, s22
	s_add_co_i32 s34, s34, s35
	s_add_co_i32 s36, s36, s37
	s_cmp_lt_i32 s14, s23
	s_cbranch_scc1 .LBB136_22
.LBB136_26:                             ;   Parent Loop BB136_4 Depth=1
                                        ;     Parent Loop BB136_23 Depth=2
                                        ; =>    This Loop Header: Depth=3
                                        ;         Child Loop BB136_27 Depth 4
                                        ;         Child Loop BB136_29 Depth 4
                                        ;           Child Loop BB136_30 Depth 5
                                        ;         Child Loop BB136_34 Depth 4
                                        ;           Child Loop BB136_36 Depth 5
	s_ashr_i32 s15, s14, 31
	v_mov_b32_e32 v19, v11
	s_lshl_b64 s[18:19], s[14:15], 3
	s_wait_alu 0xfffe
	v_add_co_u32 v6, vcc_lo, v17, s18
	s_wait_alu 0xfffd
	v_add_co_ci_u32_e64 v7, null, s19, v18, vcc_lo
	s_mov_b32 s18, s33
.LBB136_27:                             ;   Parent Loop BB136_4 Depth=1
                                        ;     Parent Loop BB136_23 Depth=2
                                        ;       Parent Loop BB136_26 Depth=3
                                        ; =>      This Inner Loop Header: Depth=4
	flat_load_b64 v[20:21], v[6:7] offset:-4
	v_add_co_u32 v6, vcc_lo, v6, -8
	s_wait_alu 0xfffd
	v_add_co_ci_u32_e64 v7, null, -1, v7, vcc_lo
	s_wait_alu 0xfffe
	s_add_co_i32 s18, s18, -1
	s_wait_alu 0xfffe
	s_cmp_eq_u32 s18, 0
	s_wait_loadcnt_dscnt 0x0
	v_mul_f32_e32 v22, s2, v21
	s_delay_alu instid0(VALU_DEP_1) | instskip(NEXT) | instid1(VALU_DEP_1)
	v_dual_mul_f32 v23, s3, v21 :: v_dual_fmac_f32 v22, s3, v20
	v_fma_f32 v21, v20, s2, -v23
	ds_store_b64 v19, v[21:22]
	v_add_nc_u32_e32 v19, 8, v19
	s_cbranch_scc0 .LBB136_27
; %bb.28:                               ;   in Loop: Header=BB136_26 Depth=3
	s_cmp_le_i32 s27, s14
	s_mov_b32 s20, s34
	s_mov_b32 s18, s27
	s_cbranch_scc1 .LBB136_32
.LBB136_29:                             ;   Parent Loop BB136_4 Depth=1
                                        ;     Parent Loop BB136_23 Depth=2
                                        ;       Parent Loop BB136_26 Depth=3
                                        ; =>      This Loop Header: Depth=4
                                        ;           Child Loop BB136_30 Depth 5
	s_wait_alu 0xfffe
	s_ashr_i32 s19, s18, 31
	v_mov_b32_e32 v19, v11
	s_wait_alu 0xfffe
	s_lshl_b64 s[38:39], s[18:19], 3
	s_mov_b32 s19, s20
	s_wait_alu 0xfffe
	v_add_co_u32 v6, vcc_lo, v8, s38
	s_wait_alu 0xfffd
	v_add_co_ci_u32_e64 v7, null, s39, v9, vcc_lo
	s_mov_b32 s21, s33
	flat_load_b64 v[6:7], v[6:7]
.LBB136_30:                             ;   Parent Loop BB136_4 Depth=1
                                        ;     Parent Loop BB136_23 Depth=2
                                        ;       Parent Loop BB136_26 Depth=3
                                        ;         Parent Loop BB136_29 Depth=4
                                        ; =>        This Inner Loop Header: Depth=5
	s_wait_alu 0xfffe
	v_mov_b32_e32 v20, s19
	s_add_co_i32 s21, s21, -1
	s_sub_co_i32 s19, s19, 32
	s_wait_alu 0xfffe
	s_cmp_eq_u32 s21, 0
	ds_load_b64 v[20:21], v20
	ds_load_b64 v[22:23], v19
	s_wait_loadcnt_dscnt 0x1
	v_mul_f32_e32 v24, v21, v7
	v_mul_f32_e32 v21, v21, v6
	s_delay_alu instid0(VALU_DEP_1) | instskip(SKIP_1) | instid1(VALU_DEP_1)
	v_fmac_f32_e32 v21, v20, v7
	s_wait_dscnt 0x0
	v_sub_f32_e32 v21, v23, v21
	v_fma_f32 v24, v20, v6, -v24
	s_delay_alu instid0(VALU_DEP_1)
	v_sub_f32_e32 v20, v22, v24
	ds_store_b64 v19, v[20:21]
	v_add_nc_u32_e32 v19, 8, v19
	s_cbranch_scc0 .LBB136_30
; %bb.31:                               ;   in Loop: Header=BB136_29 Depth=4
	s_add_co_i32 s18, s18, -1
	s_add_co_i32 s20, s20, -8
	s_wait_alu 0xfffe
	s_cmp_le_i32 s18, s14
	s_cbranch_scc0 .LBB136_29
.LBB136_32:                             ;   in Loop: Header=BB136_26 Depth=3
	s_mov_b32 s38, 0
	s_mov_b32 s39, s36
	s_branch .LBB136_34
.LBB136_33:                             ;   in Loop: Header=BB136_34 Depth=4
	s_wait_alu 0xfffe
	s_mul_i32 s20, s20, 40
	s_lshl_b64 s[18:19], s[18:19], 3
	s_wait_alu 0xfffe
	v_mov_b32_e32 v20, s20
	s_add_co_i32 s38, s38, 1
	s_sub_co_i32 s39, s39, 32
	s_wait_alu 0xfffe
	s_cmp_eq_u32 s38, s33
	ds_load_b64 v[20:21], v20
	s_wait_dscnt 0x0
	v_mul_f32_e32 v22, v21, v7
	v_mul_f32_e32 v23, v20, v7
	s_delay_alu instid0(VALU_DEP_2) | instskip(NEXT) | instid1(VALU_DEP_2)
	v_fma_f32 v22, v20, v6, -v22
	v_fmac_f32_e32 v23, v21, v6
	v_add_co_u32 v6, vcc_lo, v8, s18
	s_wait_alu 0xfffd
	v_add_co_ci_u32_e64 v7, null, s19, v9, vcc_lo
	ds_store_b64 v19, v[22:23]
	flat_store_b64 v[6:7], v[22:23]
	s_cbranch_scc1 .LBB136_25
.LBB136_34:                             ;   Parent Loop BB136_4 Depth=1
                                        ;     Parent Loop BB136_23 Depth=2
                                        ;       Parent Loop BB136_26 Depth=3
                                        ; =>      This Loop Header: Depth=4
                                        ;           Child Loop BB136_36 Depth 5
	s_wait_alu 0xfffe
	v_lshl_add_u32 v19, s38, 3, v11
	s_cmp_lg_u32 s38, 0
	s_cbranch_scc0 .LBB136_38
; %bb.35:                               ;   in Loop: Header=BB136_34 Depth=4
	ds_load_b64 v[6:7], v19
	v_mov_b32_e32 v20, v11
	s_mov_b32 s18, s39
	s_mov_b32 s19, s38
.LBB136_36:                             ;   Parent Loop BB136_4 Depth=1
                                        ;     Parent Loop BB136_23 Depth=2
                                        ;       Parent Loop BB136_26 Depth=3
                                        ;         Parent Loop BB136_34 Depth=4
                                        ; =>        This Inner Loop Header: Depth=5
	s_wait_alu 0xfffe
	v_mov_b32_e32 v23, s18
	s_add_co_i32 s19, s19, -1
	s_add_co_i32 s18, s18, -8
	s_wait_alu 0xfffe
	s_cmp_eq_u32 s19, 0
	ds_load_b64 v[21:22], v20
	ds_load_b64 v[23:24], v23
	s_wait_dscnt 0x0
	v_dual_mul_f32 v25, v24, v22 :: v_dual_add_nc_u32 v20, 8, v20
	v_mul_f32_e32 v22, v23, v22
	s_delay_alu instid0(VALU_DEP_2) | instskip(NEXT) | instid1(VALU_DEP_2)
	v_fma_f32 v23, v23, v21, -v25
	v_fmac_f32_e32 v22, v24, v21
	s_delay_alu instid0(VALU_DEP_1)
	v_dual_sub_f32 v6, v6, v23 :: v_dual_sub_f32 v7, v7, v22
	ds_store_b64 v19, v[6:7]
	s_cbranch_scc0 .LBB136_36
; %bb.37:                               ;   in Loop: Header=BB136_34 Depth=4
	s_sub_co_i32 s20, s14, s38
	s_wait_alu 0xfffe
	s_ashr_i32 s21, s20, 31
	s_wait_alu 0xfffe
	s_mov_b64 s[18:19], s[20:21]
	s_branch .LBB136_33
.LBB136_38:                             ;   in Loop: Header=BB136_34 Depth=4
                                        ; implicit-def: $vgpr6
                                        ; implicit-def: $sgpr20
                                        ; implicit-def: $sgpr18_sgpr19
	s_cbranch_execz .LBB136_33
; %bb.39:                               ;   in Loop: Header=BB136_34 Depth=4
	ds_load_b64 v[6:7], v11
	s_mov_b64 s[18:19], s[14:15]
	s_mov_b32 s20, s14
	s_branch .LBB136_33
.LBB136_40:                             ;   in Loop: Header=BB136_4 Depth=1
	s_mov_b32 s12, 0
.LBB136_41:                             ;   in Loop: Header=BB136_4 Depth=1
	s_wait_alu 0xfffe
	s_and_b32 vcc_lo, exec_lo, s12
	s_wait_alu 0xfffe
	s_cbranch_vccz .LBB136_2
; %bb.42:                               ;   in Loop: Header=BB136_4 Depth=1
	v_add_co_u32 v17, vcc_lo, v4, v15
	s_wait_alu 0xfffd
	v_add_co_ci_u32_e64 v18, null, v5, v14, vcc_lo
	s_mov_b32 s14, 0
	s_mov_b32 s18, 0
	s_branch .LBB136_44
.LBB136_43:                             ;   in Loop: Header=BB136_44 Depth=2
	s_cmp_lt_i32 s14, s26
	s_cselect_b32 s12, -1, 0
	s_add_co_i32 s15, s18, 1
	s_cmp_lt_u32 s18, 2
	s_cselect_b32 s18, -1, 0
	s_wait_alu 0xfffe
	s_and_b32 s12, s12, s18
	s_mov_b32 s18, s15
	s_wait_alu 0xfffe
	s_and_not1_b32 vcc_lo, exec_lo, s12
	s_wait_alu 0xfffe
	s_cbranch_vccnz .LBB136_2
.LBB136_44:                             ;   Parent Loop BB136_4 Depth=1
                                        ; =>  This Loop Header: Depth=2
                                        ;       Child Loop BB136_47 Depth 3
                                        ;         Child Loop BB136_48 Depth 4
                                        ;         Child Loop BB136_51 Depth 4
                                        ;           Child Loop BB136_52 Depth 5
                                        ;         Child Loop BB136_56 Depth 4
                                        ;           Child Loop BB136_58 Depth 5
	s_mov_b32 s19, s13
	s_getpc_b64 s[20:21]
	s_wait_alu 0xfffe
	s_sext_i32_i16 s21, s21
	s_add_co_u32 s20, s20, __const._ZL30rocblas_trsm_small_left_deviceILi4ELi4ELb1E19rocblas_complex_numIfES1_PKPKS1_PKPS1_Ev13rocblas_fill_18rocblas_operation_17rocblas_diagonal_iiT3_T4_lilT5_lili.step_sizes@rel32@lo+12
	s_wait_alu 0xfffe
	s_add_co_ci_u32 s21, s21, __const._ZL30rocblas_trsm_small_left_deviceILi4ELi4ELb1E19rocblas_complex_numIfES1_PKPKS1_PKPS1_Ev13rocblas_fill_18rocblas_operation_17rocblas_diagonal_iiT3_T4_lilT5_lili.step_sizes@rel32@hi+24
	s_lshl_b64 s[22:23], s[18:19], 2
	s_wait_alu 0xfffe
	s_add_nc_u64 s[20:21], s[20:21], s[22:23]
	s_load_b32 s20, s[20:21], 0x0
	s_wait_kmcnt 0x0
	s_add_co_i32 s19, s20, -1
	s_wait_alu 0xfffe
	s_add_co_i32 s12, s19, s14
	s_wait_alu 0xfffe
	s_cmp_ge_i32 s12, s26
	s_cbranch_scc1 .LBB136_43
; %bb.45:                               ;   in Loop: Header=BB136_44 Depth=2
	s_ashr_i32 s15, s14, 31
	s_ashr_i32 s21, s20, 31
	s_lshl_b64 s[22:23], s[14:15], 3
	s_max_i32 s33, s20, 1
	s_wait_alu 0xfffe
	v_add_co_u32 v4, vcc_lo, v17, s22
	s_wait_alu 0xfffd
	v_add_co_ci_u32_e64 v5, null, s23, v18, vcc_lo
	s_lshl_b64 s[22:23], s[20:21], 3
	s_lshl_b32 s15, s14, 3
	s_lshl_b32 s21, s20, 3
	s_mul_i32 s34, s14, 40
	s_mul_i32 s35, s20, 40
	s_branch .LBB136_47
.LBB136_46:                             ;   in Loop: Header=BB136_47 Depth=3
	v_add_co_u32 v4, vcc_lo, v4, s22
	s_add_co_i32 s14, s14, s20
	s_wait_alu 0xfffd
	v_add_co_ci_u32_e64 v5, null, s23, v5, vcc_lo
	s_add_co_i32 s12, s19, s14
	s_add_co_i32 s15, s15, s21
	;; [unrolled: 1-line block ×3, first 2 shown]
	s_wait_alu 0xfffe
	s_cmp_ge_i32 s12, s26
	s_cbranch_scc1 .LBB136_43
.LBB136_47:                             ;   Parent Loop BB136_4 Depth=1
                                        ;     Parent Loop BB136_44 Depth=2
                                        ; =>    This Loop Header: Depth=3
                                        ;         Child Loop BB136_48 Depth 4
                                        ;         Child Loop BB136_51 Depth 4
                                        ;           Child Loop BB136_52 Depth 5
                                        ;         Child Loop BB136_56 Depth 4
                                        ;           Child Loop BB136_58 Depth 5
	v_mov_b32_e32 v7, v5
	v_dual_mov_b32 v19, v11 :: v_dual_mov_b32 v6, v4
	s_mov_b32 s12, s33
.LBB136_48:                             ;   Parent Loop BB136_4 Depth=1
                                        ;     Parent Loop BB136_44 Depth=2
                                        ;       Parent Loop BB136_47 Depth=3
                                        ; =>      This Inner Loop Header: Depth=4
	flat_load_b64 v[20:21], v[6:7] offset:-4
	v_add_co_u32 v6, vcc_lo, v6, 8
	s_wait_alu 0xfffd
	v_add_co_ci_u32_e64 v7, null, 0, v7, vcc_lo
	s_wait_alu 0xfffe
	s_add_co_i32 s12, s12, -1
	s_wait_alu 0xfffe
	s_cmp_eq_u32 s12, 0
	s_wait_loadcnt_dscnt 0x0
	v_mul_f32_e32 v22, s2, v21
	s_delay_alu instid0(VALU_DEP_1) | instskip(NEXT) | instid1(VALU_DEP_1)
	v_dual_mul_f32 v23, s3, v21 :: v_dual_fmac_f32 v22, s3, v20
	v_fma_f32 v21, v20, s2, -v23
	ds_store_b64 v19, v[21:22]
	v_add_nc_u32_e32 v19, 8, v19
	s_cbranch_scc0 .LBB136_48
; %bb.49:                               ;   in Loop: Header=BB136_47 Depth=3
	s_cmp_lt_i32 s14, 1
	s_cbranch_scc1 .LBB136_54
; %bb.50:                               ;   in Loop: Header=BB136_47 Depth=3
	s_mov_b32 s12, 0
	s_mov_b32 s36, s15
.LBB136_51:                             ;   Parent Loop BB136_4 Depth=1
                                        ;     Parent Loop BB136_44 Depth=2
                                        ;       Parent Loop BB136_47 Depth=3
                                        ; =>      This Loop Header: Depth=4
                                        ;           Child Loop BB136_52 Depth 5
	s_wait_alu 0xfffe
	s_lshl_b64 s[38:39], s[12:13], 3
	v_mov_b32_e32 v19, v11
	s_wait_alu 0xfffe
	v_add_co_u32 v6, vcc_lo, v8, s38
	s_wait_alu 0xfffd
	v_add_co_ci_u32_e64 v7, null, s39, v9, vcc_lo
	s_mov_b32 s37, s36
	s_mov_b32 s38, s33
	flat_load_b64 v[6:7], v[6:7]
.LBB136_52:                             ;   Parent Loop BB136_4 Depth=1
                                        ;     Parent Loop BB136_44 Depth=2
                                        ;       Parent Loop BB136_47 Depth=3
                                        ;         Parent Loop BB136_51 Depth=4
                                        ; =>        This Inner Loop Header: Depth=5
	s_wait_alu 0xfffe
	v_mov_b32_e32 v20, s37
	s_add_co_i32 s38, s38, -1
	s_add_co_i32 s37, s37, 8
	s_wait_alu 0xfffe
	s_cmp_eq_u32 s38, 0
	ds_load_b64 v[20:21], v20
	ds_load_b64 v[22:23], v19
	s_wait_loadcnt_dscnt 0x1
	v_mul_f32_e32 v24, v21, v7
	v_mul_f32_e32 v21, v21, v6
	s_delay_alu instid0(VALU_DEP_1) | instskip(SKIP_1) | instid1(VALU_DEP_1)
	v_fmac_f32_e32 v21, v20, v7
	s_wait_dscnt 0x0
	v_sub_f32_e32 v21, v23, v21
	v_fma_f32 v24, v20, v6, -v24
	s_delay_alu instid0(VALU_DEP_1)
	v_sub_f32_e32 v20, v22, v24
	ds_store_b64 v19, v[20:21]
	v_add_nc_u32_e32 v19, 8, v19
	s_cbranch_scc0 .LBB136_52
; %bb.53:                               ;   in Loop: Header=BB136_51 Depth=4
	s_add_co_i32 s12, s12, 1
	s_add_co_i32 s36, s36, 32
	s_wait_alu 0xfffe
	s_cmp_eq_u32 s12, s14
	s_cbranch_scc0 .LBB136_51
.LBB136_54:                             ;   in Loop: Header=BB136_47 Depth=3
	s_mov_b32 s12, 0
	s_mov_b32 s36, s34
	s_branch .LBB136_56
.LBB136_55:                             ;   in Loop: Header=BB136_56 Depth=4
	s_add_co_i32 s38, s12, s14
	s_add_co_i32 s12, s12, 1
	s_wait_alu 0xfffe
	s_mul_i32 s37, s38, 40
	s_ashr_i32 s39, s38, 31
	s_wait_alu 0xfffe
	v_mov_b32_e32 v20, s37
	s_lshl_b64 s[38:39], s[38:39], 3
	s_add_co_i32 s36, s36, 8
	s_cmp_eq_u32 s12, s33
	ds_load_b64 v[20:21], v20
	s_wait_dscnt 0x0
	v_mul_f32_e32 v22, v21, v7
	v_mul_f32_e32 v23, v20, v7
	s_delay_alu instid0(VALU_DEP_2) | instskip(NEXT) | instid1(VALU_DEP_2)
	v_fma_f32 v22, v20, v6, -v22
	v_fmac_f32_e32 v23, v21, v6
	s_wait_alu 0xfffe
	v_add_co_u32 v6, vcc_lo, v8, s38
	s_wait_alu 0xfffd
	v_add_co_ci_u32_e64 v7, null, s39, v9, vcc_lo
	ds_store_b64 v19, v[22:23]
	flat_store_b64 v[6:7], v[22:23]
	s_cbranch_scc1 .LBB136_46
.LBB136_56:                             ;   Parent Loop BB136_4 Depth=1
                                        ;     Parent Loop BB136_44 Depth=2
                                        ;       Parent Loop BB136_47 Depth=3
                                        ; =>      This Loop Header: Depth=4
                                        ;           Child Loop BB136_58 Depth 5
	s_wait_alu 0xfffe
	v_lshl_add_u32 v19, s12, 3, v11
	s_cmp_lg_u32 s12, 0
	s_cbranch_scc0 .LBB136_60
; %bb.57:                               ;   in Loop: Header=BB136_56 Depth=4
	ds_load_b64 v[6:7], v19
	v_mov_b32_e32 v20, v11
	s_mov_b32 s37, s36
	s_mov_b32 s38, s12
.LBB136_58:                             ;   Parent Loop BB136_4 Depth=1
                                        ;     Parent Loop BB136_44 Depth=2
                                        ;       Parent Loop BB136_47 Depth=3
                                        ;         Parent Loop BB136_56 Depth=4
                                        ; =>        This Inner Loop Header: Depth=5
	s_wait_alu 0xfffe
	v_mov_b32_e32 v23, s37
	s_add_co_i32 s38, s38, -1
	s_add_co_i32 s37, s37, 32
	s_wait_alu 0xfffe
	s_cmp_eq_u32 s38, 0
	ds_load_b64 v[21:22], v20
	ds_load_b64 v[23:24], v23
	s_wait_dscnt 0x0
	v_dual_mul_f32 v25, v24, v22 :: v_dual_add_nc_u32 v20, 8, v20
	v_mul_f32_e32 v22, v23, v22
	s_delay_alu instid0(VALU_DEP_2) | instskip(NEXT) | instid1(VALU_DEP_2)
	v_fma_f32 v23, v23, v21, -v25
	v_fmac_f32_e32 v22, v24, v21
	s_delay_alu instid0(VALU_DEP_1)
	v_dual_sub_f32 v6, v6, v23 :: v_dual_sub_f32 v7, v7, v22
	ds_store_b64 v19, v[6:7]
	s_cbranch_scc0 .LBB136_58
; %bb.59:                               ;   in Loop: Header=BB136_56 Depth=4
	s_branch .LBB136_55
.LBB136_60:                             ;   in Loop: Header=BB136_56 Depth=4
                                        ; implicit-def: $vgpr6
	s_cbranch_execz .LBB136_55
; %bb.61:                               ;   in Loop: Header=BB136_56 Depth=4
	ds_load_b64 v[6:7], v11
	s_branch .LBB136_55
.LBB136_62:
	s_endpgm
	.section	.rodata,"a",@progbits
	.p2align	6, 0x0
	.amdhsa_kernel _ZL30rocblas_trsm_small_left_deviceILi4ELi4ELb1E19rocblas_complex_numIfES1_PKPKS1_PKPS1_Ev13rocblas_fill_18rocblas_operation_17rocblas_diagonal_iiT3_T4_lilT5_lili
		.amdhsa_group_segment_fixed_size 256
		.amdhsa_private_segment_fixed_size 0
		.amdhsa_kernarg_size 360
		.amdhsa_user_sgpr_count 4
		.amdhsa_user_sgpr_dispatch_ptr 1
		.amdhsa_user_sgpr_queue_ptr 0
		.amdhsa_user_sgpr_kernarg_segment_ptr 1
		.amdhsa_user_sgpr_dispatch_id 0
		.amdhsa_user_sgpr_private_segment_size 0
		.amdhsa_wavefront_size32 1
		.amdhsa_uses_dynamic_stack 0
		.amdhsa_enable_private_segment 0
		.amdhsa_system_sgpr_workgroup_id_x 1
		.amdhsa_system_sgpr_workgroup_id_y 0
		.amdhsa_system_sgpr_workgroup_id_z 1
		.amdhsa_system_sgpr_workgroup_info 0
		.amdhsa_system_vgpr_workitem_id 2
		.amdhsa_next_free_vgpr 26
		.amdhsa_next_free_sgpr 40
		.amdhsa_reserve_vcc 1
		.amdhsa_float_round_mode_32 0
		.amdhsa_float_round_mode_16_64 0
		.amdhsa_float_denorm_mode_32 3
		.amdhsa_float_denorm_mode_16_64 3
		.amdhsa_fp16_overflow 0
		.amdhsa_workgroup_processor_mode 1
		.amdhsa_memory_ordered 1
		.amdhsa_forward_progress 1
		.amdhsa_inst_pref_size 24
		.amdhsa_round_robin_scheduling 0
		.amdhsa_exception_fp_ieee_invalid_op 0
		.amdhsa_exception_fp_denorm_src 0
		.amdhsa_exception_fp_ieee_div_zero 0
		.amdhsa_exception_fp_ieee_overflow 0
		.amdhsa_exception_fp_ieee_underflow 0
		.amdhsa_exception_fp_ieee_inexact 0
		.amdhsa_exception_int_div_zero 0
	.end_amdhsa_kernel
	.section	.text._ZL30rocblas_trsm_small_left_deviceILi4ELi4ELb1E19rocblas_complex_numIfES1_PKPKS1_PKPS1_Ev13rocblas_fill_18rocblas_operation_17rocblas_diagonal_iiT3_T4_lilT5_lili,"axG",@progbits,_ZL30rocblas_trsm_small_left_deviceILi4ELi4ELb1E19rocblas_complex_numIfES1_PKPKS1_PKPS1_Ev13rocblas_fill_18rocblas_operation_17rocblas_diagonal_iiT3_T4_lilT5_lili,comdat
.Lfunc_end136:
	.size	_ZL30rocblas_trsm_small_left_deviceILi4ELi4ELb1E19rocblas_complex_numIfES1_PKPKS1_PKPS1_Ev13rocblas_fill_18rocblas_operation_17rocblas_diagonal_iiT3_T4_lilT5_lili, .Lfunc_end136-_ZL30rocblas_trsm_small_left_deviceILi4ELi4ELb1E19rocblas_complex_numIfES1_PKPKS1_PKPS1_Ev13rocblas_fill_18rocblas_operation_17rocblas_diagonal_iiT3_T4_lilT5_lili
                                        ; -- End function
	.set _ZL30rocblas_trsm_small_left_deviceILi4ELi4ELb1E19rocblas_complex_numIfES1_PKPKS1_PKPS1_Ev13rocblas_fill_18rocblas_operation_17rocblas_diagonal_iiT3_T4_lilT5_lili.num_vgpr, 26
	.set _ZL30rocblas_trsm_small_left_deviceILi4ELi4ELb1E19rocblas_complex_numIfES1_PKPKS1_PKPS1_Ev13rocblas_fill_18rocblas_operation_17rocblas_diagonal_iiT3_T4_lilT5_lili.num_agpr, 0
	.set _ZL30rocblas_trsm_small_left_deviceILi4ELi4ELb1E19rocblas_complex_numIfES1_PKPKS1_PKPS1_Ev13rocblas_fill_18rocblas_operation_17rocblas_diagonal_iiT3_T4_lilT5_lili.numbered_sgpr, 40
	.set _ZL30rocblas_trsm_small_left_deviceILi4ELi4ELb1E19rocblas_complex_numIfES1_PKPKS1_PKPS1_Ev13rocblas_fill_18rocblas_operation_17rocblas_diagonal_iiT3_T4_lilT5_lili.num_named_barrier, 0
	.set _ZL30rocblas_trsm_small_left_deviceILi4ELi4ELb1E19rocblas_complex_numIfES1_PKPKS1_PKPS1_Ev13rocblas_fill_18rocblas_operation_17rocblas_diagonal_iiT3_T4_lilT5_lili.private_seg_size, 0
	.set _ZL30rocblas_trsm_small_left_deviceILi4ELi4ELb1E19rocblas_complex_numIfES1_PKPKS1_PKPS1_Ev13rocblas_fill_18rocblas_operation_17rocblas_diagonal_iiT3_T4_lilT5_lili.uses_vcc, 1
	.set _ZL30rocblas_trsm_small_left_deviceILi4ELi4ELb1E19rocblas_complex_numIfES1_PKPKS1_PKPS1_Ev13rocblas_fill_18rocblas_operation_17rocblas_diagonal_iiT3_T4_lilT5_lili.uses_flat_scratch, 0
	.set _ZL30rocblas_trsm_small_left_deviceILi4ELi4ELb1E19rocblas_complex_numIfES1_PKPKS1_PKPS1_Ev13rocblas_fill_18rocblas_operation_17rocblas_diagonal_iiT3_T4_lilT5_lili.has_dyn_sized_stack, 0
	.set _ZL30rocblas_trsm_small_left_deviceILi4ELi4ELb1E19rocblas_complex_numIfES1_PKPKS1_PKPS1_Ev13rocblas_fill_18rocblas_operation_17rocblas_diagonal_iiT3_T4_lilT5_lili.has_recursion, 0
	.set _ZL30rocblas_trsm_small_left_deviceILi4ELi4ELb1E19rocblas_complex_numIfES1_PKPKS1_PKPS1_Ev13rocblas_fill_18rocblas_operation_17rocblas_diagonal_iiT3_T4_lilT5_lili.has_indirect_call, 0
	.section	.AMDGPU.csdata,"",@progbits
; Kernel info:
; codeLenInByte = 3032
; TotalNumSgprs: 42
; NumVgprs: 26
; ScratchSize: 0
; MemoryBound: 0
; FloatMode: 240
; IeeeMode: 1
; LDSByteSize: 256 bytes/workgroup (compile time only)
; SGPRBlocks: 0
; VGPRBlocks: 3
; NumSGPRsForWavesPerEU: 42
; NumVGPRsForWavesPerEU: 26
; Occupancy: 16
; WaveLimiterHint : 1
; COMPUTE_PGM_RSRC2:SCRATCH_EN: 0
; COMPUTE_PGM_RSRC2:USER_SGPR: 4
; COMPUTE_PGM_RSRC2:TRAP_HANDLER: 0
; COMPUTE_PGM_RSRC2:TGID_X_EN: 1
; COMPUTE_PGM_RSRC2:TGID_Y_EN: 0
; COMPUTE_PGM_RSRC2:TGID_Z_EN: 1
; COMPUTE_PGM_RSRC2:TIDIG_COMP_CNT: 2
	.section	.text._ZL31rocblas_trsm_small_right_deviceI19rocblas_complex_numIfES1_PKPKS1_PKPS1_Li4EEv13rocblas_fill_18rocblas_operation_17rocblas_diagonal_iiT0_T1_lilT2_lili,"axG",@progbits,_ZL31rocblas_trsm_small_right_deviceI19rocblas_complex_numIfES1_PKPKS1_PKPS1_Li4EEv13rocblas_fill_18rocblas_operation_17rocblas_diagonal_iiT0_T1_lilT2_lili,comdat
	.globl	_ZL31rocblas_trsm_small_right_deviceI19rocblas_complex_numIfES1_PKPKS1_PKPS1_Li4EEv13rocblas_fill_18rocblas_operation_17rocblas_diagonal_iiT0_T1_lilT2_lili ; -- Begin function _ZL31rocblas_trsm_small_right_deviceI19rocblas_complex_numIfES1_PKPKS1_PKPS1_Li4EEv13rocblas_fill_18rocblas_operation_17rocblas_diagonal_iiT0_T1_lilT2_lili
	.p2align	8
	.type	_ZL31rocblas_trsm_small_right_deviceI19rocblas_complex_numIfES1_PKPKS1_PKPS1_Li4EEv13rocblas_fill_18rocblas_operation_17rocblas_diagonal_iiT0_T1_lilT2_lili,@function
_ZL31rocblas_trsm_small_right_deviceI19rocblas_complex_numIfES1_PKPKS1_PKPS1_Li4EEv13rocblas_fill_18rocblas_operation_17rocblas_diagonal_iiT0_T1_lilT2_lili: ; @_ZL31rocblas_trsm_small_right_deviceI19rocblas_complex_numIfES1_PKPKS1_PKPS1_Li4EEv13rocblas_fill_18rocblas_operation_17rocblas_diagonal_iiT0_T1_lilT2_lili
; %bb.0:
	s_load_b32 s19, s[0:1], 0x60
	s_lshr_b32 s2, ttmp7, 16
	s_wait_kmcnt 0x0
	s_cmp_ge_u32 s2, s19
	s_cbranch_scc1 .LBB137_135
; %bb.1:
	s_clause 0x6
	s_load_b32 s22, s[0:1], 0x30
	s_load_b32 s24, s[0:1], 0x50
	s_load_b128 s[12:15], s[0:1], 0x0
	s_load_b96 s[16:18], s[0:1], 0x10
	s_load_b32 s3, s[0:1], 0x68
	s_load_b128 s[4:7], s[0:1], 0x20
	s_load_b128 s[8:11], s[0:1], 0x40
	s_mov_b32 s20, ttmp9
	v_dual_mov_b32 v13, 0 :: v_dual_lshlrev_b32 v18, 3, v0
	v_dual_mov_b32 v12, 1.0 :: v_dual_lshlrev_b32 v1, 5, v0
	v_lshlrev_b32_e32 v31, 3, v0
	s_delay_alu instid0(VALU_DEP_3) | instskip(NEXT) | instid1(VALU_DEP_3)
	v_or_b32_e32 v19, 0x80, v18
	v_add_nc_u32_e32 v30, v18, v1
	s_wait_kmcnt 0x0
	s_ashr_i32 s23, s22, 31
	s_ashr_i32 s25, s24, 31
	s_cmp_lg_u32 s12, 0x7a
	s_cselect_b32 s29, -1, 0
	s_cmp_lg_u32 s13, 0x71
	s_cselect_b32 s1, -1, 0
	s_min_i32 s26, s16, 4
	s_lshl_b32 s0, ttmp9, 2
	s_add_co_i32 s3, s3, -1
	s_add_co_i32 s27, s26, -1
	s_sub_co_i32 s0, s15, s0
	s_cmp_ge_u32 ttmp9, s3
	s_mul_i32 s36, s27, 40
	s_cselect_b32 s0, s0, 4
	s_ashr_i32 s21, ttmp9, 31
	v_cmp_gt_i32_e32 vcc_lo, s0, v0
	s_lshl_b64 s[20:21], s[20:21], 5
	s_cmp_eq_u32 s14, 0x84
	s_mov_b32 s3, 0
	s_cselect_b32 s28, -1, 0
	s_cmp_gt_i32 s16, 0
	s_cselect_b32 s14, -1, 0
	s_cmp_lg_u32 s13, 0x6f
	s_cselect_b32 s13, -1, 0
	s_cmp_lg_u32 s12, 0x79
	s_cselect_b32 s0, -1, 0
	s_or_b32 s29, s29, s13
	s_wait_alu 0xfffe
	s_or_b32 s30, s0, s13
	s_cmp_gt_i32 s16, 3
	v_cndmask_b32_e64 v20, 0, 1, s0
	s_cselect_b32 s31, -1, 0
	s_lshl_b64 s[6:7], s[6:7], 3
	s_lshl_b32 s12, s27, 5
	v_add_co_u32 v2, s6, s6, v18
	s_add_co_i32 s13, s26, -2
	v_add_nc_u32_e32 v21, s12, v19
	s_lshl_b32 s12, s27, 3
	s_wait_alu 0xf1ff
	v_add_co_ci_u32_e64 v25, null, s7, 0, s6
	s_lshl_b64 s[6:7], s[10:11], 3
	s_lshl_b32 s34, s13, 5
	s_wait_alu 0xfffe
	s_sub_co_i32 s41, s36, s12
	s_lshl_b32 s37, s13, 3
	s_add_nc_u64 s[12:13], s[20:21], s[6:7]
	s_lshl_b32 s52, s26, 5
	v_or_b32_e32 v26, 4, v2
	s_wait_alu 0xfffe
	v_add_co_u32 v2, s12, s12, v18
	v_or_b32_e32 v3, s52, v18
	s_and_b32 s33, vcc_lo, s14
	s_add_co_i32 s14, s26, -3
	s_add_co_i32 s15, s26, -4
	s_sub_co_i32 s40, s36, 40
	s_lshl_b32 s35, s14, 5
	s_lshl_b32 s51, s15, 5
	;; [unrolled: 1-line block ×3, first 2 shown]
	s_sub_co_i32 s43, s40, s37
	s_lshl_b32 s14, s26, 3
	v_cmp_gt_i32_e64 s0, s26, v0
	v_add_nc_u32_e32 v22, s34, v19
	v_add_nc_u32_e32 v23, s35, v19
	;; [unrolled: 1-line block ×3, first 2 shown]
	s_wait_alu 0xf1ff
	v_add_co_ci_u32_e64 v27, null, s13, 0, s12
	v_or_b32_e32 v28, 4, v2
	v_add_nc_u32_e32 v29, 0x60, v3
	s_add_co_i32 s42, s43, s39
	s_add_co_i32 s43, s43, s14
	s_lshl_b32 s15, s15, 3
	s_add_co_i32 s38, s41, s37
	s_add_co_i32 s41, s41, s39
	;; [unrolled: 1-line block ×3, first 2 shown]
	s_sub_co_i32 s45, s43, 32
	s_sub_co_i32 s46, s43, 64
	s_add_co_i32 s47, s36, 0xffffff88
	s_add_co_i32 s48, s26, -5
	s_sub_co_i32 s49, s43, 40
	s_add_co_i32 s50, s43, 0xffffffb0
	s_lshl_b64 s[10:11], s[22:23], 3
	s_lshl_b64 s[12:13], s[24:25], 3
	s_sub_co_i32 s22, s52, 32
	s_add_co_i32 s23, s14, -8
	s_add_co_i32 s24, s51, s15
	s_branch .LBB137_3
.LBB137_2:                              ;   in Loop: Header=BB137_3 Depth=1
	s_wait_alu 0xfffe
	s_or_b32 exec_lo, exec_lo, s14
	s_add_co_i32 s2, s2, 0x10000
	s_delay_alu instid0(SALU_CYCLE_1)
	s_cmp_lt_u32 s2, s19
	s_cbranch_scc0 .LBB137_135
.LBB137_3:                              ; =>This Loop Header: Depth=1
                                        ;     Child Loop BB137_6 Depth 2
                                        ;     Child Loop BB137_14 Depth 2
	;; [unrolled: 1-line block ×3, first 2 shown]
                                        ;       Child Loop BB137_40 Depth 3
                                        ;     Child Loop BB137_68 Depth 2
                                        ;       Child Loop BB137_69 Depth 3
                                        ;     Child Loop BB137_97 Depth 2
	;; [unrolled: 2-line block ×4, first 2 shown]
	s_lshl_b64 s[14:15], s[2:3], 3
	s_wait_alu 0xfffe
	s_add_nc_u64 s[52:53], s[8:9], s[14:15]
	global_load_b64 v[14:15], v13, s[52:53]
	s_and_saveexec_b32 s25, s0
	s_cbranch_execz .LBB137_12
; %bb.4:                                ;   in Loop: Header=BB137_3 Depth=1
	s_add_nc_u64 s[14:15], s[4:5], s[14:15]
	v_mov_b32_e32 v4, v18
	global_load_b64 v[0:1], v13, s[14:15]
	s_mov_b32 s14, s26
	s_wait_loadcnt 0x0
	v_add_co_u32 v0, vcc_lo, v0, v26
	s_wait_alu 0xfffd
	v_add_co_ci_u32_e64 v1, null, v1, v25, vcc_lo
	s_branch .LBB137_6
.LBB137_5:                              ;   in Loop: Header=BB137_6 Depth=2
	flat_load_b32 v2, v[0:1] offset:-4
	v_add_co_u32 v0, vcc_lo, v0, s10
	s_wait_alu 0xfffd
	v_add_co_ci_u32_e64 v1, null, s11, v1, vcc_lo
	s_add_co_i32 s14, s14, -1
	s_wait_alu 0xfffe
	s_cmp_eq_u32 s14, 0
	s_wait_loadcnt_dscnt 0x0
	ds_store_b64 v4, v[2:3]
	v_add_nc_u32_e32 v4, 32, v4
	s_cbranch_scc1 .LBB137_10
.LBB137_6:                              ;   Parent Loop BB137_3 Depth=1
                                        ; =>  This Inner Loop Header: Depth=2
	s_and_b32 vcc_lo, exec_lo, s1
	s_mov_b32 s15, -1
                                        ; implicit-def: $vgpr3
	s_wait_alu 0xfffe
	s_cbranch_vccz .LBB137_8
; %bb.7:                                ;   in Loop: Header=BB137_6 Depth=2
	flat_load_b32 v3, v[0:1]
	s_mov_b32 s15, 0
.LBB137_8:                              ;   in Loop: Header=BB137_6 Depth=2
	s_wait_alu 0xfffe
	s_and_not1_b32 vcc_lo, exec_lo, s15
	s_wait_alu 0xfffe
	s_cbranch_vccnz .LBB137_5
; %bb.9:                                ;   in Loop: Header=BB137_6 Depth=2
	flat_load_b32 v2, v[0:1]
	s_wait_loadcnt_dscnt 0x0
	v_xor_b32_e32 v3, 0x80000000, v2
	s_branch .LBB137_5
.LBB137_10:                             ;   in Loop: Header=BB137_3 Depth=1
	s_and_b32 vcc_lo, exec_lo, s28
	s_wait_alu 0xfffe
	s_cbranch_vccz .LBB137_12
; %bb.11:                               ;   in Loop: Header=BB137_3 Depth=1
	ds_store_b64 v30, v[12:13]
.LBB137_12:                             ;   in Loop: Header=BB137_3 Depth=1
	s_wait_alu 0xfffe
	s_or_b32 exec_lo, exec_lo, s25
	s_and_saveexec_b32 s14, s33
	s_cbranch_execz .LBB137_15
; %bb.13:                               ;   in Loop: Header=BB137_3 Depth=1
	s_wait_loadcnt 0x0
	v_add_co_u32 v0, vcc_lo, v14, v28
	s_wait_alu 0xfffd
	v_add_co_ci_u32_e64 v1, null, v15, v27, vcc_lo
	v_mov_b32_e32 v2, v19
	s_mov_b32 s15, s16
.LBB137_14:                             ;   Parent Loop BB137_3 Depth=1
                                        ; =>  This Inner Loop Header: Depth=2
	flat_load_b64 v[3:4], v[0:1] offset:-4
	s_wait_alu 0xfffe
	v_add_co_u32 v0, vcc_lo, v0, s12
	s_wait_alu 0xfffd
	v_add_co_ci_u32_e64 v1, null, s13, v1, vcc_lo
	s_add_co_i32 s15, s15, -1
	s_wait_alu 0xfffe
	s_cmp_lg_u32 s15, 0
	s_wait_loadcnt_dscnt 0x0
	v_mul_f32_e32 v5, s17, v4
	s_delay_alu instid0(VALU_DEP_1) | instskip(NEXT) | instid1(VALU_DEP_1)
	v_dual_mul_f32 v6, s18, v4 :: v_dual_fmac_f32 v5, s18, v3
	v_fma_f32 v4, s17, v3, -v6
	ds_store_b64 v2, v[4:5]
	v_add_nc_u32_e32 v2, 32, v2
	s_cbranch_scc1 .LBB137_14
.LBB137_15:                             ;   in Loop: Header=BB137_3 Depth=1
	s_wait_alu 0xfffe
	s_or_b32 exec_lo, exec_lo, s14
	s_delay_alu instid0(SALU_CYCLE_1)
	s_and_b32 vcc_lo, exec_lo, s30
	s_mov_b32 s14, -1
	; wave barrier
	s_wait_loadcnt_dscnt 0x0
	global_inv scope:SCOPE_SE
	s_wait_alu 0xfffe
	s_cbranch_vccz .LBB137_104
; %bb.16:                               ;   in Loop: Header=BB137_3 Depth=1
	s_and_b32 vcc_lo, exec_lo, s29
	s_wait_alu 0xfffe
	s_cbranch_vccz .LBB137_75
; %bb.17:                               ;   in Loop: Header=BB137_3 Depth=1
	v_cmp_ne_u32_e32 vcc_lo, 1, v20
	s_cbranch_vccnz .LBB137_46
; %bb.18:                               ;   in Loop: Header=BB137_3 Depth=1
	s_and_not1_b32 vcc_lo, exec_lo, s31
	s_mov_b32 s14, 0
	s_wait_alu 0xfffe
	s_cbranch_vccnz .LBB137_36
; %bb.19:                               ;   in Loop: Header=BB137_3 Depth=1
	ds_load_b64 v[8:9], v13
	ds_load_2addr_b64 v[4:7], v19 offset1:4
	ds_load_2addr_b64 v[0:3], v19 offset0:8 offset1:12
	s_mov_b32 s14, -1
                                        ; implicit-def: $vgpr17
	s_wait_dscnt 0x2
	v_and_b32_e32 v10, 0x7fffffff, v8
	v_and_b32_e32 v11, 0x7fffffff, v9
	s_delay_alu instid0(VALU_DEP_1)
	v_cmp_ngt_f32_e32 vcc_lo, v10, v11
	s_cbranch_vccz .LBB137_21
; %bb.20:                               ;   in Loop: Header=BB137_3 Depth=1
	v_div_scale_f32 v10, null, v9, v9, v8
	v_div_scale_f32 v17, vcc_lo, v8, v9, v8
	s_mov_b32 s14, 0
	v_rcp_f32_e32 v11, v10
	v_xor_b32_e32 v10, 0x80000000, v10
	s_delay_alu instid0(TRANS32_DEP_1) | instid1(VALU_DEP_1)
	v_fma_f32 v16, v10, v11, 1.0
	s_delay_alu instid0(VALU_DEP_1) | instskip(NEXT) | instid1(VALU_DEP_1)
	v_fmac_f32_e32 v11, v16, v11
	v_mul_f32_e32 v16, v17, v11
	s_delay_alu instid0(VALU_DEP_1) | instskip(NEXT) | instid1(VALU_DEP_1)
	v_fma_f32 v32, v10, v16, v17
	v_fmac_f32_e32 v16, v32, v11
	s_delay_alu instid0(VALU_DEP_1) | instskip(SKIP_1) | instid1(VALU_DEP_1)
	v_fmac_f32_e32 v17, v10, v16
	s_wait_alu 0xfffd
	v_div_fmas_f32 v10, v17, v11, v16
	s_delay_alu instid0(VALU_DEP_1) | instskip(NEXT) | instid1(VALU_DEP_1)
	v_div_fixup_f32 v10, v10, v9, v8
	v_fma_f32 v11, v8, v10, v9
	s_delay_alu instid0(VALU_DEP_1) | instskip(SKIP_1) | instid1(VALU_DEP_2)
	v_div_scale_f32 v16, null, v11, v11, 1.0
	v_div_scale_f32 v33, vcc_lo, 1.0, v11, 1.0
	v_rcp_f32_e32 v17, v16
	v_xor_b32_e32 v16, 0x80000000, v16
	s_delay_alu instid0(TRANS32_DEP_1) | instid1(VALU_DEP_1)
	v_fma_f32 v32, v16, v17, 1.0
	s_delay_alu instid0(VALU_DEP_1) | instskip(NEXT) | instid1(VALU_DEP_1)
	v_fmac_f32_e32 v17, v32, v17
	v_mul_f32_e32 v32, v33, v17
	s_delay_alu instid0(VALU_DEP_1) | instskip(NEXT) | instid1(VALU_DEP_1)
	v_fma_f32 v34, v16, v32, v33
	v_fmac_f32_e32 v32, v34, v17
	s_delay_alu instid0(VALU_DEP_1) | instskip(SKIP_1) | instid1(VALU_DEP_1)
	v_fmac_f32_e32 v33, v16, v32
	s_wait_alu 0xfffd
	v_div_fmas_f32 v16, v33, v17, v32
	s_wait_dscnt 0x1
	v_fma_f32 v17, v4, v10, v5
	v_fma_f32 v10, v5, v10, -v4
	s_delay_alu instid0(VALU_DEP_3) | instskip(NEXT) | instid1(VALU_DEP_1)
	v_div_fixup_f32 v11, v16, v11, 1.0
	v_mul_f32_e32 v16, v17, v11
	s_delay_alu instid0(VALU_DEP_3)
	v_mul_f32_e32 v17, v10, v11
.LBB137_21:                             ;   in Loop: Header=BB137_3 Depth=1
	s_wait_alu 0xfffe
	s_and_not1_b32 vcc_lo, exec_lo, s14
	s_wait_alu 0xfffe
	s_cbranch_vccnz .LBB137_23
; %bb.22:                               ;   in Loop: Header=BB137_3 Depth=1
	v_div_scale_f32 v10, null, v8, v8, v9
	v_div_scale_f32 v17, vcc_lo, v9, v8, v9
	s_delay_alu instid0(VALU_DEP_2)
	v_rcp_f32_e32 v11, v10
	v_xor_b32_e32 v10, 0x80000000, v10
	s_delay_alu instid0(TRANS32_DEP_1) | instid1(VALU_DEP_1)
	v_fma_f32 v16, v10, v11, 1.0
	s_delay_alu instid0(VALU_DEP_1) | instskip(NEXT) | instid1(VALU_DEP_1)
	v_fmac_f32_e32 v11, v16, v11
	v_mul_f32_e32 v16, v17, v11
	s_delay_alu instid0(VALU_DEP_1) | instskip(NEXT) | instid1(VALU_DEP_1)
	v_fma_f32 v32, v10, v16, v17
	v_fmac_f32_e32 v16, v32, v11
	s_delay_alu instid0(VALU_DEP_1) | instskip(SKIP_1) | instid1(VALU_DEP_1)
	v_fmac_f32_e32 v17, v10, v16
	s_wait_alu 0xfffd
	v_div_fmas_f32 v10, v17, v11, v16
	s_delay_alu instid0(VALU_DEP_1) | instskip(NEXT) | instid1(VALU_DEP_1)
	v_div_fixup_f32 v10, v10, v8, v9
	v_fmac_f32_e32 v8, v9, v10
	s_delay_alu instid0(VALU_DEP_1) | instskip(SKIP_1) | instid1(VALU_DEP_2)
	v_div_scale_f32 v9, null, v8, v8, 1.0
	v_div_scale_f32 v17, vcc_lo, 1.0, v8, 1.0
	v_rcp_f32_e32 v11, v9
	v_xor_b32_e32 v9, 0x80000000, v9
	s_delay_alu instid0(TRANS32_DEP_1) | instid1(VALU_DEP_1)
	v_fma_f32 v16, v9, v11, 1.0
	s_delay_alu instid0(VALU_DEP_1) | instskip(NEXT) | instid1(VALU_DEP_1)
	v_fmac_f32_e32 v11, v16, v11
	v_mul_f32_e32 v16, v17, v11
	s_delay_alu instid0(VALU_DEP_1) | instskip(NEXT) | instid1(VALU_DEP_1)
	v_fma_f32 v32, v9, v16, v17
	v_fmac_f32_e32 v16, v32, v11
	s_delay_alu instid0(VALU_DEP_1) | instskip(SKIP_1) | instid1(VALU_DEP_1)
	v_fmac_f32_e32 v17, v9, v16
	s_wait_alu 0xfffd
	v_div_fmas_f32 v9, v17, v11, v16
	s_wait_dscnt 0x1
	v_fma_f32 v11, v5, v10, v4
	v_fma_f32 v4, -v4, v10, v5
	s_delay_alu instid0(VALU_DEP_3) | instskip(NEXT) | instid1(VALU_DEP_1)
	v_div_fixup_f32 v8, v9, v8, 1.0
	v_mul_f32_e32 v16, v11, v8
	s_delay_alu instid0(VALU_DEP_3)
	v_mul_f32_e32 v17, v4, v8
.LBB137_23:                             ;   in Loop: Header=BB137_3 Depth=1
	ds_load_2addr_b64 v[8:11], v13 offset0:1 offset1:5
	s_mov_b32 s14, -1
	ds_store_b64 v19, v[16:17]
	s_wait_dscnt 0x1
	v_mul_f32_e32 v4, v17, v9
	v_dual_mul_f32 v5, v16, v9 :: v_dual_and_b32 v32, 0x7fffffff, v11
	v_and_b32_e32 v9, 0x7fffffff, v10
	s_delay_alu instid0(VALU_DEP_3) | instskip(NEXT) | instid1(VALU_DEP_3)
	v_fma_f32 v4, v16, v8, -v4
	v_fmac_f32_e32 v5, v17, v8
	s_delay_alu instid0(VALU_DEP_3) | instskip(NEXT) | instid1(VALU_DEP_2)
	v_cmp_ngt_f32_e32 vcc_lo, v9, v32
                                        ; implicit-def: $vgpr9
	v_dual_sub_f32 v4, v6, v4 :: v_dual_sub_f32 v5, v7, v5
	s_cbranch_vccz .LBB137_25
; %bb.24:                               ;   in Loop: Header=BB137_3 Depth=1
	v_div_scale_f32 v6, null, v11, v11, v10
	v_div_scale_f32 v9, vcc_lo, v10, v11, v10
	s_mov_b32 s14, 0
	v_rcp_f32_e32 v7, v6
	v_xor_b32_e32 v6, 0x80000000, v6
	s_delay_alu instid0(TRANS32_DEP_1) | instid1(VALU_DEP_1)
	v_fma_f32 v8, v6, v7, 1.0
	s_delay_alu instid0(VALU_DEP_1) | instskip(NEXT) | instid1(VALU_DEP_1)
	v_fmac_f32_e32 v7, v8, v7
	v_mul_f32_e32 v8, v9, v7
	s_delay_alu instid0(VALU_DEP_1) | instskip(NEXT) | instid1(VALU_DEP_1)
	v_fma_f32 v32, v6, v8, v9
	v_fmac_f32_e32 v8, v32, v7
	s_delay_alu instid0(VALU_DEP_1) | instskip(SKIP_1) | instid1(VALU_DEP_1)
	v_fmac_f32_e32 v9, v6, v8
	s_wait_alu 0xfffd
	v_div_fmas_f32 v6, v9, v7, v8
	s_delay_alu instid0(VALU_DEP_1) | instskip(NEXT) | instid1(VALU_DEP_1)
	v_div_fixup_f32 v6, v6, v11, v10
	v_fma_f32 v7, v10, v6, v11
	s_delay_alu instid0(VALU_DEP_1) | instskip(SKIP_1) | instid1(VALU_DEP_2)
	v_div_scale_f32 v8, null, v7, v7, 1.0
	v_div_scale_f32 v33, vcc_lo, 1.0, v7, 1.0
	v_rcp_f32_e32 v9, v8
	v_xor_b32_e32 v8, 0x80000000, v8
	s_delay_alu instid0(TRANS32_DEP_1) | instid1(VALU_DEP_1)
	v_fma_f32 v32, v8, v9, 1.0
	s_delay_alu instid0(VALU_DEP_1) | instskip(NEXT) | instid1(VALU_DEP_1)
	v_fmac_f32_e32 v9, v32, v9
	v_mul_f32_e32 v32, v33, v9
	s_delay_alu instid0(VALU_DEP_1) | instskip(NEXT) | instid1(VALU_DEP_1)
	v_fma_f32 v34, v8, v32, v33
	v_fmac_f32_e32 v32, v34, v9
	s_delay_alu instid0(VALU_DEP_1) | instskip(SKIP_1) | instid1(VALU_DEP_1)
	v_fmac_f32_e32 v33, v8, v32
	s_wait_alu 0xfffd
	v_div_fmas_f32 v8, v33, v9, v32
	v_fma_f32 v9, v6, v4, v5
	v_fma_f32 v6, v6, v5, -v4
	s_delay_alu instid0(VALU_DEP_3) | instskip(NEXT) | instid1(VALU_DEP_1)
	v_div_fixup_f32 v7, v8, v7, 1.0
	v_mul_f32_e32 v8, v9, v7
	s_delay_alu instid0(VALU_DEP_3)
	v_mul_f32_e32 v9, v6, v7
.LBB137_25:                             ;   in Loop: Header=BB137_3 Depth=1
	s_wait_alu 0xfffe
	s_and_not1_b32 vcc_lo, exec_lo, s14
	s_wait_alu 0xfffe
	s_cbranch_vccnz .LBB137_27
; %bb.26:                               ;   in Loop: Header=BB137_3 Depth=1
	v_div_scale_f32 v6, null, v10, v10, v11
	v_div_scale_f32 v9, vcc_lo, v11, v10, v11
	s_delay_alu instid0(VALU_DEP_2)
	v_rcp_f32_e32 v7, v6
	v_xor_b32_e32 v6, 0x80000000, v6
	s_delay_alu instid0(TRANS32_DEP_1) | instid1(VALU_DEP_1)
	v_fma_f32 v8, v6, v7, 1.0
	s_delay_alu instid0(VALU_DEP_1) | instskip(NEXT) | instid1(VALU_DEP_1)
	v_fmac_f32_e32 v7, v8, v7
	v_mul_f32_e32 v8, v9, v7
	s_delay_alu instid0(VALU_DEP_1) | instskip(NEXT) | instid1(VALU_DEP_1)
	v_fma_f32 v32, v6, v8, v9
	v_fmac_f32_e32 v8, v32, v7
	s_delay_alu instid0(VALU_DEP_1) | instskip(SKIP_1) | instid1(VALU_DEP_1)
	v_fmac_f32_e32 v9, v6, v8
	s_wait_alu 0xfffd
	v_div_fmas_f32 v6, v9, v7, v8
	s_delay_alu instid0(VALU_DEP_1) | instskip(NEXT) | instid1(VALU_DEP_1)
	v_div_fixup_f32 v6, v6, v10, v11
	v_fmac_f32_e32 v10, v11, v6
	s_delay_alu instid0(VALU_DEP_1) | instskip(SKIP_1) | instid1(VALU_DEP_2)
	v_div_scale_f32 v7, null, v10, v10, 1.0
	v_div_scale_f32 v11, vcc_lo, 1.0, v10, 1.0
	v_rcp_f32_e32 v8, v7
	v_xor_b32_e32 v7, 0x80000000, v7
	s_delay_alu instid0(TRANS32_DEP_1) | instid1(VALU_DEP_1)
	v_fma_f32 v9, v7, v8, 1.0
	s_delay_alu instid0(VALU_DEP_1) | instskip(NEXT) | instid1(VALU_DEP_1)
	v_fmac_f32_e32 v8, v9, v8
	v_mul_f32_e32 v9, v11, v8
	s_delay_alu instid0(VALU_DEP_1) | instskip(NEXT) | instid1(VALU_DEP_1)
	v_fma_f32 v32, v7, v9, v11
	v_fmac_f32_e32 v9, v32, v8
	s_delay_alu instid0(VALU_DEP_1) | instskip(SKIP_1) | instid1(VALU_DEP_1)
	v_fmac_f32_e32 v11, v7, v9
	s_wait_alu 0xfffd
	v_div_fmas_f32 v7, v11, v8, v9
	v_fma_f32 v8, v6, v5, v4
	v_fma_f32 v4, -v6, v4, v5
	s_delay_alu instid0(VALU_DEP_3) | instskip(NEXT) | instid1(VALU_DEP_1)
	v_div_fixup_f32 v7, v7, v10, 1.0
	v_mul_f32_e32 v8, v8, v7
	s_delay_alu instid0(VALU_DEP_3)
	v_mul_f32_e32 v9, v4, v7
.LBB137_27:                             ;   in Loop: Header=BB137_3 Depth=1
	ds_load_2addr_b64 v[32:35], v13 offset0:2 offset1:6
	ds_load_b64 v[4:5], v13 offset:80
	s_mov_b32 s14, -1
	ds_store_b64 v19, v[8:9] offset:32
	s_wait_dscnt 0x2
	v_dual_mul_f32 v6, v17, v33 :: v_dual_mul_f32 v11, v8, v35
	v_dual_mul_f32 v7, v16, v33 :: v_dual_mul_f32 v10, v9, v35
	s_delay_alu instid0(VALU_DEP_2) | instskip(SKIP_2) | instid1(VALU_DEP_3)
	v_fma_f32 v6, v16, v32, -v6
	s_wait_dscnt 0x1
	v_and_b32_e32 v33, 0x7fffffff, v4
	v_dual_fmac_f32 v7, v17, v32 :: v_dual_and_b32 v32, 0x7fffffff, v5
	v_fma_f32 v10, v8, v34, -v10
	v_fmac_f32_e32 v11, v9, v34
	s_delay_alu instid0(VALU_DEP_3) | instskip(NEXT) | instid1(VALU_DEP_4)
	v_dual_sub_f32 v0, v0, v6 :: v_dual_sub_f32 v1, v1, v7
	v_cmp_ngt_f32_e32 vcc_lo, v33, v32
	s_delay_alu instid0(VALU_DEP_2)
	v_dual_sub_f32 v6, v0, v10 :: v_dual_sub_f32 v7, v1, v11
                                        ; implicit-def: $vgpr1
	s_cbranch_vccz .LBB137_29
; %bb.28:                               ;   in Loop: Header=BB137_3 Depth=1
	v_div_scale_f32 v0, null, v5, v5, v4
	v_div_scale_f32 v11, vcc_lo, v4, v5, v4
	s_mov_b32 s14, 0
	v_rcp_f32_e32 v1, v0
	v_xor_b32_e32 v0, 0x80000000, v0
	s_delay_alu instid0(TRANS32_DEP_1) | instid1(VALU_DEP_1)
	v_fma_f32 v10, v0, v1, 1.0
	s_delay_alu instid0(VALU_DEP_1) | instskip(NEXT) | instid1(VALU_DEP_1)
	v_fmac_f32_e32 v1, v10, v1
	v_mul_f32_e32 v10, v11, v1
	s_delay_alu instid0(VALU_DEP_1) | instskip(NEXT) | instid1(VALU_DEP_1)
	v_fma_f32 v32, v0, v10, v11
	v_fmac_f32_e32 v10, v32, v1
	s_delay_alu instid0(VALU_DEP_1) | instskip(SKIP_1) | instid1(VALU_DEP_1)
	v_fmac_f32_e32 v11, v0, v10
	s_wait_alu 0xfffd
	v_div_fmas_f32 v0, v11, v1, v10
	s_delay_alu instid0(VALU_DEP_1) | instskip(NEXT) | instid1(VALU_DEP_1)
	v_div_fixup_f32 v0, v0, v5, v4
	v_fma_f32 v1, v4, v0, v5
	s_delay_alu instid0(VALU_DEP_1) | instskip(SKIP_1) | instid1(VALU_DEP_2)
	v_div_scale_f32 v10, null, v1, v1, 1.0
	v_div_scale_f32 v33, vcc_lo, 1.0, v1, 1.0
	v_rcp_f32_e32 v11, v10
	v_xor_b32_e32 v10, 0x80000000, v10
	s_delay_alu instid0(TRANS32_DEP_1) | instid1(VALU_DEP_1)
	v_fma_f32 v32, v10, v11, 1.0
	s_delay_alu instid0(VALU_DEP_1) | instskip(NEXT) | instid1(VALU_DEP_1)
	v_fmac_f32_e32 v11, v32, v11
	v_mul_f32_e32 v32, v33, v11
	s_delay_alu instid0(VALU_DEP_1) | instskip(NEXT) | instid1(VALU_DEP_1)
	v_fma_f32 v34, v10, v32, v33
	v_fmac_f32_e32 v32, v34, v11
	s_delay_alu instid0(VALU_DEP_1) | instskip(SKIP_1) | instid1(VALU_DEP_1)
	v_fmac_f32_e32 v33, v10, v32
	s_wait_alu 0xfffd
	v_div_fmas_f32 v10, v33, v11, v32
	v_fma_f32 v11, v0, v6, v7
	s_delay_alu instid0(VALU_DEP_2) | instskip(SKIP_1) | instid1(VALU_DEP_2)
	v_div_fixup_f32 v1, v10, v1, 1.0
	v_fma_f32 v10, v0, v7, -v6
	v_mul_f32_e32 v0, v11, v1
	s_delay_alu instid0(VALU_DEP_2)
	v_mul_f32_e32 v1, v10, v1
.LBB137_29:                             ;   in Loop: Header=BB137_3 Depth=1
	s_wait_alu 0xfffe
	s_and_not1_b32 vcc_lo, exec_lo, s14
	s_wait_alu 0xfffe
	s_cbranch_vccnz .LBB137_31
; %bb.30:                               ;   in Loop: Header=BB137_3 Depth=1
	v_div_scale_f32 v0, null, v4, v4, v5
	v_div_scale_f32 v11, vcc_lo, v5, v4, v5
	s_delay_alu instid0(VALU_DEP_2)
	v_rcp_f32_e32 v1, v0
	v_xor_b32_e32 v0, 0x80000000, v0
	s_delay_alu instid0(TRANS32_DEP_1) | instid1(VALU_DEP_1)
	v_fma_f32 v10, v0, v1, 1.0
	s_delay_alu instid0(VALU_DEP_1) | instskip(NEXT) | instid1(VALU_DEP_1)
	v_fmac_f32_e32 v1, v10, v1
	v_mul_f32_e32 v10, v11, v1
	s_delay_alu instid0(VALU_DEP_1) | instskip(NEXT) | instid1(VALU_DEP_1)
	v_fma_f32 v32, v0, v10, v11
	v_fmac_f32_e32 v10, v32, v1
	s_delay_alu instid0(VALU_DEP_1) | instskip(SKIP_1) | instid1(VALU_DEP_1)
	v_fmac_f32_e32 v11, v0, v10
	s_wait_alu 0xfffd
	v_div_fmas_f32 v0, v11, v1, v10
	s_delay_alu instid0(VALU_DEP_1) | instskip(NEXT) | instid1(VALU_DEP_1)
	v_div_fixup_f32 v0, v0, v4, v5
	v_fmac_f32_e32 v4, v5, v0
	s_delay_alu instid0(VALU_DEP_1) | instskip(SKIP_1) | instid1(VALU_DEP_2)
	v_div_scale_f32 v1, null, v4, v4, 1.0
	v_div_scale_f32 v11, vcc_lo, 1.0, v4, 1.0
	v_rcp_f32_e32 v5, v1
	v_xor_b32_e32 v1, 0x80000000, v1
	s_delay_alu instid0(TRANS32_DEP_1) | instid1(VALU_DEP_1)
	v_fma_f32 v10, v1, v5, 1.0
	s_delay_alu instid0(VALU_DEP_1) | instskip(NEXT) | instid1(VALU_DEP_1)
	v_fmac_f32_e32 v5, v10, v5
	v_mul_f32_e32 v10, v11, v5
	s_delay_alu instid0(VALU_DEP_1) | instskip(NEXT) | instid1(VALU_DEP_1)
	v_fma_f32 v32, v1, v10, v11
	v_fmac_f32_e32 v10, v32, v5
	s_delay_alu instid0(VALU_DEP_1) | instskip(SKIP_1) | instid1(VALU_DEP_1)
	v_fmac_f32_e32 v11, v1, v10
	s_wait_alu 0xfffd
	v_div_fmas_f32 v1, v11, v5, v10
	v_fma_f32 v5, v0, v7, v6
	s_delay_alu instid0(VALU_DEP_2) | instskip(SKIP_1) | instid1(VALU_DEP_2)
	v_div_fixup_f32 v1, v1, v4, 1.0
	v_fma_f32 v4, -v0, v6, v7
	v_mul_f32_e32 v0, v5, v1
	s_delay_alu instid0(VALU_DEP_2)
	v_mul_f32_e32 v1, v4, v1
.LBB137_31:                             ;   in Loop: Header=BB137_3 Depth=1
	ds_load_2addr_b64 v[32:35], v13 offset0:3 offset1:7
	ds_load_2addr_b64 v[4:7], v13 offset0:11 offset1:15
	s_mov_b32 s14, -1
	ds_store_b64 v19, v[0:1] offset:64
	s_wait_dscnt 0x2
	v_mul_f32_e32 v10, v17, v33
	v_mul_f32_e32 v11, v16, v33
	;; [unrolled: 1-line block ×4, first 2 shown]
	s_delay_alu instid0(VALU_DEP_4)
	v_fma_f32 v10, v16, v32, -v10
	s_wait_dscnt 0x1
	v_dual_fmac_f32 v11, v17, v32 :: v_dual_and_b32 v16, 0x7fffffff, v6
	v_mul_f32_e32 v36, v1, v5
	v_fmac_f32_e32 v35, v9, v34
	v_sub_f32_e32 v2, v2, v10
	v_fma_f32 v8, v8, v34, -v33
	v_mul_f32_e32 v5, v0, v5
	v_sub_f32_e32 v3, v3, v11
	v_and_b32_e32 v9, 0x7fffffff, v7
	v_fma_f32 v10, v0, v4, -v36
	v_sub_f32_e32 v2, v2, v8
	v_fmac_f32_e32 v5, v1, v4
	v_sub_f32_e32 v3, v3, v35
	v_cmp_ngt_f32_e32 vcc_lo, v16, v9
                                        ; implicit-def: $vgpr1
	s_delay_alu instid0(VALU_DEP_2)
	v_dual_sub_f32 v2, v2, v10 :: v_dual_sub_f32 v3, v3, v5
	s_cbranch_vccz .LBB137_33
; %bb.32:                               ;   in Loop: Header=BB137_3 Depth=1
	v_div_scale_f32 v0, null, v7, v7, v6
	v_div_scale_f32 v5, vcc_lo, v6, v7, v6
	s_mov_b32 s14, 0
	v_rcp_f32_e32 v1, v0
	v_xor_b32_e32 v0, 0x80000000, v0
	s_delay_alu instid0(TRANS32_DEP_1) | instid1(VALU_DEP_1)
	v_fma_f32 v4, v0, v1, 1.0
	s_delay_alu instid0(VALU_DEP_1) | instskip(NEXT) | instid1(VALU_DEP_1)
	v_fmac_f32_e32 v1, v4, v1
	v_mul_f32_e32 v4, v5, v1
	s_delay_alu instid0(VALU_DEP_1) | instskip(NEXT) | instid1(VALU_DEP_1)
	v_fma_f32 v8, v0, v4, v5
	v_fmac_f32_e32 v4, v8, v1
	s_delay_alu instid0(VALU_DEP_1) | instskip(SKIP_1) | instid1(VALU_DEP_1)
	v_fmac_f32_e32 v5, v0, v4
	s_wait_alu 0xfffd
	v_div_fmas_f32 v0, v5, v1, v4
	s_delay_alu instid0(VALU_DEP_1) | instskip(NEXT) | instid1(VALU_DEP_1)
	v_div_fixup_f32 v0, v0, v7, v6
	v_fma_f32 v1, v6, v0, v7
	s_delay_alu instid0(VALU_DEP_1) | instskip(SKIP_1) | instid1(VALU_DEP_2)
	v_div_scale_f32 v4, null, v1, v1, 1.0
	v_div_scale_f32 v9, vcc_lo, 1.0, v1, 1.0
	v_rcp_f32_e32 v5, v4
	v_xor_b32_e32 v4, 0x80000000, v4
	s_delay_alu instid0(TRANS32_DEP_1) | instid1(VALU_DEP_1)
	v_fma_f32 v8, v4, v5, 1.0
	s_delay_alu instid0(VALU_DEP_1) | instskip(NEXT) | instid1(VALU_DEP_1)
	v_fmac_f32_e32 v5, v8, v5
	v_mul_f32_e32 v8, v9, v5
	s_delay_alu instid0(VALU_DEP_1) | instskip(NEXT) | instid1(VALU_DEP_1)
	v_fma_f32 v10, v4, v8, v9
	v_fmac_f32_e32 v8, v10, v5
	s_delay_alu instid0(VALU_DEP_1) | instskip(SKIP_1) | instid1(VALU_DEP_1)
	v_fmac_f32_e32 v9, v4, v8
	s_wait_alu 0xfffd
	v_div_fmas_f32 v4, v9, v5, v8
	v_fma_f32 v5, v0, v2, v3
	s_delay_alu instid0(VALU_DEP_2) | instskip(SKIP_1) | instid1(VALU_DEP_2)
	v_div_fixup_f32 v1, v4, v1, 1.0
	v_fma_f32 v4, v0, v3, -v2
	v_mul_f32_e32 v0, v5, v1
	s_delay_alu instid0(VALU_DEP_2)
	v_mul_f32_e32 v1, v4, v1
.LBB137_33:                             ;   in Loop: Header=BB137_3 Depth=1
	s_wait_alu 0xfffe
	s_and_not1_b32 vcc_lo, exec_lo, s14
	s_wait_alu 0xfffe
	s_cbranch_vccnz .LBB137_35
; %bb.34:                               ;   in Loop: Header=BB137_3 Depth=1
	v_div_scale_f32 v0, null, v6, v6, v7
	v_div_scale_f32 v5, vcc_lo, v7, v6, v7
	s_delay_alu instid0(VALU_DEP_2)
	v_rcp_f32_e32 v1, v0
	v_xor_b32_e32 v0, 0x80000000, v0
	s_delay_alu instid0(TRANS32_DEP_1) | instid1(VALU_DEP_1)
	v_fma_f32 v4, v0, v1, 1.0
	s_delay_alu instid0(VALU_DEP_1) | instskip(NEXT) | instid1(VALU_DEP_1)
	v_fmac_f32_e32 v1, v4, v1
	v_mul_f32_e32 v4, v5, v1
	s_delay_alu instid0(VALU_DEP_1) | instskip(NEXT) | instid1(VALU_DEP_1)
	v_fma_f32 v8, v0, v4, v5
	v_fmac_f32_e32 v4, v8, v1
	s_delay_alu instid0(VALU_DEP_1) | instskip(SKIP_1) | instid1(VALU_DEP_1)
	v_fmac_f32_e32 v5, v0, v4
	s_wait_alu 0xfffd
	v_div_fmas_f32 v0, v5, v1, v4
	s_delay_alu instid0(VALU_DEP_1) | instskip(NEXT) | instid1(VALU_DEP_1)
	v_div_fixup_f32 v0, v0, v6, v7
	v_fmac_f32_e32 v6, v7, v0
	s_delay_alu instid0(VALU_DEP_1) | instskip(SKIP_1) | instid1(VALU_DEP_2)
	v_div_scale_f32 v1, null, v6, v6, 1.0
	v_div_scale_f32 v7, vcc_lo, 1.0, v6, 1.0
	v_rcp_f32_e32 v4, v1
	v_xor_b32_e32 v1, 0x80000000, v1
	s_delay_alu instid0(TRANS32_DEP_1) | instid1(VALU_DEP_1)
	v_fma_f32 v5, v1, v4, 1.0
	s_delay_alu instid0(VALU_DEP_1) | instskip(NEXT) | instid1(VALU_DEP_1)
	v_fmac_f32_e32 v4, v5, v4
	v_mul_f32_e32 v5, v7, v4
	s_delay_alu instid0(VALU_DEP_1) | instskip(NEXT) | instid1(VALU_DEP_1)
	v_fma_f32 v8, v1, v5, v7
	v_fmac_f32_e32 v5, v8, v4
	s_delay_alu instid0(VALU_DEP_1) | instskip(SKIP_1) | instid1(VALU_DEP_1)
	v_fmac_f32_e32 v7, v1, v5
	s_wait_alu 0xfffd
	v_div_fmas_f32 v1, v7, v4, v5
	v_fma_f32 v4, v0, v3, v2
	v_fma_f32 v2, -v0, v2, v3
	s_delay_alu instid0(VALU_DEP_3) | instskip(NEXT) | instid1(VALU_DEP_1)
	v_div_fixup_f32 v1, v1, v6, 1.0
	v_mul_f32_e32 v0, v4, v1
	s_delay_alu instid0(VALU_DEP_3)
	v_mul_f32_e32 v1, v2, v1
.LBB137_35:                             ;   in Loop: Header=BB137_3 Depth=1
	s_mov_b32 s14, 4
	ds_store_b64 v19, v[0:1] offset:96
.LBB137_36:                             ;   in Loop: Header=BB137_3 Depth=1
	s_wait_alu 0xfffe
	s_cmp_ge_i32 s14, s26
	s_cbranch_scc1 .LBB137_45
; %bb.37:                               ;   in Loop: Header=BB137_3 Depth=1
	s_lshl_b32 s15, s14, 3
	s_branch .LBB137_39
.LBB137_38:                             ;   in Loop: Header=BB137_39 Depth=2
	s_add_co_i32 s14, s14, 1
	s_add_co_i32 s15, s15, 8
	s_wait_alu 0xfffe
	s_cmp_ge_i32 s14, s26
	ds_store_b64 v6, v[4:5]
	s_cbranch_scc1 .LBB137_45
.LBB137_39:                             ;   Parent Loop BB137_3 Depth=1
                                        ; =>  This Loop Header: Depth=2
                                        ;       Child Loop BB137_40 Depth 3
	s_lshl_b32 s25, s14, 5
	v_mov_b32_e32 v2, v19
	s_wait_alu 0xfffe
	v_add_nc_u32_e32 v6, s25, v19
	s_cmp_eq_u32 s14, 0
	s_mov_b32 s51, s15
	s_mov_b32 s52, s14
	ds_load_b64 v[0:1], v6
	s_cbranch_scc1 .LBB137_41
.LBB137_40:                             ;   Parent Loop BB137_3 Depth=1
                                        ;     Parent Loop BB137_39 Depth=2
                                        ; =>    This Inner Loop Header: Depth=3
	s_wait_alu 0xfffe
	v_mov_b32_e32 v5, s51
	s_add_co_i32 s52, s52, -1
	s_add_co_i32 s51, s51, 32
	s_wait_alu 0xfffe
	s_cmp_eq_u32 s52, 0
	ds_load_b64 v[3:4], v2
	ds_load_b64 v[7:8], v5
	s_wait_dscnt 0x0
	v_dual_mul_f32 v5, v8, v4 :: v_dual_add_nc_u32 v2, 32, v2
	v_mul_f32_e32 v4, v7, v4
	s_delay_alu instid0(VALU_DEP_2) | instskip(NEXT) | instid1(VALU_DEP_2)
	v_fma_f32 v5, v7, v3, -v5
	v_fmac_f32_e32 v4, v8, v3
	s_delay_alu instid0(VALU_DEP_1)
	v_dual_sub_f32 v0, v0, v5 :: v_dual_sub_f32 v1, v1, v4
	s_cbranch_scc0 .LBB137_40
.LBB137_41:                             ;   in Loop: Header=BB137_39 Depth=2
	s_lshl_b32 s51, s14, 3
	s_wait_alu 0xfffe
	s_add_co_i32 s25, s51, s25
	s_wait_alu 0xfffe
	v_mov_b32_e32 v2, s25
	s_mov_b32 s25, -1
	ds_load_b64 v[2:3], v2
	s_wait_dscnt 0x0
	v_and_b32_e32 v4, 0x7fffffff, v2
	v_and_b32_e32 v5, 0x7fffffff, v3
	s_delay_alu instid0(VALU_DEP_1)
	v_cmp_ngt_f32_e32 vcc_lo, v4, v5
                                        ; implicit-def: $vgpr4
	s_cbranch_vccz .LBB137_43
; %bb.42:                               ;   in Loop: Header=BB137_39 Depth=2
	v_div_scale_f32 v4, null, v3, v3, v2
	v_div_scale_f32 v8, vcc_lo, v2, v3, v2
	s_mov_b32 s25, 0
	v_rcp_f32_e32 v5, v4
	v_xor_b32_e32 v4, 0x80000000, v4
	s_delay_alu instid0(TRANS32_DEP_1) | instid1(VALU_DEP_1)
	v_fma_f32 v7, v4, v5, 1.0
	s_delay_alu instid0(VALU_DEP_1) | instskip(NEXT) | instid1(VALU_DEP_1)
	v_fmac_f32_e32 v5, v7, v5
	v_mul_f32_e32 v7, v8, v5
	s_delay_alu instid0(VALU_DEP_1) | instskip(NEXT) | instid1(VALU_DEP_1)
	v_fma_f32 v9, v4, v7, v8
	v_fmac_f32_e32 v7, v9, v5
	s_delay_alu instid0(VALU_DEP_1) | instskip(SKIP_1) | instid1(VALU_DEP_1)
	v_fmac_f32_e32 v8, v4, v7
	s_wait_alu 0xfffd
	v_div_fmas_f32 v4, v8, v5, v7
	s_delay_alu instid0(VALU_DEP_1) | instskip(NEXT) | instid1(VALU_DEP_1)
	v_div_fixup_f32 v4, v4, v3, v2
	v_fma_f32 v5, v2, v4, v3
	s_delay_alu instid0(VALU_DEP_1) | instskip(SKIP_1) | instid1(VALU_DEP_2)
	v_div_scale_f32 v7, null, v5, v5, 1.0
	v_div_scale_f32 v10, vcc_lo, 1.0, v5, 1.0
	v_rcp_f32_e32 v8, v7
	v_xor_b32_e32 v7, 0x80000000, v7
	s_delay_alu instid0(TRANS32_DEP_1) | instid1(VALU_DEP_1)
	v_fma_f32 v9, v7, v8, 1.0
	s_delay_alu instid0(VALU_DEP_1) | instskip(NEXT) | instid1(VALU_DEP_1)
	v_fmac_f32_e32 v8, v9, v8
	v_mul_f32_e32 v9, v10, v8
	s_delay_alu instid0(VALU_DEP_1) | instskip(NEXT) | instid1(VALU_DEP_1)
	v_fma_f32 v11, v7, v9, v10
	v_fmac_f32_e32 v9, v11, v8
	s_delay_alu instid0(VALU_DEP_1) | instskip(SKIP_1) | instid1(VALU_DEP_1)
	v_fmac_f32_e32 v10, v7, v9
	s_wait_alu 0xfffd
	v_div_fmas_f32 v7, v10, v8, v9
	v_fma_f32 v8, v0, v4, v1
	s_delay_alu instid0(VALU_DEP_2) | instskip(SKIP_1) | instid1(VALU_DEP_2)
	v_div_fixup_f32 v5, v7, v5, 1.0
	v_fma_f32 v7, v1, v4, -v0
	v_mul_f32_e32 v4, v8, v5
	s_delay_alu instid0(VALU_DEP_2)
	v_mul_f32_e32 v5, v7, v5
.LBB137_43:                             ;   in Loop: Header=BB137_39 Depth=2
	s_wait_alu 0xfffe
	s_and_not1_b32 vcc_lo, exec_lo, s25
	s_wait_alu 0xfffe
	s_cbranch_vccnz .LBB137_38
; %bb.44:                               ;   in Loop: Header=BB137_39 Depth=2
	v_div_scale_f32 v4, null, v2, v2, v3
	v_div_scale_f32 v8, vcc_lo, v3, v2, v3
	s_delay_alu instid0(VALU_DEP_2)
	v_rcp_f32_e32 v5, v4
	v_xor_b32_e32 v4, 0x80000000, v4
	s_delay_alu instid0(TRANS32_DEP_1) | instid1(VALU_DEP_1)
	v_fma_f32 v7, v4, v5, 1.0
	s_delay_alu instid0(VALU_DEP_1) | instskip(NEXT) | instid1(VALU_DEP_1)
	v_fmac_f32_e32 v5, v7, v5
	v_mul_f32_e32 v7, v8, v5
	s_delay_alu instid0(VALU_DEP_1) | instskip(NEXT) | instid1(VALU_DEP_1)
	v_fma_f32 v9, v4, v7, v8
	v_fmac_f32_e32 v7, v9, v5
	s_delay_alu instid0(VALU_DEP_1) | instskip(SKIP_1) | instid1(VALU_DEP_1)
	v_fmac_f32_e32 v8, v4, v7
	s_wait_alu 0xfffd
	v_div_fmas_f32 v4, v8, v5, v7
	s_delay_alu instid0(VALU_DEP_1) | instskip(NEXT) | instid1(VALU_DEP_1)
	v_div_fixup_f32 v4, v4, v2, v3
	v_fmac_f32_e32 v2, v3, v4
	s_delay_alu instid0(VALU_DEP_1) | instskip(SKIP_1) | instid1(VALU_DEP_2)
	v_div_scale_f32 v3, null, v2, v2, 1.0
	v_div_scale_f32 v8, vcc_lo, 1.0, v2, 1.0
	v_rcp_f32_e32 v5, v3
	v_xor_b32_e32 v3, 0x80000000, v3
	s_delay_alu instid0(TRANS32_DEP_1) | instid1(VALU_DEP_1)
	v_fma_f32 v7, v3, v5, 1.0
	s_delay_alu instid0(VALU_DEP_1) | instskip(NEXT) | instid1(VALU_DEP_1)
	v_fmac_f32_e32 v5, v7, v5
	v_mul_f32_e32 v7, v8, v5
	s_delay_alu instid0(VALU_DEP_1) | instskip(NEXT) | instid1(VALU_DEP_1)
	v_fma_f32 v9, v3, v7, v8
	v_fmac_f32_e32 v7, v9, v5
	s_delay_alu instid0(VALU_DEP_1) | instskip(SKIP_1) | instid1(VALU_DEP_1)
	v_fmac_f32_e32 v8, v3, v7
	s_wait_alu 0xfffd
	v_div_fmas_f32 v3, v8, v5, v7
	v_fma_f32 v5, v1, v4, v0
	v_fma_f32 v0, -v0, v4, v1
	s_delay_alu instid0(VALU_DEP_3) | instskip(NEXT) | instid1(VALU_DEP_1)
	v_div_fixup_f32 v2, v3, v2, 1.0
	v_mul_f32_e32 v4, v5, v2
	s_delay_alu instid0(VALU_DEP_3)
	v_mul_f32_e32 v5, v0, v2
	s_branch .LBB137_38
.LBB137_45:                             ;   in Loop: Header=BB137_3 Depth=1
	s_mov_b32 s14, 0
.LBB137_46:                             ;   in Loop: Header=BB137_3 Depth=1
	s_wait_alu 0xfffe
	s_and_b32 vcc_lo, exec_lo, s14
	s_wait_alu 0xfffe
	s_cbranch_vccz .LBB137_74
; %bb.47:                               ;   in Loop: Header=BB137_3 Depth=1
	s_and_b32 vcc_lo, exec_lo, s31
	s_mov_b32 s14, s27
	s_wait_alu 0xfffe
	s_cbranch_vccz .LBB137_65
; %bb.48:                               ;   in Loop: Header=BB137_3 Depth=1
	v_mov_b32_e32 v0, s36
	s_mov_b32 s14, -1
	ds_load_b64 v[10:11], v0
	ds_load_b64 v[8:9], v21
	;; [unrolled: 1-line block ×5, first 2 shown]
	s_wait_dscnt 0x4
	v_and_b32_e32 v2, 0x7fffffff, v10
	v_and_b32_e32 v3, 0x7fffffff, v11
	s_delay_alu instid0(VALU_DEP_1)
	v_cmp_ngt_f32_e32 vcc_lo, v2, v3
                                        ; implicit-def: $vgpr3
	s_cbranch_vccz .LBB137_50
; %bb.49:                               ;   in Loop: Header=BB137_3 Depth=1
	v_div_scale_f32 v2, null, v11, v11, v10
	v_div_scale_f32 v17, vcc_lo, v10, v11, v10
	s_mov_b32 s14, 0
	v_rcp_f32_e32 v3, v2
	v_xor_b32_e32 v2, 0x80000000, v2
	s_delay_alu instid0(TRANS32_DEP_1) | instid1(VALU_DEP_1)
	v_fma_f32 v16, v2, v3, 1.0
	s_delay_alu instid0(VALU_DEP_1) | instskip(NEXT) | instid1(VALU_DEP_1)
	v_fmac_f32_e32 v3, v16, v3
	v_mul_f32_e32 v16, v17, v3
	s_delay_alu instid0(VALU_DEP_1) | instskip(NEXT) | instid1(VALU_DEP_1)
	v_fma_f32 v32, v2, v16, v17
	v_fmac_f32_e32 v16, v32, v3
	s_delay_alu instid0(VALU_DEP_1) | instskip(SKIP_1) | instid1(VALU_DEP_1)
	v_fmac_f32_e32 v17, v2, v16
	s_wait_alu 0xfffd
	v_div_fmas_f32 v2, v17, v3, v16
	s_delay_alu instid0(VALU_DEP_1) | instskip(NEXT) | instid1(VALU_DEP_1)
	v_div_fixup_f32 v2, v2, v11, v10
	v_fma_f32 v3, v10, v2, v11
	s_delay_alu instid0(VALU_DEP_1) | instskip(SKIP_1) | instid1(VALU_DEP_2)
	v_div_scale_f32 v16, null, v3, v3, 1.0
	v_div_scale_f32 v33, vcc_lo, 1.0, v3, 1.0
	v_rcp_f32_e32 v17, v16
	v_xor_b32_e32 v16, 0x80000000, v16
	s_delay_alu instid0(TRANS32_DEP_1) | instid1(VALU_DEP_1)
	v_fma_f32 v32, v16, v17, 1.0
	s_delay_alu instid0(VALU_DEP_1) | instskip(NEXT) | instid1(VALU_DEP_1)
	v_fmac_f32_e32 v17, v32, v17
	v_mul_f32_e32 v32, v33, v17
	s_delay_alu instid0(VALU_DEP_1) | instskip(NEXT) | instid1(VALU_DEP_1)
	v_fma_f32 v34, v16, v32, v33
	v_fmac_f32_e32 v32, v34, v17
	s_delay_alu instid0(VALU_DEP_1) | instskip(SKIP_1) | instid1(VALU_DEP_1)
	v_fmac_f32_e32 v33, v16, v32
	s_wait_alu 0xfffd
	v_div_fmas_f32 v16, v33, v17, v32
	s_wait_dscnt 0x3
	v_fma_f32 v17, v8, v2, v9
	s_delay_alu instid0(VALU_DEP_2) | instskip(SKIP_1) | instid1(VALU_DEP_2)
	v_div_fixup_f32 v3, v16, v3, 1.0
	v_fma_f32 v16, v9, v2, -v8
	v_mul_f32_e32 v2, v17, v3
	s_delay_alu instid0(VALU_DEP_2)
	v_mul_f32_e32 v3, v16, v3
.LBB137_50:                             ;   in Loop: Header=BB137_3 Depth=1
	s_wait_alu 0xfffe
	s_and_not1_b32 vcc_lo, exec_lo, s14
	s_wait_alu 0xfffe
	s_cbranch_vccnz .LBB137_52
; %bb.51:                               ;   in Loop: Header=BB137_3 Depth=1
	v_div_scale_f32 v2, null, v10, v10, v11
	v_div_scale_f32 v17, vcc_lo, v11, v10, v11
	s_delay_alu instid0(VALU_DEP_2)
	v_rcp_f32_e32 v3, v2
	v_xor_b32_e32 v2, 0x80000000, v2
	s_delay_alu instid0(TRANS32_DEP_1) | instid1(VALU_DEP_1)
	v_fma_f32 v16, v2, v3, 1.0
	s_delay_alu instid0(VALU_DEP_1) | instskip(NEXT) | instid1(VALU_DEP_1)
	v_fmac_f32_e32 v3, v16, v3
	v_mul_f32_e32 v16, v17, v3
	s_delay_alu instid0(VALU_DEP_1) | instskip(NEXT) | instid1(VALU_DEP_1)
	v_fma_f32 v32, v2, v16, v17
	v_fmac_f32_e32 v16, v32, v3
	s_delay_alu instid0(VALU_DEP_1) | instskip(SKIP_1) | instid1(VALU_DEP_1)
	v_fmac_f32_e32 v17, v2, v16
	s_wait_alu 0xfffd
	v_div_fmas_f32 v2, v17, v3, v16
	s_delay_alu instid0(VALU_DEP_1) | instskip(NEXT) | instid1(VALU_DEP_1)
	v_div_fixup_f32 v2, v2, v10, v11
	v_fmac_f32_e32 v10, v11, v2
	s_delay_alu instid0(VALU_DEP_1) | instskip(SKIP_1) | instid1(VALU_DEP_2)
	v_div_scale_f32 v3, null, v10, v10, 1.0
	v_div_scale_f32 v17, vcc_lo, 1.0, v10, 1.0
	v_rcp_f32_e32 v11, v3
	v_xor_b32_e32 v3, 0x80000000, v3
	s_delay_alu instid0(TRANS32_DEP_1) | instid1(VALU_DEP_1)
	v_fma_f32 v16, v3, v11, 1.0
	s_delay_alu instid0(VALU_DEP_1) | instskip(NEXT) | instid1(VALU_DEP_1)
	v_fmac_f32_e32 v11, v16, v11
	v_mul_f32_e32 v16, v17, v11
	s_delay_alu instid0(VALU_DEP_1) | instskip(NEXT) | instid1(VALU_DEP_1)
	v_fma_f32 v32, v3, v16, v17
	v_fmac_f32_e32 v16, v32, v11
	s_delay_alu instid0(VALU_DEP_1) | instskip(SKIP_1) | instid1(VALU_DEP_1)
	v_fmac_f32_e32 v17, v3, v16
	s_wait_alu 0xfffd
	v_div_fmas_f32 v3, v17, v11, v16
	s_wait_dscnt 0x3
	v_fma_f32 v11, v9, v2, v8
	v_fma_f32 v8, -v8, v2, v9
	s_delay_alu instid0(VALU_DEP_3) | instskip(NEXT) | instid1(VALU_DEP_1)
	v_div_fixup_f32 v3, v3, v10, 1.0
	v_mul_f32_e32 v2, v11, v3
	s_delay_alu instid0(VALU_DEP_3)
	v_mul_f32_e32 v3, v8, v3
.LBB137_52:                             ;   in Loop: Header=BB137_3 Depth=1
	s_wait_dscnt 0x3
	v_dual_mov_b32 v8, s38 :: v_dual_mov_b32 v9, s40
	s_mov_b32 s14, -1
	ds_load_b64 v[10:11], v8
	ds_load_b64 v[8:9], v9
	ds_store_b64 v21, v[2:3]
	s_wait_dscnt 0x1
	v_dual_mul_f32 v16, v3, v11 :: v_dual_and_b32 v17, 0x7fffffff, v8
	v_dual_mul_f32 v11, v2, v11 :: v_dual_and_b32 v32, 0x7fffffff, v9
	s_delay_alu instid0(VALU_DEP_2) | instskip(NEXT) | instid1(VALU_DEP_2)
	v_fma_f32 v16, v2, v10, -v16
	v_fmac_f32_e32 v11, v3, v10
	s_delay_alu instid0(VALU_DEP_3) | instskip(NEXT) | instid1(VALU_DEP_2)
	v_cmp_ngt_f32_e32 vcc_lo, v17, v32
	v_dual_sub_f32 v10, v6, v16 :: v_dual_sub_f32 v11, v7, v11
                                        ; implicit-def: $vgpr7
	s_cbranch_vccz .LBB137_54
; %bb.53:                               ;   in Loop: Header=BB137_3 Depth=1
	v_div_scale_f32 v6, null, v9, v9, v8
	v_div_scale_f32 v17, vcc_lo, v8, v9, v8
	s_mov_b32 s14, 0
	v_rcp_f32_e32 v7, v6
	v_xor_b32_e32 v6, 0x80000000, v6
	s_delay_alu instid0(TRANS32_DEP_1) | instid1(VALU_DEP_1)
	v_fma_f32 v16, v6, v7, 1.0
	s_delay_alu instid0(VALU_DEP_1) | instskip(NEXT) | instid1(VALU_DEP_1)
	v_fmac_f32_e32 v7, v16, v7
	v_mul_f32_e32 v16, v17, v7
	s_delay_alu instid0(VALU_DEP_1) | instskip(NEXT) | instid1(VALU_DEP_1)
	v_fma_f32 v32, v6, v16, v17
	v_fmac_f32_e32 v16, v32, v7
	s_delay_alu instid0(VALU_DEP_1) | instskip(SKIP_1) | instid1(VALU_DEP_1)
	v_fmac_f32_e32 v17, v6, v16
	s_wait_alu 0xfffd
	v_div_fmas_f32 v6, v17, v7, v16
	s_delay_alu instid0(VALU_DEP_1) | instskip(NEXT) | instid1(VALU_DEP_1)
	v_div_fixup_f32 v6, v6, v9, v8
	v_fma_f32 v7, v8, v6, v9
	s_delay_alu instid0(VALU_DEP_1) | instskip(SKIP_1) | instid1(VALU_DEP_2)
	v_div_scale_f32 v16, null, v7, v7, 1.0
	v_div_scale_f32 v33, vcc_lo, 1.0, v7, 1.0
	v_rcp_f32_e32 v17, v16
	v_xor_b32_e32 v16, 0x80000000, v16
	s_delay_alu instid0(TRANS32_DEP_1) | instid1(VALU_DEP_1)
	v_fma_f32 v32, v16, v17, 1.0
	s_delay_alu instid0(VALU_DEP_1) | instskip(NEXT) | instid1(VALU_DEP_1)
	v_fmac_f32_e32 v17, v32, v17
	v_mul_f32_e32 v32, v33, v17
	s_delay_alu instid0(VALU_DEP_1) | instskip(NEXT) | instid1(VALU_DEP_1)
	v_fma_f32 v34, v16, v32, v33
	v_fmac_f32_e32 v32, v34, v17
	s_delay_alu instid0(VALU_DEP_1) | instskip(SKIP_1) | instid1(VALU_DEP_1)
	v_fmac_f32_e32 v33, v16, v32
	s_wait_alu 0xfffd
	v_div_fmas_f32 v16, v33, v17, v32
	v_fma_f32 v17, v6, v10, v11
	s_delay_alu instid0(VALU_DEP_2) | instskip(SKIP_1) | instid1(VALU_DEP_2)
	v_div_fixup_f32 v7, v16, v7, 1.0
	v_fma_f32 v16, v6, v11, -v10
	v_mul_f32_e32 v6, v17, v7
	s_delay_alu instid0(VALU_DEP_2)
	v_mul_f32_e32 v7, v16, v7
.LBB137_54:                             ;   in Loop: Header=BB137_3 Depth=1
	s_wait_alu 0xfffe
	s_and_not1_b32 vcc_lo, exec_lo, s14
	s_wait_alu 0xfffe
	s_cbranch_vccnz .LBB137_56
; %bb.55:                               ;   in Loop: Header=BB137_3 Depth=1
	v_div_scale_f32 v6, null, v8, v8, v9
	v_div_scale_f32 v17, vcc_lo, v9, v8, v9
	s_delay_alu instid0(VALU_DEP_2)
	v_rcp_f32_e32 v7, v6
	v_xor_b32_e32 v6, 0x80000000, v6
	s_delay_alu instid0(TRANS32_DEP_1) | instid1(VALU_DEP_1)
	v_fma_f32 v16, v6, v7, 1.0
	s_delay_alu instid0(VALU_DEP_1) | instskip(NEXT) | instid1(VALU_DEP_1)
	v_fmac_f32_e32 v7, v16, v7
	v_mul_f32_e32 v16, v17, v7
	s_delay_alu instid0(VALU_DEP_1) | instskip(NEXT) | instid1(VALU_DEP_1)
	v_fma_f32 v32, v6, v16, v17
	v_fmac_f32_e32 v16, v32, v7
	s_delay_alu instid0(VALU_DEP_1) | instskip(SKIP_1) | instid1(VALU_DEP_1)
	v_fmac_f32_e32 v17, v6, v16
	s_wait_alu 0xfffd
	v_div_fmas_f32 v6, v17, v7, v16
	s_delay_alu instid0(VALU_DEP_1) | instskip(NEXT) | instid1(VALU_DEP_1)
	v_div_fixup_f32 v6, v6, v8, v9
	v_fmac_f32_e32 v8, v9, v6
	s_delay_alu instid0(VALU_DEP_1) | instskip(SKIP_1) | instid1(VALU_DEP_2)
	v_div_scale_f32 v7, null, v8, v8, 1.0
	v_div_scale_f32 v17, vcc_lo, 1.0, v8, 1.0
	v_rcp_f32_e32 v9, v7
	v_xor_b32_e32 v7, 0x80000000, v7
	s_delay_alu instid0(TRANS32_DEP_1) | instid1(VALU_DEP_1)
	v_fma_f32 v16, v7, v9, 1.0
	s_delay_alu instid0(VALU_DEP_1) | instskip(NEXT) | instid1(VALU_DEP_1)
	v_fmac_f32_e32 v9, v16, v9
	v_mul_f32_e32 v16, v17, v9
	s_delay_alu instid0(VALU_DEP_1) | instskip(NEXT) | instid1(VALU_DEP_1)
	v_fma_f32 v32, v7, v16, v17
	v_fmac_f32_e32 v16, v32, v9
	s_delay_alu instid0(VALU_DEP_1) | instskip(SKIP_1) | instid1(VALU_DEP_1)
	v_fmac_f32_e32 v17, v7, v16
	s_wait_alu 0xfffd
	v_div_fmas_f32 v7, v17, v9, v16
	v_fma_f32 v9, v6, v11, v10
	s_delay_alu instid0(VALU_DEP_2) | instskip(SKIP_1) | instid1(VALU_DEP_2)
	v_div_fixup_f32 v7, v7, v8, 1.0
	v_fma_f32 v8, -v6, v10, v11
	v_mul_f32_e32 v6, v9, v7
	s_delay_alu instid0(VALU_DEP_2)
	v_mul_f32_e32 v7, v8, v7
.LBB137_56:                             ;   in Loop: Header=BB137_3 Depth=1
	v_dual_mov_b32 v8, s41 :: v_dual_mov_b32 v9, s42
	v_mov_b32_e32 v32, s44
	s_mov_b32 s14, -1
	ds_load_b64 v[10:11], v8
	ds_load_b64 v[16:17], v9
	;; [unrolled: 1-line block ×3, first 2 shown]
	ds_store_b64 v22, v[6:7]
	s_wait_dscnt 0x3
	v_mul_f32_e32 v32, v3, v11
	v_mul_f32_e32 v11, v2, v11
	s_wait_dscnt 0x1
	v_dual_mul_f32 v33, v7, v17 :: v_dual_and_b32 v34, 0x7fffffff, v8
	v_mul_f32_e32 v17, v6, v17
	v_fma_f32 v32, v2, v10, -v32
	v_dual_fmac_f32 v11, v3, v10 :: v_dual_and_b32 v10, 0x7fffffff, v9
	s_delay_alu instid0(VALU_DEP_4) | instskip(NEXT) | instid1(VALU_DEP_2)
	v_fma_f32 v33, v6, v16, -v33
	v_dual_sub_f32 v4, v4, v32 :: v_dual_sub_f32 v5, v5, v11
	v_fmac_f32_e32 v17, v7, v16
	s_delay_alu instid0(VALU_DEP_4) | instskip(NEXT) | instid1(VALU_DEP_3)
	v_cmp_ngt_f32_e32 vcc_lo, v34, v10
                                        ; implicit-def: $vgpr11
	v_sub_f32_e32 v4, v4, v33
	s_delay_alu instid0(VALU_DEP_3)
	v_sub_f32_e32 v5, v5, v17
	s_cbranch_vccz .LBB137_58
; %bb.57:                               ;   in Loop: Header=BB137_3 Depth=1
	v_div_scale_f32 v10, null, v9, v9, v8
	v_div_scale_f32 v17, vcc_lo, v8, v9, v8
	s_mov_b32 s14, 0
	v_rcp_f32_e32 v11, v10
	v_xor_b32_e32 v10, 0x80000000, v10
	s_delay_alu instid0(TRANS32_DEP_1) | instid1(VALU_DEP_1)
	v_fma_f32 v16, v10, v11, 1.0
	s_delay_alu instid0(VALU_DEP_1) | instskip(NEXT) | instid1(VALU_DEP_1)
	v_fmac_f32_e32 v11, v16, v11
	v_mul_f32_e32 v16, v17, v11
	s_delay_alu instid0(VALU_DEP_1) | instskip(NEXT) | instid1(VALU_DEP_1)
	v_fma_f32 v32, v10, v16, v17
	v_fmac_f32_e32 v16, v32, v11
	s_delay_alu instid0(VALU_DEP_1) | instskip(SKIP_1) | instid1(VALU_DEP_1)
	v_fmac_f32_e32 v17, v10, v16
	s_wait_alu 0xfffd
	v_div_fmas_f32 v10, v17, v11, v16
	s_delay_alu instid0(VALU_DEP_1) | instskip(NEXT) | instid1(VALU_DEP_1)
	v_div_fixup_f32 v10, v10, v9, v8
	v_fma_f32 v11, v8, v10, v9
	s_delay_alu instid0(VALU_DEP_1) | instskip(SKIP_1) | instid1(VALU_DEP_2)
	v_div_scale_f32 v16, null, v11, v11, 1.0
	v_div_scale_f32 v33, vcc_lo, 1.0, v11, 1.0
	v_rcp_f32_e32 v17, v16
	v_xor_b32_e32 v16, 0x80000000, v16
	s_delay_alu instid0(TRANS32_DEP_1) | instid1(VALU_DEP_1)
	v_fma_f32 v32, v16, v17, 1.0
	s_delay_alu instid0(VALU_DEP_1) | instskip(NEXT) | instid1(VALU_DEP_1)
	v_fmac_f32_e32 v17, v32, v17
	v_mul_f32_e32 v32, v33, v17
	s_delay_alu instid0(VALU_DEP_1) | instskip(NEXT) | instid1(VALU_DEP_1)
	v_fma_f32 v34, v16, v32, v33
	v_fmac_f32_e32 v32, v34, v17
	s_delay_alu instid0(VALU_DEP_1) | instskip(SKIP_1) | instid1(VALU_DEP_1)
	v_fmac_f32_e32 v33, v16, v32
	s_wait_alu 0xfffd
	v_div_fmas_f32 v16, v33, v17, v32
	v_fma_f32 v17, v10, v4, v5
	s_delay_alu instid0(VALU_DEP_2) | instskip(SKIP_1) | instid1(VALU_DEP_2)
	v_div_fixup_f32 v11, v16, v11, 1.0
	v_fma_f32 v16, v10, v5, -v4
	v_mul_f32_e32 v10, v17, v11
	s_delay_alu instid0(VALU_DEP_2)
	v_mul_f32_e32 v11, v16, v11
.LBB137_58:                             ;   in Loop: Header=BB137_3 Depth=1
	s_wait_alu 0xfffe
	s_and_not1_b32 vcc_lo, exec_lo, s14
	s_wait_alu 0xfffe
	s_cbranch_vccnz .LBB137_60
; %bb.59:                               ;   in Loop: Header=BB137_3 Depth=1
	v_div_scale_f32 v10, null, v8, v8, v9
	v_div_scale_f32 v17, vcc_lo, v9, v8, v9
	s_delay_alu instid0(VALU_DEP_2)
	v_rcp_f32_e32 v11, v10
	v_xor_b32_e32 v10, 0x80000000, v10
	s_delay_alu instid0(TRANS32_DEP_1) | instid1(VALU_DEP_1)
	v_fma_f32 v16, v10, v11, 1.0
	s_delay_alu instid0(VALU_DEP_1) | instskip(NEXT) | instid1(VALU_DEP_1)
	v_fmac_f32_e32 v11, v16, v11
	v_mul_f32_e32 v16, v17, v11
	s_delay_alu instid0(VALU_DEP_1) | instskip(NEXT) | instid1(VALU_DEP_1)
	v_fma_f32 v32, v10, v16, v17
	v_fmac_f32_e32 v16, v32, v11
	s_delay_alu instid0(VALU_DEP_1) | instskip(SKIP_1) | instid1(VALU_DEP_1)
	v_fmac_f32_e32 v17, v10, v16
	s_wait_alu 0xfffd
	v_div_fmas_f32 v10, v17, v11, v16
	s_delay_alu instid0(VALU_DEP_1) | instskip(NEXT) | instid1(VALU_DEP_1)
	v_div_fixup_f32 v10, v10, v8, v9
	v_fmac_f32_e32 v8, v9, v10
	s_delay_alu instid0(VALU_DEP_1) | instskip(SKIP_1) | instid1(VALU_DEP_2)
	v_div_scale_f32 v9, null, v8, v8, 1.0
	v_div_scale_f32 v17, vcc_lo, 1.0, v8, 1.0
	v_rcp_f32_e32 v11, v9
	v_xor_b32_e32 v9, 0x80000000, v9
	s_delay_alu instid0(TRANS32_DEP_1) | instid1(VALU_DEP_1)
	v_fma_f32 v16, v9, v11, 1.0
	s_delay_alu instid0(VALU_DEP_1) | instskip(NEXT) | instid1(VALU_DEP_1)
	v_fmac_f32_e32 v11, v16, v11
	v_mul_f32_e32 v16, v17, v11
	s_delay_alu instid0(VALU_DEP_1) | instskip(NEXT) | instid1(VALU_DEP_1)
	v_fma_f32 v32, v9, v16, v17
	v_fmac_f32_e32 v16, v32, v11
	s_delay_alu instid0(VALU_DEP_1) | instskip(SKIP_1) | instid1(VALU_DEP_1)
	v_fmac_f32_e32 v17, v9, v16
	s_wait_alu 0xfffd
	v_div_fmas_f32 v9, v17, v11, v16
	v_fma_f32 v11, v10, v5, v4
	v_fma_f32 v4, -v10, v4, v5
	s_delay_alu instid0(VALU_DEP_3) | instskip(NEXT) | instid1(VALU_DEP_1)
	v_div_fixup_f32 v8, v9, v8, 1.0
	v_mul_f32_e32 v10, v11, v8
	s_delay_alu instid0(VALU_DEP_3)
	v_mul_f32_e32 v11, v4, v8
.LBB137_60:                             ;   in Loop: Header=BB137_3 Depth=1
	v_dual_mov_b32 v4, s43 :: v_dual_mov_b32 v5, s45
	s_mov_b32 s14, -1
	ds_load_b64 v[8:9], v4
	ds_load_b64 v[16:17], v5
	v_mov_b32_e32 v32, s46
	v_mov_b32_e32 v4, s47
	s_wait_dscnt 0x1
	v_mul_f32_e32 v34, v3, v9
	v_mul_f32_e32 v9, v2, v9
	s_wait_dscnt 0x0
	v_mul_f32_e32 v35, v7, v17
	ds_load_b64 v[32:33], v32
	ds_load_b64 v[4:5], v4
	ds_store_b64 v23, v[10:11]
	v_fmac_f32_e32 v9, v3, v8
	s_wait_dscnt 0x1
	v_dual_mul_f32 v36, v11, v33 :: v_dual_and_b32 v3, 0x7fffffff, v4
	v_fma_f32 v2, v2, v8, -v34
	v_mul_f32_e32 v17, v6, v17
	v_fma_f32 v6, v6, v16, -v35
	s_delay_alu instid0(VALU_DEP_3) | instskip(SKIP_1) | instid1(VALU_DEP_2)
	v_dual_sub_f32 v0, v0, v2 :: v_dual_mul_f32 v33, v10, v33
	v_and_b32_e32 v2, 0x7fffffff, v5
	v_dual_sub_f32 v1, v1, v9 :: v_dual_sub_f32 v0, v0, v6
	v_fmac_f32_e32 v17, v7, v16
	v_fma_f32 v7, v10, v32, -v36
	v_fmac_f32_e32 v33, v11, v32
	v_cmp_ngt_f32_e32 vcc_lo, v3, v2
	s_delay_alu instid0(VALU_DEP_3) | instskip(NEXT) | instid1(VALU_DEP_1)
	v_dual_sub_f32 v2, v0, v7 :: v_dual_sub_f32 v1, v1, v17
	v_sub_f32_e32 v3, v1, v33
                                        ; implicit-def: $vgpr1
	s_cbranch_vccz .LBB137_62
; %bb.61:                               ;   in Loop: Header=BB137_3 Depth=1
	v_div_scale_f32 v0, null, v5, v5, v4
	v_div_scale_f32 v7, vcc_lo, v4, v5, v4
	s_mov_b32 s14, 0
	v_rcp_f32_e32 v1, v0
	v_xor_b32_e32 v0, 0x80000000, v0
	s_delay_alu instid0(TRANS32_DEP_1) | instid1(VALU_DEP_1)
	v_fma_f32 v6, v0, v1, 1.0
	s_delay_alu instid0(VALU_DEP_1) | instskip(NEXT) | instid1(VALU_DEP_1)
	v_fmac_f32_e32 v1, v6, v1
	v_mul_f32_e32 v6, v7, v1
	s_delay_alu instid0(VALU_DEP_1) | instskip(NEXT) | instid1(VALU_DEP_1)
	v_fma_f32 v8, v0, v6, v7
	v_fmac_f32_e32 v6, v8, v1
	s_delay_alu instid0(VALU_DEP_1) | instskip(SKIP_1) | instid1(VALU_DEP_1)
	v_fmac_f32_e32 v7, v0, v6
	s_wait_alu 0xfffd
	v_div_fmas_f32 v0, v7, v1, v6
	s_delay_alu instid0(VALU_DEP_1) | instskip(NEXT) | instid1(VALU_DEP_1)
	v_div_fixup_f32 v0, v0, v5, v4
	v_fma_f32 v1, v4, v0, v5
	s_delay_alu instid0(VALU_DEP_1) | instskip(SKIP_1) | instid1(VALU_DEP_2)
	v_div_scale_f32 v6, null, v1, v1, 1.0
	v_div_scale_f32 v9, vcc_lo, 1.0, v1, 1.0
	v_rcp_f32_e32 v7, v6
	v_xor_b32_e32 v6, 0x80000000, v6
	s_delay_alu instid0(TRANS32_DEP_1) | instid1(VALU_DEP_1)
	v_fma_f32 v8, v6, v7, 1.0
	s_delay_alu instid0(VALU_DEP_1) | instskip(NEXT) | instid1(VALU_DEP_1)
	v_fmac_f32_e32 v7, v8, v7
	v_mul_f32_e32 v8, v9, v7
	s_delay_alu instid0(VALU_DEP_1) | instskip(NEXT) | instid1(VALU_DEP_1)
	v_fma_f32 v10, v6, v8, v9
	v_fmac_f32_e32 v8, v10, v7
	s_delay_alu instid0(VALU_DEP_1) | instskip(SKIP_1) | instid1(VALU_DEP_1)
	v_fmac_f32_e32 v9, v6, v8
	s_wait_alu 0xfffd
	v_div_fmas_f32 v6, v9, v7, v8
	v_fma_f32 v7, v0, v2, v3
	s_delay_alu instid0(VALU_DEP_2) | instskip(SKIP_1) | instid1(VALU_DEP_2)
	v_div_fixup_f32 v1, v6, v1, 1.0
	v_fma_f32 v6, v0, v3, -v2
	v_mul_f32_e32 v0, v7, v1
	s_delay_alu instid0(VALU_DEP_2)
	v_mul_f32_e32 v1, v6, v1
.LBB137_62:                             ;   in Loop: Header=BB137_3 Depth=1
	s_wait_alu 0xfffe
	s_and_not1_b32 vcc_lo, exec_lo, s14
	s_wait_alu 0xfffe
	s_cbranch_vccnz .LBB137_64
; %bb.63:                               ;   in Loop: Header=BB137_3 Depth=1
	v_div_scale_f32 v0, null, v4, v4, v5
	v_div_scale_f32 v7, vcc_lo, v5, v4, v5
	s_delay_alu instid0(VALU_DEP_2)
	v_rcp_f32_e32 v1, v0
	v_xor_b32_e32 v0, 0x80000000, v0
	s_delay_alu instid0(TRANS32_DEP_1) | instid1(VALU_DEP_1)
	v_fma_f32 v6, v0, v1, 1.0
	s_delay_alu instid0(VALU_DEP_1) | instskip(NEXT) | instid1(VALU_DEP_1)
	v_fmac_f32_e32 v1, v6, v1
	v_mul_f32_e32 v6, v7, v1
	s_delay_alu instid0(VALU_DEP_1) | instskip(NEXT) | instid1(VALU_DEP_1)
	v_fma_f32 v8, v0, v6, v7
	v_fmac_f32_e32 v6, v8, v1
	s_delay_alu instid0(VALU_DEP_1) | instskip(SKIP_1) | instid1(VALU_DEP_1)
	v_fmac_f32_e32 v7, v0, v6
	s_wait_alu 0xfffd
	v_div_fmas_f32 v0, v7, v1, v6
	s_delay_alu instid0(VALU_DEP_1) | instskip(NEXT) | instid1(VALU_DEP_1)
	v_div_fixup_f32 v0, v0, v4, v5
	v_fmac_f32_e32 v4, v5, v0
	s_delay_alu instid0(VALU_DEP_1) | instskip(SKIP_1) | instid1(VALU_DEP_2)
	v_div_scale_f32 v1, null, v4, v4, 1.0
	v_div_scale_f32 v7, vcc_lo, 1.0, v4, 1.0
	v_rcp_f32_e32 v5, v1
	v_xor_b32_e32 v1, 0x80000000, v1
	s_delay_alu instid0(TRANS32_DEP_1) | instid1(VALU_DEP_1)
	v_fma_f32 v6, v1, v5, 1.0
	s_delay_alu instid0(VALU_DEP_1) | instskip(NEXT) | instid1(VALU_DEP_1)
	v_fmac_f32_e32 v5, v6, v5
	v_mul_f32_e32 v6, v7, v5
	s_delay_alu instid0(VALU_DEP_1) | instskip(NEXT) | instid1(VALU_DEP_1)
	v_fma_f32 v8, v1, v6, v7
	v_fmac_f32_e32 v6, v8, v5
	s_delay_alu instid0(VALU_DEP_1) | instskip(SKIP_1) | instid1(VALU_DEP_1)
	v_fmac_f32_e32 v7, v1, v6
	s_wait_alu 0xfffd
	v_div_fmas_f32 v1, v7, v5, v6
	v_fma_f32 v5, v0, v3, v2
	v_fma_f32 v2, -v0, v2, v3
	s_delay_alu instid0(VALU_DEP_3) | instskip(NEXT) | instid1(VALU_DEP_1)
	v_div_fixup_f32 v1, v1, v4, 1.0
	v_mul_f32_e32 v0, v5, v1
	s_delay_alu instid0(VALU_DEP_3)
	v_mul_f32_e32 v1, v2, v1
.LBB137_64:                             ;   in Loop: Header=BB137_3 Depth=1
	s_mov_b32 s14, s48
	ds_store_b64 v24, v[0:1]
.LBB137_65:                             ;   in Loop: Header=BB137_3 Depth=1
	s_wait_alu 0xfffe
	s_cmp_lt_i32 s14, 0
	s_cbranch_scc1 .LBB137_74
; %bb.66:                               ;   in Loop: Header=BB137_3 Depth=1
	s_lshl_b32 s15, s14, 3
	s_wait_alu 0xfffe
	s_add_co_i32 s15, s22, s15
	s_branch .LBB137_68
.LBB137_67:                             ;   in Loop: Header=BB137_68 Depth=2
	s_add_co_i32 s25, s14, -1
	s_add_co_i32 s15, s15, -8
	s_cmp_lt_i32 s14, 1
	s_wait_alu 0xfffe
	s_mov_b32 s14, s25
	ds_store_b64 v6, v[4:5]
	s_cbranch_scc1 .LBB137_74
.LBB137_68:                             ;   Parent Loop BB137_3 Depth=1
                                        ; =>  This Loop Header: Depth=2
                                        ;       Child Loop BB137_69 Depth 3
	s_wait_alu 0xfffe
	s_lshl_b32 s25, s14, 5
	v_mov_b32_e32 v2, v29
	s_wait_alu 0xfffe
	v_add_nc_u32_e32 v6, s25, v19
	s_cmp_le_i32 s27, s14
	s_mov_b32 s51, s15
	s_mov_b32 s52, s27
	ds_load_b64 v[0:1], v6
	s_cbranch_scc1 .LBB137_70
.LBB137_69:                             ;   Parent Loop BB137_3 Depth=1
                                        ;     Parent Loop BB137_68 Depth=2
                                        ; =>    This Inner Loop Header: Depth=3
	s_wait_alu 0xfffe
	v_mov_b32_e32 v5, s51
	s_add_co_i32 s52, s52, -1
	s_sub_co_i32 s51, s51, 32
	s_wait_alu 0xfffe
	s_cmp_le_i32 s52, s14
	ds_load_b64 v[3:4], v2
	ds_load_b64 v[7:8], v5
	v_subrev_nc_u32_e32 v2, 32, v2
	s_wait_dscnt 0x0
	v_mul_f32_e32 v5, v8, v4
	v_mul_f32_e32 v4, v7, v4
	s_delay_alu instid0(VALU_DEP_2) | instskip(NEXT) | instid1(VALU_DEP_2)
	v_fma_f32 v5, v7, v3, -v5
	v_fmac_f32_e32 v4, v8, v3
	s_delay_alu instid0(VALU_DEP_1)
	v_dual_sub_f32 v0, v0, v5 :: v_dual_sub_f32 v1, v1, v4
	s_cbranch_scc0 .LBB137_69
.LBB137_70:                             ;   in Loop: Header=BB137_68 Depth=2
	s_lshl_b32 s51, s14, 3
	s_wait_alu 0xfffe
	s_add_co_i32 s25, s51, s25
	s_wait_alu 0xfffe
	v_mov_b32_e32 v2, s25
	s_mov_b32 s25, -1
	ds_load_b64 v[2:3], v2
	s_wait_dscnt 0x0
	v_and_b32_e32 v4, 0x7fffffff, v2
	v_and_b32_e32 v5, 0x7fffffff, v3
	s_delay_alu instid0(VALU_DEP_1)
	v_cmp_ngt_f32_e32 vcc_lo, v4, v5
                                        ; implicit-def: $vgpr4
	s_cbranch_vccz .LBB137_72
; %bb.71:                               ;   in Loop: Header=BB137_68 Depth=2
	v_div_scale_f32 v4, null, v3, v3, v2
	v_div_scale_f32 v8, vcc_lo, v2, v3, v2
	s_mov_b32 s25, 0
	v_rcp_f32_e32 v5, v4
	v_xor_b32_e32 v4, 0x80000000, v4
	s_delay_alu instid0(TRANS32_DEP_1) | instid1(VALU_DEP_1)
	v_fma_f32 v7, v4, v5, 1.0
	s_delay_alu instid0(VALU_DEP_1) | instskip(NEXT) | instid1(VALU_DEP_1)
	v_fmac_f32_e32 v5, v7, v5
	v_mul_f32_e32 v7, v8, v5
	s_delay_alu instid0(VALU_DEP_1) | instskip(NEXT) | instid1(VALU_DEP_1)
	v_fma_f32 v9, v4, v7, v8
	v_fmac_f32_e32 v7, v9, v5
	s_delay_alu instid0(VALU_DEP_1) | instskip(SKIP_1) | instid1(VALU_DEP_1)
	v_fmac_f32_e32 v8, v4, v7
	s_wait_alu 0xfffd
	v_div_fmas_f32 v4, v8, v5, v7
	s_delay_alu instid0(VALU_DEP_1) | instskip(NEXT) | instid1(VALU_DEP_1)
	v_div_fixup_f32 v4, v4, v3, v2
	v_fma_f32 v5, v2, v4, v3
	s_delay_alu instid0(VALU_DEP_1) | instskip(SKIP_1) | instid1(VALU_DEP_2)
	v_div_scale_f32 v7, null, v5, v5, 1.0
	v_div_scale_f32 v10, vcc_lo, 1.0, v5, 1.0
	v_rcp_f32_e32 v8, v7
	v_xor_b32_e32 v7, 0x80000000, v7
	s_delay_alu instid0(TRANS32_DEP_1) | instid1(VALU_DEP_1)
	v_fma_f32 v9, v7, v8, 1.0
	s_delay_alu instid0(VALU_DEP_1) | instskip(NEXT) | instid1(VALU_DEP_1)
	v_fmac_f32_e32 v8, v9, v8
	v_mul_f32_e32 v9, v10, v8
	s_delay_alu instid0(VALU_DEP_1) | instskip(NEXT) | instid1(VALU_DEP_1)
	v_fma_f32 v11, v7, v9, v10
	v_fmac_f32_e32 v9, v11, v8
	s_delay_alu instid0(VALU_DEP_1) | instskip(SKIP_1) | instid1(VALU_DEP_1)
	v_fmac_f32_e32 v10, v7, v9
	s_wait_alu 0xfffd
	v_div_fmas_f32 v7, v10, v8, v9
	v_fma_f32 v8, v0, v4, v1
	s_delay_alu instid0(VALU_DEP_2) | instskip(SKIP_1) | instid1(VALU_DEP_2)
	v_div_fixup_f32 v5, v7, v5, 1.0
	v_fma_f32 v7, v1, v4, -v0
	v_mul_f32_e32 v4, v8, v5
	s_delay_alu instid0(VALU_DEP_2)
	v_mul_f32_e32 v5, v7, v5
.LBB137_72:                             ;   in Loop: Header=BB137_68 Depth=2
	s_wait_alu 0xfffe
	s_and_not1_b32 vcc_lo, exec_lo, s25
	s_wait_alu 0xfffe
	s_cbranch_vccnz .LBB137_67
; %bb.73:                               ;   in Loop: Header=BB137_68 Depth=2
	v_div_scale_f32 v4, null, v2, v2, v3
	v_div_scale_f32 v8, vcc_lo, v3, v2, v3
	s_delay_alu instid0(VALU_DEP_2)
	v_rcp_f32_e32 v5, v4
	v_xor_b32_e32 v4, 0x80000000, v4
	s_delay_alu instid0(TRANS32_DEP_1) | instid1(VALU_DEP_1)
	v_fma_f32 v7, v4, v5, 1.0
	s_delay_alu instid0(VALU_DEP_1) | instskip(NEXT) | instid1(VALU_DEP_1)
	v_fmac_f32_e32 v5, v7, v5
	v_mul_f32_e32 v7, v8, v5
	s_delay_alu instid0(VALU_DEP_1) | instskip(NEXT) | instid1(VALU_DEP_1)
	v_fma_f32 v9, v4, v7, v8
	v_fmac_f32_e32 v7, v9, v5
	s_delay_alu instid0(VALU_DEP_1) | instskip(SKIP_1) | instid1(VALU_DEP_1)
	v_fmac_f32_e32 v8, v4, v7
	s_wait_alu 0xfffd
	v_div_fmas_f32 v4, v8, v5, v7
	s_delay_alu instid0(VALU_DEP_1) | instskip(NEXT) | instid1(VALU_DEP_1)
	v_div_fixup_f32 v4, v4, v2, v3
	v_fmac_f32_e32 v2, v3, v4
	s_delay_alu instid0(VALU_DEP_1) | instskip(SKIP_1) | instid1(VALU_DEP_2)
	v_div_scale_f32 v3, null, v2, v2, 1.0
	v_div_scale_f32 v8, vcc_lo, 1.0, v2, 1.0
	v_rcp_f32_e32 v5, v3
	v_xor_b32_e32 v3, 0x80000000, v3
	s_delay_alu instid0(TRANS32_DEP_1) | instid1(VALU_DEP_1)
	v_fma_f32 v7, v3, v5, 1.0
	s_delay_alu instid0(VALU_DEP_1) | instskip(NEXT) | instid1(VALU_DEP_1)
	v_fmac_f32_e32 v5, v7, v5
	v_mul_f32_e32 v7, v8, v5
	s_delay_alu instid0(VALU_DEP_1) | instskip(NEXT) | instid1(VALU_DEP_1)
	v_fma_f32 v9, v3, v7, v8
	v_fmac_f32_e32 v7, v9, v5
	s_delay_alu instid0(VALU_DEP_1) | instskip(SKIP_1) | instid1(VALU_DEP_1)
	v_fmac_f32_e32 v8, v3, v7
	s_wait_alu 0xfffd
	v_div_fmas_f32 v3, v8, v5, v7
	v_fma_f32 v5, v1, v4, v0
	v_fma_f32 v0, -v0, v4, v1
	s_delay_alu instid0(VALU_DEP_3) | instskip(NEXT) | instid1(VALU_DEP_1)
	v_div_fixup_f32 v2, v3, v2, 1.0
	v_mul_f32_e32 v4, v5, v2
	s_delay_alu instid0(VALU_DEP_3)
	v_mul_f32_e32 v5, v0, v2
	s_branch .LBB137_67
.LBB137_74:                             ;   in Loop: Header=BB137_3 Depth=1
	s_mov_b32 s14, 0
.LBB137_75:                             ;   in Loop: Header=BB137_3 Depth=1
	s_wait_alu 0xfffe
	s_and_not1_b32 vcc_lo, exec_lo, s14
	s_wait_alu 0xfffe
	s_cbranch_vccnz .LBB137_103
; %bb.76:                               ;   in Loop: Header=BB137_3 Depth=1
	s_and_b32 vcc_lo, exec_lo, s31
	s_mov_b32 s14, s27
	s_wait_alu 0xfffe
	s_cbranch_vccz .LBB137_94
; %bb.77:                               ;   in Loop: Header=BB137_3 Depth=1
	v_mov_b32_e32 v0, s36
	s_mov_b32 s14, -1
	ds_load_b64 v[2:3], v0
	ds_load_b64 v[0:1], v21
	ds_load_b64 v[10:11], v22
	ds_load_b64 v[8:9], v23
	ds_load_b64 v[4:5], v24
	s_wait_dscnt 0x4
	v_and_b32_e32 v6, 0x7fffffff, v2
	v_and_b32_e32 v7, 0x7fffffff, v3
	s_delay_alu instid0(VALU_DEP_1)
	v_cmp_ngt_f32_e32 vcc_lo, v6, v7
                                        ; implicit-def: $vgpr7
	s_cbranch_vccz .LBB137_79
; %bb.78:                               ;   in Loop: Header=BB137_3 Depth=1
	v_div_scale_f32 v6, null, v3, v3, v2
	v_div_scale_f32 v17, vcc_lo, v2, v3, v2
	s_mov_b32 s14, 0
	v_rcp_f32_e32 v7, v6
	v_xor_b32_e32 v6, 0x80000000, v6
	s_delay_alu instid0(TRANS32_DEP_1) | instid1(VALU_DEP_1)
	v_fma_f32 v16, v6, v7, 1.0
	s_delay_alu instid0(VALU_DEP_1) | instskip(NEXT) | instid1(VALU_DEP_1)
	v_fmac_f32_e32 v7, v16, v7
	v_mul_f32_e32 v16, v17, v7
	s_delay_alu instid0(VALU_DEP_1) | instskip(NEXT) | instid1(VALU_DEP_1)
	v_fma_f32 v32, v6, v16, v17
	v_fmac_f32_e32 v16, v32, v7
	s_delay_alu instid0(VALU_DEP_1) | instskip(SKIP_1) | instid1(VALU_DEP_1)
	v_fmac_f32_e32 v17, v6, v16
	s_wait_alu 0xfffd
	v_div_fmas_f32 v6, v17, v7, v16
	s_delay_alu instid0(VALU_DEP_1) | instskip(NEXT) | instid1(VALU_DEP_1)
	v_div_fixup_f32 v6, v6, v3, v2
	v_fma_f32 v7, v2, v6, v3
	s_delay_alu instid0(VALU_DEP_1) | instskip(SKIP_1) | instid1(VALU_DEP_2)
	v_div_scale_f32 v16, null, v7, v7, 1.0
	v_div_scale_f32 v33, vcc_lo, 1.0, v7, 1.0
	v_rcp_f32_e32 v17, v16
	v_xor_b32_e32 v16, 0x80000000, v16
	s_delay_alu instid0(TRANS32_DEP_1) | instid1(VALU_DEP_1)
	v_fma_f32 v32, v16, v17, 1.0
	s_delay_alu instid0(VALU_DEP_1) | instskip(NEXT) | instid1(VALU_DEP_1)
	v_fmac_f32_e32 v17, v32, v17
	v_mul_f32_e32 v32, v33, v17
	s_delay_alu instid0(VALU_DEP_1) | instskip(NEXT) | instid1(VALU_DEP_1)
	v_fma_f32 v34, v16, v32, v33
	v_fmac_f32_e32 v32, v34, v17
	s_delay_alu instid0(VALU_DEP_1) | instskip(SKIP_1) | instid1(VALU_DEP_1)
	v_fmac_f32_e32 v33, v16, v32
	s_wait_alu 0xfffd
	v_div_fmas_f32 v16, v33, v17, v32
	s_wait_dscnt 0x3
	v_fma_f32 v17, v0, v6, v1
	s_delay_alu instid0(VALU_DEP_2) | instskip(SKIP_1) | instid1(VALU_DEP_2)
	v_div_fixup_f32 v7, v16, v7, 1.0
	v_fma_f32 v16, v1, v6, -v0
	v_mul_f32_e32 v6, v17, v7
	s_delay_alu instid0(VALU_DEP_2)
	v_mul_f32_e32 v7, v16, v7
.LBB137_79:                             ;   in Loop: Header=BB137_3 Depth=1
	s_wait_alu 0xfffe
	s_and_not1_b32 vcc_lo, exec_lo, s14
	s_wait_alu 0xfffe
	s_cbranch_vccnz .LBB137_81
; %bb.80:                               ;   in Loop: Header=BB137_3 Depth=1
	v_div_scale_f32 v6, null, v2, v2, v3
	v_div_scale_f32 v17, vcc_lo, v3, v2, v3
	s_delay_alu instid0(VALU_DEP_2)
	v_rcp_f32_e32 v7, v6
	v_xor_b32_e32 v6, 0x80000000, v6
	s_delay_alu instid0(TRANS32_DEP_1) | instid1(VALU_DEP_1)
	v_fma_f32 v16, v6, v7, 1.0
	s_delay_alu instid0(VALU_DEP_1) | instskip(NEXT) | instid1(VALU_DEP_1)
	v_fmac_f32_e32 v7, v16, v7
	v_mul_f32_e32 v16, v17, v7
	s_delay_alu instid0(VALU_DEP_1) | instskip(NEXT) | instid1(VALU_DEP_1)
	v_fma_f32 v32, v6, v16, v17
	v_fmac_f32_e32 v16, v32, v7
	s_delay_alu instid0(VALU_DEP_1) | instskip(SKIP_1) | instid1(VALU_DEP_1)
	v_fmac_f32_e32 v17, v6, v16
	s_wait_alu 0xfffd
	v_div_fmas_f32 v6, v17, v7, v16
	s_delay_alu instid0(VALU_DEP_1) | instskip(NEXT) | instid1(VALU_DEP_1)
	v_div_fixup_f32 v6, v6, v2, v3
	v_fmac_f32_e32 v2, v3, v6
	s_delay_alu instid0(VALU_DEP_1) | instskip(SKIP_1) | instid1(VALU_DEP_2)
	v_div_scale_f32 v3, null, v2, v2, 1.0
	v_div_scale_f32 v17, vcc_lo, 1.0, v2, 1.0
	v_rcp_f32_e32 v7, v3
	v_xor_b32_e32 v3, 0x80000000, v3
	s_delay_alu instid0(TRANS32_DEP_1) | instid1(VALU_DEP_1)
	v_fma_f32 v16, v3, v7, 1.0
	s_delay_alu instid0(VALU_DEP_1) | instskip(NEXT) | instid1(VALU_DEP_1)
	v_fmac_f32_e32 v7, v16, v7
	v_mul_f32_e32 v16, v17, v7
	s_delay_alu instid0(VALU_DEP_1) | instskip(NEXT) | instid1(VALU_DEP_1)
	v_fma_f32 v32, v3, v16, v17
	v_fmac_f32_e32 v16, v32, v7
	s_delay_alu instid0(VALU_DEP_1) | instskip(SKIP_1) | instid1(VALU_DEP_1)
	v_fmac_f32_e32 v17, v3, v16
	s_wait_alu 0xfffd
	v_div_fmas_f32 v3, v17, v7, v16
	s_wait_dscnt 0x3
	v_fma_f32 v7, v1, v6, v0
	v_fma_f32 v0, -v0, v6, v1
	s_delay_alu instid0(VALU_DEP_3) | instskip(NEXT) | instid1(VALU_DEP_1)
	v_div_fixup_f32 v2, v3, v2, 1.0
	v_mul_f32_e32 v6, v7, v2
	s_delay_alu instid0(VALU_DEP_3)
	v_mul_f32_e32 v7, v0, v2
.LBB137_81:                             ;   in Loop: Header=BB137_3 Depth=1
	s_add_co_i32 s14, s34, s37
	ds_store_b64 v21, v[6:7]
	s_wait_dscnt 0x4
	s_wait_alu 0xfffe
	v_mov_b32_e32 v0, s14
	s_mov_b32 s14, -1
	ds_load_2addr_b64 v[0:3], v0 offset1:1
	s_wait_dscnt 0x0
	v_dual_mul_f32 v16, v7, v3 :: v_dual_and_b32 v17, 0x7fffffff, v0
	v_dual_mul_f32 v3, v6, v3 :: v_dual_and_b32 v32, 0x7fffffff, v1
	s_delay_alu instid0(VALU_DEP_2) | instskip(NEXT) | instid1(VALU_DEP_2)
	v_fma_f32 v16, v6, v2, -v16
	v_fmac_f32_e32 v3, v7, v2
	s_delay_alu instid0(VALU_DEP_3) | instskip(NEXT) | instid1(VALU_DEP_2)
	v_cmp_ngt_f32_e32 vcc_lo, v17, v32
	v_dual_sub_f32 v2, v10, v16 :: v_dual_sub_f32 v3, v11, v3
                                        ; implicit-def: $vgpr11
	s_cbranch_vccz .LBB137_83
; %bb.82:                               ;   in Loop: Header=BB137_3 Depth=1
	v_div_scale_f32 v10, null, v1, v1, v0
	v_div_scale_f32 v17, vcc_lo, v0, v1, v0
	s_mov_b32 s14, 0
	v_rcp_f32_e32 v11, v10
	v_xor_b32_e32 v10, 0x80000000, v10
	s_delay_alu instid0(TRANS32_DEP_1) | instid1(VALU_DEP_1)
	v_fma_f32 v16, v10, v11, 1.0
	s_delay_alu instid0(VALU_DEP_1) | instskip(NEXT) | instid1(VALU_DEP_1)
	v_fmac_f32_e32 v11, v16, v11
	v_mul_f32_e32 v16, v17, v11
	s_delay_alu instid0(VALU_DEP_1) | instskip(NEXT) | instid1(VALU_DEP_1)
	v_fma_f32 v32, v10, v16, v17
	v_fmac_f32_e32 v16, v32, v11
	s_delay_alu instid0(VALU_DEP_1) | instskip(SKIP_1) | instid1(VALU_DEP_1)
	v_fmac_f32_e32 v17, v10, v16
	s_wait_alu 0xfffd
	v_div_fmas_f32 v10, v17, v11, v16
	s_delay_alu instid0(VALU_DEP_1) | instskip(NEXT) | instid1(VALU_DEP_1)
	v_div_fixup_f32 v10, v10, v1, v0
	v_fma_f32 v11, v0, v10, v1
	s_delay_alu instid0(VALU_DEP_1) | instskip(SKIP_1) | instid1(VALU_DEP_2)
	v_div_scale_f32 v16, null, v11, v11, 1.0
	v_div_scale_f32 v33, vcc_lo, 1.0, v11, 1.0
	v_rcp_f32_e32 v17, v16
	v_xor_b32_e32 v16, 0x80000000, v16
	s_delay_alu instid0(TRANS32_DEP_1) | instid1(VALU_DEP_1)
	v_fma_f32 v32, v16, v17, 1.0
	s_delay_alu instid0(VALU_DEP_1) | instskip(NEXT) | instid1(VALU_DEP_1)
	v_fmac_f32_e32 v17, v32, v17
	v_mul_f32_e32 v32, v33, v17
	s_delay_alu instid0(VALU_DEP_1) | instskip(NEXT) | instid1(VALU_DEP_1)
	v_fma_f32 v34, v16, v32, v33
	v_fmac_f32_e32 v32, v34, v17
	s_delay_alu instid0(VALU_DEP_1) | instskip(SKIP_1) | instid1(VALU_DEP_1)
	v_fmac_f32_e32 v33, v16, v32
	s_wait_alu 0xfffd
	v_div_fmas_f32 v16, v33, v17, v32
	v_fma_f32 v17, v10, v2, v3
	s_delay_alu instid0(VALU_DEP_2) | instskip(SKIP_1) | instid1(VALU_DEP_2)
	v_div_fixup_f32 v11, v16, v11, 1.0
	v_fma_f32 v16, v10, v3, -v2
	v_mul_f32_e32 v10, v17, v11
	s_delay_alu instid0(VALU_DEP_2)
	v_mul_f32_e32 v11, v16, v11
.LBB137_83:                             ;   in Loop: Header=BB137_3 Depth=1
	s_wait_alu 0xfffe
	s_and_not1_b32 vcc_lo, exec_lo, s14
	s_wait_alu 0xfffe
	s_cbranch_vccnz .LBB137_85
; %bb.84:                               ;   in Loop: Header=BB137_3 Depth=1
	v_div_scale_f32 v10, null, v0, v0, v1
	v_div_scale_f32 v17, vcc_lo, v1, v0, v1
	s_delay_alu instid0(VALU_DEP_2)
	v_rcp_f32_e32 v11, v10
	v_xor_b32_e32 v10, 0x80000000, v10
	s_delay_alu instid0(TRANS32_DEP_1) | instid1(VALU_DEP_1)
	v_fma_f32 v16, v10, v11, 1.0
	s_delay_alu instid0(VALU_DEP_1) | instskip(NEXT) | instid1(VALU_DEP_1)
	v_fmac_f32_e32 v11, v16, v11
	v_mul_f32_e32 v16, v17, v11
	s_delay_alu instid0(VALU_DEP_1) | instskip(NEXT) | instid1(VALU_DEP_1)
	v_fma_f32 v32, v10, v16, v17
	v_fmac_f32_e32 v16, v32, v11
	s_delay_alu instid0(VALU_DEP_1) | instskip(SKIP_1) | instid1(VALU_DEP_1)
	v_fmac_f32_e32 v17, v10, v16
	s_wait_alu 0xfffd
	v_div_fmas_f32 v10, v17, v11, v16
	s_delay_alu instid0(VALU_DEP_1) | instskip(NEXT) | instid1(VALU_DEP_1)
	v_div_fixup_f32 v10, v10, v0, v1
	v_fmac_f32_e32 v0, v1, v10
	s_delay_alu instid0(VALU_DEP_1) | instskip(SKIP_1) | instid1(VALU_DEP_2)
	v_div_scale_f32 v1, null, v0, v0, 1.0
	v_div_scale_f32 v17, vcc_lo, 1.0, v0, 1.0
	v_rcp_f32_e32 v11, v1
	v_xor_b32_e32 v1, 0x80000000, v1
	s_delay_alu instid0(TRANS32_DEP_1) | instid1(VALU_DEP_1)
	v_fma_f32 v16, v1, v11, 1.0
	s_delay_alu instid0(VALU_DEP_1) | instskip(NEXT) | instid1(VALU_DEP_1)
	v_fmac_f32_e32 v11, v16, v11
	v_mul_f32_e32 v16, v17, v11
	s_delay_alu instid0(VALU_DEP_1) | instskip(NEXT) | instid1(VALU_DEP_1)
	v_fma_f32 v32, v1, v16, v17
	v_fmac_f32_e32 v16, v32, v11
	s_delay_alu instid0(VALU_DEP_1) | instskip(SKIP_1) | instid1(VALU_DEP_1)
	v_fmac_f32_e32 v17, v1, v16
	s_wait_alu 0xfffd
	v_div_fmas_f32 v1, v17, v11, v16
	v_fma_f32 v11, v10, v3, v2
	s_delay_alu instid0(VALU_DEP_2) | instskip(SKIP_1) | instid1(VALU_DEP_2)
	v_div_fixup_f32 v0, v1, v0, 1.0
	v_fma_f32 v1, -v10, v2, v3
	v_mul_f32_e32 v10, v11, v0
	s_delay_alu instid0(VALU_DEP_2)
	v_mul_f32_e32 v11, v1, v0
.LBB137_85:                             ;   in Loop: Header=BB137_3 Depth=1
	s_add_co_i32 s14, s35, s39
	s_wait_alu 0xfffe
	v_dual_mov_b32 v0, s49 :: v_dual_mov_b32 v1, s14
	s_mov_b32 s14, -1
	ds_load_b64 v[16:17], v0
	ds_load_2addr_b64 v[0:3], v1 offset1:1
	ds_store_b64 v22, v[10:11]
	s_wait_dscnt 0x2
	v_mul_f32_e32 v32, v7, v17
	s_wait_dscnt 0x1
	v_dual_mul_f32 v17, v6, v17 :: v_dual_and_b32 v34, 0x7fffffff, v0
	v_mul_f32_e32 v33, v11, v3
	v_mul_f32_e32 v3, v10, v3
	v_fma_f32 v32, v6, v16, -v32
	s_delay_alu instid0(VALU_DEP_4) | instskip(NEXT) | instid1(VALU_DEP_4)
	v_dual_fmac_f32 v17, v7, v16 :: v_dual_and_b32 v16, 0x7fffffff, v1
	v_fma_f32 v33, v10, v2, -v33
	s_delay_alu instid0(VALU_DEP_3) | instskip(NEXT) | instid1(VALU_DEP_3)
	v_dual_fmac_f32 v3, v11, v2 :: v_dual_sub_f32 v2, v8, v32
	v_cmp_ngt_f32_e32 vcc_lo, v34, v16
	s_delay_alu instid0(VALU_DEP_2) | instskip(SKIP_1) | instid1(VALU_DEP_1)
	v_sub_f32_e32 v2, v2, v33
	v_sub_f32_e32 v8, v9, v17
	;; [unrolled: 1-line block ×3, first 2 shown]
                                        ; implicit-def: $vgpr9
	s_cbranch_vccz .LBB137_87
; %bb.86:                               ;   in Loop: Header=BB137_3 Depth=1
	v_div_scale_f32 v8, null, v1, v1, v0
	v_div_scale_f32 v17, vcc_lo, v0, v1, v0
	s_mov_b32 s14, 0
	v_rcp_f32_e32 v9, v8
	v_xor_b32_e32 v8, 0x80000000, v8
	s_delay_alu instid0(TRANS32_DEP_1) | instid1(VALU_DEP_1)
	v_fma_f32 v16, v8, v9, 1.0
	s_delay_alu instid0(VALU_DEP_1) | instskip(NEXT) | instid1(VALU_DEP_1)
	v_fmac_f32_e32 v9, v16, v9
	v_mul_f32_e32 v16, v17, v9
	s_delay_alu instid0(VALU_DEP_1) | instskip(NEXT) | instid1(VALU_DEP_1)
	v_fma_f32 v32, v8, v16, v17
	v_fmac_f32_e32 v16, v32, v9
	s_delay_alu instid0(VALU_DEP_1) | instskip(SKIP_1) | instid1(VALU_DEP_1)
	v_fmac_f32_e32 v17, v8, v16
	s_wait_alu 0xfffd
	v_div_fmas_f32 v8, v17, v9, v16
	s_delay_alu instid0(VALU_DEP_1) | instskip(NEXT) | instid1(VALU_DEP_1)
	v_div_fixup_f32 v8, v8, v1, v0
	v_fma_f32 v9, v0, v8, v1
	s_delay_alu instid0(VALU_DEP_1) | instskip(SKIP_1) | instid1(VALU_DEP_2)
	v_div_scale_f32 v16, null, v9, v9, 1.0
	v_div_scale_f32 v33, vcc_lo, 1.0, v9, 1.0
	v_rcp_f32_e32 v17, v16
	v_xor_b32_e32 v16, 0x80000000, v16
	s_delay_alu instid0(TRANS32_DEP_1) | instid1(VALU_DEP_1)
	v_fma_f32 v32, v16, v17, 1.0
	s_delay_alu instid0(VALU_DEP_1) | instskip(NEXT) | instid1(VALU_DEP_1)
	v_fmac_f32_e32 v17, v32, v17
	v_mul_f32_e32 v32, v33, v17
	s_delay_alu instid0(VALU_DEP_1) | instskip(NEXT) | instid1(VALU_DEP_1)
	v_fma_f32 v34, v16, v32, v33
	v_fmac_f32_e32 v32, v34, v17
	s_delay_alu instid0(VALU_DEP_1) | instskip(SKIP_1) | instid1(VALU_DEP_1)
	v_fmac_f32_e32 v33, v16, v32
	s_wait_alu 0xfffd
	v_div_fmas_f32 v16, v33, v17, v32
	v_fma_f32 v17, v8, v2, v3
	s_delay_alu instid0(VALU_DEP_2) | instskip(SKIP_1) | instid1(VALU_DEP_2)
	v_div_fixup_f32 v9, v16, v9, 1.0
	v_fma_f32 v16, v8, v3, -v2
	v_mul_f32_e32 v8, v17, v9
	s_delay_alu instid0(VALU_DEP_2)
	v_mul_f32_e32 v9, v16, v9
.LBB137_87:                             ;   in Loop: Header=BB137_3 Depth=1
	s_wait_alu 0xfffe
	s_and_not1_b32 vcc_lo, exec_lo, s14
	s_wait_alu 0xfffe
	s_cbranch_vccnz .LBB137_89
; %bb.88:                               ;   in Loop: Header=BB137_3 Depth=1
	v_div_scale_f32 v8, null, v0, v0, v1
	v_div_scale_f32 v17, vcc_lo, v1, v0, v1
	s_delay_alu instid0(VALU_DEP_2)
	v_rcp_f32_e32 v9, v8
	v_xor_b32_e32 v8, 0x80000000, v8
	s_delay_alu instid0(TRANS32_DEP_1) | instid1(VALU_DEP_1)
	v_fma_f32 v16, v8, v9, 1.0
	s_delay_alu instid0(VALU_DEP_1) | instskip(NEXT) | instid1(VALU_DEP_1)
	v_fmac_f32_e32 v9, v16, v9
	v_mul_f32_e32 v16, v17, v9
	s_delay_alu instid0(VALU_DEP_1) | instskip(NEXT) | instid1(VALU_DEP_1)
	v_fma_f32 v32, v8, v16, v17
	v_fmac_f32_e32 v16, v32, v9
	s_delay_alu instid0(VALU_DEP_1) | instskip(SKIP_1) | instid1(VALU_DEP_1)
	v_fmac_f32_e32 v17, v8, v16
	s_wait_alu 0xfffd
	v_div_fmas_f32 v8, v17, v9, v16
	s_delay_alu instid0(VALU_DEP_1) | instskip(NEXT) | instid1(VALU_DEP_1)
	v_div_fixup_f32 v8, v8, v0, v1
	v_fmac_f32_e32 v0, v1, v8
	s_delay_alu instid0(VALU_DEP_1) | instskip(SKIP_1) | instid1(VALU_DEP_2)
	v_div_scale_f32 v1, null, v0, v0, 1.0
	v_div_scale_f32 v17, vcc_lo, 1.0, v0, 1.0
	v_rcp_f32_e32 v9, v1
	v_xor_b32_e32 v1, 0x80000000, v1
	s_delay_alu instid0(TRANS32_DEP_1) | instid1(VALU_DEP_1)
	v_fma_f32 v16, v1, v9, 1.0
	s_delay_alu instid0(VALU_DEP_1) | instskip(NEXT) | instid1(VALU_DEP_1)
	v_fmac_f32_e32 v9, v16, v9
	v_mul_f32_e32 v16, v17, v9
	s_delay_alu instid0(VALU_DEP_1) | instskip(NEXT) | instid1(VALU_DEP_1)
	v_fma_f32 v32, v1, v16, v17
	v_fmac_f32_e32 v16, v32, v9
	s_delay_alu instid0(VALU_DEP_1) | instskip(SKIP_1) | instid1(VALU_DEP_1)
	v_fmac_f32_e32 v17, v1, v16
	s_wait_alu 0xfffd
	v_div_fmas_f32 v1, v17, v9, v16
	v_fma_f32 v9, v8, v3, v2
	s_delay_alu instid0(VALU_DEP_2) | instskip(SKIP_1) | instid1(VALU_DEP_2)
	v_div_fixup_f32 v0, v1, v0, 1.0
	v_fma_f32 v1, -v8, v2, v3
	v_mul_f32_e32 v8, v9, v0
	s_delay_alu instid0(VALU_DEP_2)
	v_mul_f32_e32 v9, v1, v0
.LBB137_89:                             ;   in Loop: Header=BB137_3 Depth=1
	v_dual_mov_b32 v0, s50 :: v_dual_mov_b32 v1, s24
	s_mov_b32 s14, -1
	ds_load_2addr_b64 v[32:35], v0 offset1:1
	ds_load_2addr_b64 v[0:3], v1 offset1:1
	ds_store_b64 v23, v[8:9]
	s_wait_dscnt 0x2
	v_mul_f32_e32 v16, v7, v35
	v_mul_f32_e32 v17, v6, v35
	s_wait_dscnt 0x1
	v_dual_mul_f32 v35, v11, v33 :: v_dual_mul_f32 v36, v9, v3
	v_mul_f32_e32 v33, v10, v33
	v_fma_f32 v6, v6, v34, -v16
	v_mul_f32_e32 v3, v8, v3
	s_delay_alu instid0(VALU_DEP_4) | instskip(NEXT) | instid1(VALU_DEP_3)
	v_fma_f32 v10, v10, v32, -v35
	v_dual_sub_f32 v4, v4, v6 :: v_dual_fmac_f32 v33, v11, v32
	v_and_b32_e32 v6, 0x7fffffff, v1
	v_fma_f32 v11, v8, v2, -v36
	v_fmac_f32_e32 v3, v9, v2
	s_delay_alu instid0(VALU_DEP_4) | instskip(SKIP_1) | instid1(VALU_DEP_2)
	v_sub_f32_e32 v2, v4, v10
	v_fmac_f32_e32 v17, v7, v34
	v_dual_sub_f32 v4, v2, v11 :: v_dual_and_b32 v7, 0x7fffffff, v0
	s_delay_alu instid0(VALU_DEP_2) | instskip(NEXT) | instid1(VALU_DEP_2)
	v_sub_f32_e32 v5, v5, v17
	v_cmp_ngt_f32_e32 vcc_lo, v7, v6
	s_delay_alu instid0(VALU_DEP_2) | instskip(NEXT) | instid1(VALU_DEP_1)
	v_sub_f32_e32 v5, v5, v33
	v_sub_f32_e32 v5, v5, v3
                                        ; implicit-def: $vgpr3
	s_cbranch_vccz .LBB137_91
; %bb.90:                               ;   in Loop: Header=BB137_3 Depth=1
	v_div_scale_f32 v2, null, v1, v1, v0
	v_div_scale_f32 v7, vcc_lo, v0, v1, v0
	s_mov_b32 s14, 0
	v_rcp_f32_e32 v3, v2
	v_xor_b32_e32 v2, 0x80000000, v2
	s_delay_alu instid0(TRANS32_DEP_1) | instid1(VALU_DEP_1)
	v_fma_f32 v6, v2, v3, 1.0
	s_delay_alu instid0(VALU_DEP_1) | instskip(NEXT) | instid1(VALU_DEP_1)
	v_fmac_f32_e32 v3, v6, v3
	v_mul_f32_e32 v6, v7, v3
	s_delay_alu instid0(VALU_DEP_1) | instskip(NEXT) | instid1(VALU_DEP_1)
	v_fma_f32 v8, v2, v6, v7
	v_fmac_f32_e32 v6, v8, v3
	s_delay_alu instid0(VALU_DEP_1) | instskip(SKIP_1) | instid1(VALU_DEP_1)
	v_fmac_f32_e32 v7, v2, v6
	s_wait_alu 0xfffd
	v_div_fmas_f32 v2, v7, v3, v6
	s_delay_alu instid0(VALU_DEP_1) | instskip(NEXT) | instid1(VALU_DEP_1)
	v_div_fixup_f32 v2, v2, v1, v0
	v_fma_f32 v3, v0, v2, v1
	s_delay_alu instid0(VALU_DEP_1) | instskip(SKIP_1) | instid1(VALU_DEP_2)
	v_div_scale_f32 v6, null, v3, v3, 1.0
	v_div_scale_f32 v9, vcc_lo, 1.0, v3, 1.0
	v_rcp_f32_e32 v7, v6
	v_xor_b32_e32 v6, 0x80000000, v6
	s_delay_alu instid0(TRANS32_DEP_1) | instid1(VALU_DEP_1)
	v_fma_f32 v8, v6, v7, 1.0
	s_delay_alu instid0(VALU_DEP_1) | instskip(NEXT) | instid1(VALU_DEP_1)
	v_fmac_f32_e32 v7, v8, v7
	v_mul_f32_e32 v8, v9, v7
	s_delay_alu instid0(VALU_DEP_1) | instskip(NEXT) | instid1(VALU_DEP_1)
	v_fma_f32 v10, v6, v8, v9
	v_fmac_f32_e32 v8, v10, v7
	s_delay_alu instid0(VALU_DEP_1) | instskip(SKIP_1) | instid1(VALU_DEP_1)
	v_fmac_f32_e32 v9, v6, v8
	s_wait_alu 0xfffd
	v_div_fmas_f32 v6, v9, v7, v8
	v_fma_f32 v7, v2, v4, v5
	s_delay_alu instid0(VALU_DEP_2) | instskip(SKIP_1) | instid1(VALU_DEP_2)
	v_div_fixup_f32 v3, v6, v3, 1.0
	v_fma_f32 v6, v2, v5, -v4
	v_mul_f32_e32 v2, v7, v3
	s_delay_alu instid0(VALU_DEP_2)
	v_mul_f32_e32 v3, v6, v3
.LBB137_91:                             ;   in Loop: Header=BB137_3 Depth=1
	s_wait_alu 0xfffe
	s_and_not1_b32 vcc_lo, exec_lo, s14
	s_wait_alu 0xfffe
	s_cbranch_vccnz .LBB137_93
; %bb.92:                               ;   in Loop: Header=BB137_3 Depth=1
	v_div_scale_f32 v2, null, v0, v0, v1
	v_div_scale_f32 v7, vcc_lo, v1, v0, v1
	s_delay_alu instid0(VALU_DEP_2)
	v_rcp_f32_e32 v3, v2
	v_xor_b32_e32 v2, 0x80000000, v2
	s_delay_alu instid0(TRANS32_DEP_1) | instid1(VALU_DEP_1)
	v_fma_f32 v6, v2, v3, 1.0
	s_delay_alu instid0(VALU_DEP_1) | instskip(NEXT) | instid1(VALU_DEP_1)
	v_fmac_f32_e32 v3, v6, v3
	v_mul_f32_e32 v6, v7, v3
	s_delay_alu instid0(VALU_DEP_1) | instskip(NEXT) | instid1(VALU_DEP_1)
	v_fma_f32 v8, v2, v6, v7
	v_fmac_f32_e32 v6, v8, v3
	s_delay_alu instid0(VALU_DEP_1) | instskip(SKIP_1) | instid1(VALU_DEP_1)
	v_fmac_f32_e32 v7, v2, v6
	s_wait_alu 0xfffd
	v_div_fmas_f32 v2, v7, v3, v6
	s_delay_alu instid0(VALU_DEP_1) | instskip(NEXT) | instid1(VALU_DEP_1)
	v_div_fixup_f32 v2, v2, v0, v1
	v_fmac_f32_e32 v0, v1, v2
	s_delay_alu instid0(VALU_DEP_1) | instskip(SKIP_1) | instid1(VALU_DEP_2)
	v_div_scale_f32 v1, null, v0, v0, 1.0
	v_div_scale_f32 v7, vcc_lo, 1.0, v0, 1.0
	v_rcp_f32_e32 v3, v1
	v_xor_b32_e32 v1, 0x80000000, v1
	s_delay_alu instid0(TRANS32_DEP_1) | instid1(VALU_DEP_1)
	v_fma_f32 v6, v1, v3, 1.0
	s_delay_alu instid0(VALU_DEP_1) | instskip(NEXT) | instid1(VALU_DEP_1)
	v_fmac_f32_e32 v3, v6, v3
	v_mul_f32_e32 v6, v7, v3
	s_delay_alu instid0(VALU_DEP_1) | instskip(NEXT) | instid1(VALU_DEP_1)
	v_fma_f32 v8, v1, v6, v7
	v_fmac_f32_e32 v6, v8, v3
	s_delay_alu instid0(VALU_DEP_1) | instskip(SKIP_1) | instid1(VALU_DEP_1)
	v_fmac_f32_e32 v7, v1, v6
	s_wait_alu 0xfffd
	v_div_fmas_f32 v1, v7, v3, v6
	v_fma_f32 v3, v2, v5, v4
	s_delay_alu instid0(VALU_DEP_2) | instskip(SKIP_1) | instid1(VALU_DEP_2)
	v_div_fixup_f32 v0, v1, v0, 1.0
	v_fma_f32 v1, -v2, v4, v5
	v_mul_f32_e32 v2, v3, v0
	s_delay_alu instid0(VALU_DEP_2)
	v_mul_f32_e32 v3, v1, v0
.LBB137_93:                             ;   in Loop: Header=BB137_3 Depth=1
	s_mov_b32 s14, s48
	ds_store_b64 v24, v[2:3]
.LBB137_94:                             ;   in Loop: Header=BB137_3 Depth=1
	s_wait_alu 0xfffe
	s_cmp_lt_i32 s14, 0
	s_cbranch_scc1 .LBB137_103
; %bb.95:                               ;   in Loop: Header=BB137_3 Depth=1
	s_lshl_b32 s15, s14, 5
	s_wait_alu 0xfffe
	s_add_co_i32 s15, s23, s15
	s_branch .LBB137_97
.LBB137_96:                             ;   in Loop: Header=BB137_97 Depth=2
	v_sub_co_u32 v0, s25, s14, 1
	s_and_b32 vcc_lo, exec_lo, s25
	s_sub_co_i32 s15, s15, 32
	ds_store_b64 v6, v[4:5]
	v_readfirstlane_b32 s14, v0
	s_wait_alu 0xfffe
	s_cbranch_vccnz .LBB137_103
.LBB137_97:                             ;   Parent Loop BB137_3 Depth=1
                                        ; =>  This Loop Header: Depth=2
                                        ;       Child Loop BB137_98 Depth 3
	s_wait_alu 0xf1ff
	v_lshl_add_u32 v6, s14, 5, v19
	v_mov_b32_e32 v2, v29
	s_cmp_le_i32 s27, s14
	s_wait_alu 0xfffe
	s_mov_b32 s25, s15
	s_mov_b32 s51, s27
	ds_load_b64 v[0:1], v6
	s_cbranch_scc1 .LBB137_99
.LBB137_98:                             ;   Parent Loop BB137_3 Depth=1
                                        ;     Parent Loop BB137_97 Depth=2
                                        ; =>    This Inner Loop Header: Depth=3
	s_wait_alu 0xfffe
	v_mov_b32_e32 v5, s25
	s_add_co_i32 s51, s51, -1
	s_add_co_i32 s25, s25, -8
	s_wait_alu 0xfffe
	s_cmp_le_u32 s51, s14
	ds_load_b64 v[3:4], v2
	ds_load_b64 v[7:8], v5
	v_subrev_nc_u32_e32 v2, 32, v2
	s_wait_dscnt 0x0
	v_mul_f32_e32 v5, v8, v4
	v_mul_f32_e32 v4, v7, v4
	s_delay_alu instid0(VALU_DEP_2) | instskip(NEXT) | instid1(VALU_DEP_2)
	v_fma_f32 v5, v7, v3, -v5
	v_fmac_f32_e32 v4, v8, v3
	s_delay_alu instid0(VALU_DEP_1)
	v_dual_sub_f32 v0, v0, v5 :: v_dual_sub_f32 v1, v1, v4
	s_cbranch_scc0 .LBB137_98
.LBB137_99:                             ;   in Loop: Header=BB137_97 Depth=2
	s_mul_i32 s25, s14, 40
	s_wait_alu 0xfffe
	v_mov_b32_e32 v2, s25
	s_mov_b32 s25, -1
	ds_load_b64 v[2:3], v2
	s_wait_dscnt 0x0
	v_and_b32_e32 v4, 0x7fffffff, v2
	v_and_b32_e32 v5, 0x7fffffff, v3
	s_delay_alu instid0(VALU_DEP_1)
	v_cmp_ngt_f32_e32 vcc_lo, v4, v5
                                        ; implicit-def: $vgpr4
	s_cbranch_vccz .LBB137_101
; %bb.100:                              ;   in Loop: Header=BB137_97 Depth=2
	v_div_scale_f32 v4, null, v3, v3, v2
	v_div_scale_f32 v8, vcc_lo, v2, v3, v2
	s_mov_b32 s25, 0
	v_rcp_f32_e32 v5, v4
	v_xor_b32_e32 v4, 0x80000000, v4
	s_delay_alu instid0(TRANS32_DEP_1) | instid1(VALU_DEP_1)
	v_fma_f32 v7, v4, v5, 1.0
	s_delay_alu instid0(VALU_DEP_1) | instskip(NEXT) | instid1(VALU_DEP_1)
	v_fmac_f32_e32 v5, v7, v5
	v_mul_f32_e32 v7, v8, v5
	s_delay_alu instid0(VALU_DEP_1) | instskip(NEXT) | instid1(VALU_DEP_1)
	v_fma_f32 v9, v4, v7, v8
	v_fmac_f32_e32 v7, v9, v5
	s_delay_alu instid0(VALU_DEP_1) | instskip(SKIP_1) | instid1(VALU_DEP_1)
	v_fmac_f32_e32 v8, v4, v7
	s_wait_alu 0xfffd
	v_div_fmas_f32 v4, v8, v5, v7
	s_delay_alu instid0(VALU_DEP_1) | instskip(NEXT) | instid1(VALU_DEP_1)
	v_div_fixup_f32 v4, v4, v3, v2
	v_fma_f32 v5, v2, v4, v3
	s_delay_alu instid0(VALU_DEP_1) | instskip(SKIP_1) | instid1(VALU_DEP_2)
	v_div_scale_f32 v7, null, v5, v5, 1.0
	v_div_scale_f32 v10, vcc_lo, 1.0, v5, 1.0
	v_rcp_f32_e32 v8, v7
	v_xor_b32_e32 v7, 0x80000000, v7
	s_delay_alu instid0(TRANS32_DEP_1) | instid1(VALU_DEP_1)
	v_fma_f32 v9, v7, v8, 1.0
	s_delay_alu instid0(VALU_DEP_1) | instskip(NEXT) | instid1(VALU_DEP_1)
	v_fmac_f32_e32 v8, v9, v8
	v_mul_f32_e32 v9, v10, v8
	s_delay_alu instid0(VALU_DEP_1) | instskip(NEXT) | instid1(VALU_DEP_1)
	v_fma_f32 v11, v7, v9, v10
	v_fmac_f32_e32 v9, v11, v8
	s_delay_alu instid0(VALU_DEP_1) | instskip(SKIP_1) | instid1(VALU_DEP_1)
	v_fmac_f32_e32 v10, v7, v9
	s_wait_alu 0xfffd
	v_div_fmas_f32 v7, v10, v8, v9
	v_fma_f32 v8, v0, v4, v1
	s_delay_alu instid0(VALU_DEP_2) | instskip(SKIP_1) | instid1(VALU_DEP_2)
	v_div_fixup_f32 v5, v7, v5, 1.0
	v_fma_f32 v7, v1, v4, -v0
	v_mul_f32_e32 v4, v8, v5
	s_delay_alu instid0(VALU_DEP_2)
	v_mul_f32_e32 v5, v7, v5
.LBB137_101:                            ;   in Loop: Header=BB137_97 Depth=2
	s_wait_alu 0xfffe
	s_and_not1_b32 vcc_lo, exec_lo, s25
	s_wait_alu 0xfffe
	s_cbranch_vccnz .LBB137_96
; %bb.102:                              ;   in Loop: Header=BB137_97 Depth=2
	v_div_scale_f32 v4, null, v2, v2, v3
	v_div_scale_f32 v8, vcc_lo, v3, v2, v3
	s_delay_alu instid0(VALU_DEP_2)
	v_rcp_f32_e32 v5, v4
	v_xor_b32_e32 v4, 0x80000000, v4
	s_delay_alu instid0(TRANS32_DEP_1) | instid1(VALU_DEP_1)
	v_fma_f32 v7, v4, v5, 1.0
	s_delay_alu instid0(VALU_DEP_1) | instskip(NEXT) | instid1(VALU_DEP_1)
	v_fmac_f32_e32 v5, v7, v5
	v_mul_f32_e32 v7, v8, v5
	s_delay_alu instid0(VALU_DEP_1) | instskip(NEXT) | instid1(VALU_DEP_1)
	v_fma_f32 v9, v4, v7, v8
	v_fmac_f32_e32 v7, v9, v5
	s_delay_alu instid0(VALU_DEP_1) | instskip(SKIP_1) | instid1(VALU_DEP_1)
	v_fmac_f32_e32 v8, v4, v7
	s_wait_alu 0xfffd
	v_div_fmas_f32 v4, v8, v5, v7
	s_delay_alu instid0(VALU_DEP_1) | instskip(NEXT) | instid1(VALU_DEP_1)
	v_div_fixup_f32 v4, v4, v2, v3
	v_fmac_f32_e32 v2, v3, v4
	s_delay_alu instid0(VALU_DEP_1) | instskip(SKIP_1) | instid1(VALU_DEP_2)
	v_div_scale_f32 v3, null, v2, v2, 1.0
	v_div_scale_f32 v8, vcc_lo, 1.0, v2, 1.0
	v_rcp_f32_e32 v5, v3
	v_xor_b32_e32 v3, 0x80000000, v3
	s_delay_alu instid0(TRANS32_DEP_1) | instid1(VALU_DEP_1)
	v_fma_f32 v7, v3, v5, 1.0
	s_delay_alu instid0(VALU_DEP_1) | instskip(NEXT) | instid1(VALU_DEP_1)
	v_fmac_f32_e32 v5, v7, v5
	v_mul_f32_e32 v7, v8, v5
	s_delay_alu instid0(VALU_DEP_1) | instskip(NEXT) | instid1(VALU_DEP_1)
	v_fma_f32 v9, v3, v7, v8
	v_fmac_f32_e32 v7, v9, v5
	s_delay_alu instid0(VALU_DEP_1) | instskip(SKIP_1) | instid1(VALU_DEP_1)
	v_fmac_f32_e32 v8, v3, v7
	s_wait_alu 0xfffd
	v_div_fmas_f32 v3, v8, v5, v7
	v_fma_f32 v5, v1, v4, v0
	v_fma_f32 v0, -v0, v4, v1
	s_delay_alu instid0(VALU_DEP_3) | instskip(NEXT) | instid1(VALU_DEP_1)
	v_div_fixup_f32 v2, v3, v2, 1.0
	v_mul_f32_e32 v4, v5, v2
	s_delay_alu instid0(VALU_DEP_3)
	v_mul_f32_e32 v5, v0, v2
	s_branch .LBB137_96
.LBB137_103:                            ;   in Loop: Header=BB137_3 Depth=1
	s_mov_b32 s14, 0
.LBB137_104:                            ;   in Loop: Header=BB137_3 Depth=1
	s_wait_alu 0xfffe
	s_and_not1_b32 vcc_lo, exec_lo, s14
	s_wait_alu 0xfffe
	s_cbranch_vccnz .LBB137_132
; %bb.105:                              ;   in Loop: Header=BB137_3 Depth=1
	s_and_not1_b32 vcc_lo, exec_lo, s31
	s_mov_b32 s14, 0
	s_wait_alu 0xfffe
	s_cbranch_vccnz .LBB137_123
; %bb.106:                              ;   in Loop: Header=BB137_3 Depth=1
	ds_load_b64 v[8:9], v13
	ds_load_2addr_b64 v[4:7], v19 offset1:4
	ds_load_2addr_b64 v[0:3], v19 offset0:8 offset1:12
	s_mov_b32 s14, -1
                                        ; implicit-def: $vgpr17
	s_wait_dscnt 0x2
	v_and_b32_e32 v10, 0x7fffffff, v8
	v_and_b32_e32 v11, 0x7fffffff, v9
	s_delay_alu instid0(VALU_DEP_1)
	v_cmp_ngt_f32_e32 vcc_lo, v10, v11
	s_cbranch_vccz .LBB137_108
; %bb.107:                              ;   in Loop: Header=BB137_3 Depth=1
	v_div_scale_f32 v10, null, v9, v9, v8
	v_div_scale_f32 v17, vcc_lo, v8, v9, v8
	s_mov_b32 s14, 0
	v_rcp_f32_e32 v11, v10
	v_xor_b32_e32 v10, 0x80000000, v10
	s_delay_alu instid0(TRANS32_DEP_1) | instid1(VALU_DEP_1)
	v_fma_f32 v16, v10, v11, 1.0
	s_delay_alu instid0(VALU_DEP_1) | instskip(NEXT) | instid1(VALU_DEP_1)
	v_fmac_f32_e32 v11, v16, v11
	v_mul_f32_e32 v16, v17, v11
	s_delay_alu instid0(VALU_DEP_1) | instskip(NEXT) | instid1(VALU_DEP_1)
	v_fma_f32 v32, v10, v16, v17
	v_fmac_f32_e32 v16, v32, v11
	s_delay_alu instid0(VALU_DEP_1) | instskip(SKIP_1) | instid1(VALU_DEP_1)
	v_fmac_f32_e32 v17, v10, v16
	s_wait_alu 0xfffd
	v_div_fmas_f32 v10, v17, v11, v16
	s_delay_alu instid0(VALU_DEP_1) | instskip(NEXT) | instid1(VALU_DEP_1)
	v_div_fixup_f32 v10, v10, v9, v8
	v_fma_f32 v11, v8, v10, v9
	s_delay_alu instid0(VALU_DEP_1) | instskip(SKIP_1) | instid1(VALU_DEP_2)
	v_div_scale_f32 v16, null, v11, v11, 1.0
	v_div_scale_f32 v33, vcc_lo, 1.0, v11, 1.0
	v_rcp_f32_e32 v17, v16
	v_xor_b32_e32 v16, 0x80000000, v16
	s_delay_alu instid0(TRANS32_DEP_1) | instid1(VALU_DEP_1)
	v_fma_f32 v32, v16, v17, 1.0
	s_delay_alu instid0(VALU_DEP_1) | instskip(NEXT) | instid1(VALU_DEP_1)
	v_fmac_f32_e32 v17, v32, v17
	v_mul_f32_e32 v32, v33, v17
	s_delay_alu instid0(VALU_DEP_1) | instskip(NEXT) | instid1(VALU_DEP_1)
	v_fma_f32 v34, v16, v32, v33
	v_fmac_f32_e32 v32, v34, v17
	s_delay_alu instid0(VALU_DEP_1) | instskip(SKIP_1) | instid1(VALU_DEP_1)
	v_fmac_f32_e32 v33, v16, v32
	s_wait_alu 0xfffd
	v_div_fmas_f32 v16, v33, v17, v32
	s_wait_dscnt 0x1
	v_fma_f32 v17, v4, v10, v5
	v_fma_f32 v10, v5, v10, -v4
	s_delay_alu instid0(VALU_DEP_3) | instskip(NEXT) | instid1(VALU_DEP_1)
	v_div_fixup_f32 v11, v16, v11, 1.0
	v_mul_f32_e32 v16, v17, v11
	s_delay_alu instid0(VALU_DEP_3)
	v_mul_f32_e32 v17, v10, v11
.LBB137_108:                            ;   in Loop: Header=BB137_3 Depth=1
	s_wait_alu 0xfffe
	s_and_not1_b32 vcc_lo, exec_lo, s14
	s_wait_alu 0xfffe
	s_cbranch_vccnz .LBB137_110
; %bb.109:                              ;   in Loop: Header=BB137_3 Depth=1
	v_div_scale_f32 v10, null, v8, v8, v9
	v_div_scale_f32 v17, vcc_lo, v9, v8, v9
	s_delay_alu instid0(VALU_DEP_2)
	v_rcp_f32_e32 v11, v10
	v_xor_b32_e32 v10, 0x80000000, v10
	s_delay_alu instid0(TRANS32_DEP_1) | instid1(VALU_DEP_1)
	v_fma_f32 v16, v10, v11, 1.0
	s_delay_alu instid0(VALU_DEP_1) | instskip(NEXT) | instid1(VALU_DEP_1)
	v_fmac_f32_e32 v11, v16, v11
	v_mul_f32_e32 v16, v17, v11
	s_delay_alu instid0(VALU_DEP_1) | instskip(NEXT) | instid1(VALU_DEP_1)
	v_fma_f32 v32, v10, v16, v17
	v_fmac_f32_e32 v16, v32, v11
	s_delay_alu instid0(VALU_DEP_1) | instskip(SKIP_1) | instid1(VALU_DEP_1)
	v_fmac_f32_e32 v17, v10, v16
	s_wait_alu 0xfffd
	v_div_fmas_f32 v10, v17, v11, v16
	s_delay_alu instid0(VALU_DEP_1) | instskip(NEXT) | instid1(VALU_DEP_1)
	v_div_fixup_f32 v10, v10, v8, v9
	v_fmac_f32_e32 v8, v9, v10
	s_delay_alu instid0(VALU_DEP_1) | instskip(SKIP_1) | instid1(VALU_DEP_2)
	v_div_scale_f32 v9, null, v8, v8, 1.0
	v_div_scale_f32 v17, vcc_lo, 1.0, v8, 1.0
	v_rcp_f32_e32 v11, v9
	v_xor_b32_e32 v9, 0x80000000, v9
	s_delay_alu instid0(TRANS32_DEP_1) | instid1(VALU_DEP_1)
	v_fma_f32 v16, v9, v11, 1.0
	s_delay_alu instid0(VALU_DEP_1) | instskip(NEXT) | instid1(VALU_DEP_1)
	v_fmac_f32_e32 v11, v16, v11
	v_mul_f32_e32 v16, v17, v11
	s_delay_alu instid0(VALU_DEP_1) | instskip(NEXT) | instid1(VALU_DEP_1)
	v_fma_f32 v32, v9, v16, v17
	v_fmac_f32_e32 v16, v32, v11
	s_delay_alu instid0(VALU_DEP_1) | instskip(SKIP_1) | instid1(VALU_DEP_1)
	v_fmac_f32_e32 v17, v9, v16
	s_wait_alu 0xfffd
	v_div_fmas_f32 v9, v17, v11, v16
	s_wait_dscnt 0x1
	v_fma_f32 v11, v5, v10, v4
	v_fma_f32 v4, -v4, v10, v5
	s_delay_alu instid0(VALU_DEP_3) | instskip(NEXT) | instid1(VALU_DEP_1)
	v_div_fixup_f32 v8, v9, v8, 1.0
	v_mul_f32_e32 v16, v11, v8
	s_delay_alu instid0(VALU_DEP_3)
	v_mul_f32_e32 v17, v4, v8
.LBB137_110:                            ;   in Loop: Header=BB137_3 Depth=1
	ds_load_b128 v[8:11], v13 offset:32
	s_mov_b32 s14, -1
	ds_store_b64 v19, v[16:17]
	s_wait_dscnt 0x1
	v_mul_f32_e32 v4, v17, v9
	v_dual_mul_f32 v5, v16, v9 :: v_dual_and_b32 v32, 0x7fffffff, v11
	v_and_b32_e32 v9, 0x7fffffff, v10
	s_delay_alu instid0(VALU_DEP_3) | instskip(NEXT) | instid1(VALU_DEP_3)
	v_fma_f32 v4, v16, v8, -v4
	v_fmac_f32_e32 v5, v17, v8
	s_delay_alu instid0(VALU_DEP_3) | instskip(NEXT) | instid1(VALU_DEP_2)
	v_cmp_ngt_f32_e32 vcc_lo, v9, v32
                                        ; implicit-def: $vgpr9
	v_dual_sub_f32 v4, v6, v4 :: v_dual_sub_f32 v5, v7, v5
	s_cbranch_vccz .LBB137_112
; %bb.111:                              ;   in Loop: Header=BB137_3 Depth=1
	v_div_scale_f32 v6, null, v11, v11, v10
	v_div_scale_f32 v9, vcc_lo, v10, v11, v10
	s_mov_b32 s14, 0
	v_rcp_f32_e32 v7, v6
	v_xor_b32_e32 v6, 0x80000000, v6
	s_delay_alu instid0(TRANS32_DEP_1) | instid1(VALU_DEP_1)
	v_fma_f32 v8, v6, v7, 1.0
	s_delay_alu instid0(VALU_DEP_1) | instskip(NEXT) | instid1(VALU_DEP_1)
	v_fmac_f32_e32 v7, v8, v7
	v_mul_f32_e32 v8, v9, v7
	s_delay_alu instid0(VALU_DEP_1) | instskip(NEXT) | instid1(VALU_DEP_1)
	v_fma_f32 v32, v6, v8, v9
	v_fmac_f32_e32 v8, v32, v7
	s_delay_alu instid0(VALU_DEP_1) | instskip(SKIP_1) | instid1(VALU_DEP_1)
	v_fmac_f32_e32 v9, v6, v8
	s_wait_alu 0xfffd
	v_div_fmas_f32 v6, v9, v7, v8
	s_delay_alu instid0(VALU_DEP_1) | instskip(NEXT) | instid1(VALU_DEP_1)
	v_div_fixup_f32 v6, v6, v11, v10
	v_fma_f32 v7, v10, v6, v11
	s_delay_alu instid0(VALU_DEP_1) | instskip(SKIP_1) | instid1(VALU_DEP_2)
	v_div_scale_f32 v8, null, v7, v7, 1.0
	v_div_scale_f32 v33, vcc_lo, 1.0, v7, 1.0
	v_rcp_f32_e32 v9, v8
	v_xor_b32_e32 v8, 0x80000000, v8
	s_delay_alu instid0(TRANS32_DEP_1) | instid1(VALU_DEP_1)
	v_fma_f32 v32, v8, v9, 1.0
	s_delay_alu instid0(VALU_DEP_1) | instskip(NEXT) | instid1(VALU_DEP_1)
	v_fmac_f32_e32 v9, v32, v9
	v_mul_f32_e32 v32, v33, v9
	s_delay_alu instid0(VALU_DEP_1) | instskip(NEXT) | instid1(VALU_DEP_1)
	v_fma_f32 v34, v8, v32, v33
	v_fmac_f32_e32 v32, v34, v9
	s_delay_alu instid0(VALU_DEP_1) | instskip(SKIP_1) | instid1(VALU_DEP_1)
	v_fmac_f32_e32 v33, v8, v32
	s_wait_alu 0xfffd
	v_div_fmas_f32 v8, v33, v9, v32
	v_fma_f32 v9, v6, v4, v5
	v_fma_f32 v6, v6, v5, -v4
	s_delay_alu instid0(VALU_DEP_3) | instskip(NEXT) | instid1(VALU_DEP_1)
	v_div_fixup_f32 v7, v8, v7, 1.0
	v_mul_f32_e32 v8, v9, v7
	s_delay_alu instid0(VALU_DEP_3)
	v_mul_f32_e32 v9, v6, v7
.LBB137_112:                            ;   in Loop: Header=BB137_3 Depth=1
	s_wait_alu 0xfffe
	s_and_not1_b32 vcc_lo, exec_lo, s14
	s_wait_alu 0xfffe
	s_cbranch_vccnz .LBB137_114
; %bb.113:                              ;   in Loop: Header=BB137_3 Depth=1
	v_div_scale_f32 v6, null, v10, v10, v11
	v_div_scale_f32 v9, vcc_lo, v11, v10, v11
	s_delay_alu instid0(VALU_DEP_2)
	v_rcp_f32_e32 v7, v6
	v_xor_b32_e32 v6, 0x80000000, v6
	s_delay_alu instid0(TRANS32_DEP_1) | instid1(VALU_DEP_1)
	v_fma_f32 v8, v6, v7, 1.0
	s_delay_alu instid0(VALU_DEP_1) | instskip(NEXT) | instid1(VALU_DEP_1)
	v_fmac_f32_e32 v7, v8, v7
	v_mul_f32_e32 v8, v9, v7
	s_delay_alu instid0(VALU_DEP_1) | instskip(NEXT) | instid1(VALU_DEP_1)
	v_fma_f32 v32, v6, v8, v9
	v_fmac_f32_e32 v8, v32, v7
	s_delay_alu instid0(VALU_DEP_1) | instskip(SKIP_1) | instid1(VALU_DEP_1)
	v_fmac_f32_e32 v9, v6, v8
	s_wait_alu 0xfffd
	v_div_fmas_f32 v6, v9, v7, v8
	s_delay_alu instid0(VALU_DEP_1) | instskip(NEXT) | instid1(VALU_DEP_1)
	v_div_fixup_f32 v6, v6, v10, v11
	v_fmac_f32_e32 v10, v11, v6
	s_delay_alu instid0(VALU_DEP_1) | instskip(SKIP_1) | instid1(VALU_DEP_2)
	v_div_scale_f32 v7, null, v10, v10, 1.0
	v_div_scale_f32 v11, vcc_lo, 1.0, v10, 1.0
	v_rcp_f32_e32 v8, v7
	v_xor_b32_e32 v7, 0x80000000, v7
	s_delay_alu instid0(TRANS32_DEP_1) | instid1(VALU_DEP_1)
	v_fma_f32 v9, v7, v8, 1.0
	s_delay_alu instid0(VALU_DEP_1) | instskip(NEXT) | instid1(VALU_DEP_1)
	v_fmac_f32_e32 v8, v9, v8
	v_mul_f32_e32 v9, v11, v8
	s_delay_alu instid0(VALU_DEP_1) | instskip(NEXT) | instid1(VALU_DEP_1)
	v_fma_f32 v32, v7, v9, v11
	v_fmac_f32_e32 v9, v32, v8
	s_delay_alu instid0(VALU_DEP_1) | instskip(SKIP_1) | instid1(VALU_DEP_1)
	v_fmac_f32_e32 v11, v7, v9
	s_wait_alu 0xfffd
	v_div_fmas_f32 v7, v11, v8, v9
	v_fma_f32 v8, v6, v5, v4
	v_fma_f32 v4, -v6, v4, v5
	s_delay_alu instid0(VALU_DEP_3) | instskip(NEXT) | instid1(VALU_DEP_1)
	v_div_fixup_f32 v7, v7, v10, 1.0
	v_mul_f32_e32 v8, v8, v7
	s_delay_alu instid0(VALU_DEP_3)
	v_mul_f32_e32 v9, v4, v7
.LBB137_114:                            ;   in Loop: Header=BB137_3 Depth=1
	ds_load_b128 v[32:35], v13 offset:64
	ds_load_b64 v[4:5], v13 offset:80
	s_mov_b32 s14, -1
	ds_store_b64 v19, v[8:9] offset:32
	s_wait_dscnt 0x2
	v_dual_mul_f32 v6, v17, v33 :: v_dual_mul_f32 v11, v8, v35
	v_dual_mul_f32 v7, v16, v33 :: v_dual_mul_f32 v10, v9, v35
	s_delay_alu instid0(VALU_DEP_2) | instskip(SKIP_2) | instid1(VALU_DEP_3)
	v_fma_f32 v6, v16, v32, -v6
	s_wait_dscnt 0x1
	v_and_b32_e32 v33, 0x7fffffff, v4
	v_dual_fmac_f32 v7, v17, v32 :: v_dual_and_b32 v32, 0x7fffffff, v5
	v_fma_f32 v10, v8, v34, -v10
	v_fmac_f32_e32 v11, v9, v34
	s_delay_alu instid0(VALU_DEP_3) | instskip(NEXT) | instid1(VALU_DEP_4)
	v_dual_sub_f32 v0, v0, v6 :: v_dual_sub_f32 v1, v1, v7
	v_cmp_ngt_f32_e32 vcc_lo, v33, v32
	s_delay_alu instid0(VALU_DEP_2)
	v_dual_sub_f32 v6, v0, v10 :: v_dual_sub_f32 v7, v1, v11
                                        ; implicit-def: $vgpr1
	s_cbranch_vccz .LBB137_116
; %bb.115:                              ;   in Loop: Header=BB137_3 Depth=1
	v_div_scale_f32 v0, null, v5, v5, v4
	v_div_scale_f32 v11, vcc_lo, v4, v5, v4
	s_mov_b32 s14, 0
	v_rcp_f32_e32 v1, v0
	v_xor_b32_e32 v0, 0x80000000, v0
	s_delay_alu instid0(TRANS32_DEP_1) | instid1(VALU_DEP_1)
	v_fma_f32 v10, v0, v1, 1.0
	s_delay_alu instid0(VALU_DEP_1) | instskip(NEXT) | instid1(VALU_DEP_1)
	v_fmac_f32_e32 v1, v10, v1
	v_mul_f32_e32 v10, v11, v1
	s_delay_alu instid0(VALU_DEP_1) | instskip(NEXT) | instid1(VALU_DEP_1)
	v_fma_f32 v32, v0, v10, v11
	v_fmac_f32_e32 v10, v32, v1
	s_delay_alu instid0(VALU_DEP_1) | instskip(SKIP_1) | instid1(VALU_DEP_1)
	v_fmac_f32_e32 v11, v0, v10
	s_wait_alu 0xfffd
	v_div_fmas_f32 v0, v11, v1, v10
	s_delay_alu instid0(VALU_DEP_1) | instskip(NEXT) | instid1(VALU_DEP_1)
	v_div_fixup_f32 v0, v0, v5, v4
	v_fma_f32 v1, v4, v0, v5
	s_delay_alu instid0(VALU_DEP_1) | instskip(SKIP_1) | instid1(VALU_DEP_2)
	v_div_scale_f32 v10, null, v1, v1, 1.0
	v_div_scale_f32 v33, vcc_lo, 1.0, v1, 1.0
	v_rcp_f32_e32 v11, v10
	v_xor_b32_e32 v10, 0x80000000, v10
	s_delay_alu instid0(TRANS32_DEP_1) | instid1(VALU_DEP_1)
	v_fma_f32 v32, v10, v11, 1.0
	s_delay_alu instid0(VALU_DEP_1) | instskip(NEXT) | instid1(VALU_DEP_1)
	v_fmac_f32_e32 v11, v32, v11
	v_mul_f32_e32 v32, v33, v11
	s_delay_alu instid0(VALU_DEP_1) | instskip(NEXT) | instid1(VALU_DEP_1)
	v_fma_f32 v34, v10, v32, v33
	v_fmac_f32_e32 v32, v34, v11
	s_delay_alu instid0(VALU_DEP_1) | instskip(SKIP_1) | instid1(VALU_DEP_1)
	v_fmac_f32_e32 v33, v10, v32
	s_wait_alu 0xfffd
	v_div_fmas_f32 v10, v33, v11, v32
	v_fma_f32 v11, v0, v6, v7
	s_delay_alu instid0(VALU_DEP_2) | instskip(SKIP_1) | instid1(VALU_DEP_2)
	v_div_fixup_f32 v1, v10, v1, 1.0
	v_fma_f32 v10, v0, v7, -v6
	v_mul_f32_e32 v0, v11, v1
	s_delay_alu instid0(VALU_DEP_2)
	v_mul_f32_e32 v1, v10, v1
.LBB137_116:                            ;   in Loop: Header=BB137_3 Depth=1
	s_wait_alu 0xfffe
	s_and_not1_b32 vcc_lo, exec_lo, s14
	s_wait_alu 0xfffe
	s_cbranch_vccnz .LBB137_118
; %bb.117:                              ;   in Loop: Header=BB137_3 Depth=1
	v_div_scale_f32 v0, null, v4, v4, v5
	v_div_scale_f32 v11, vcc_lo, v5, v4, v5
	s_delay_alu instid0(VALU_DEP_2)
	v_rcp_f32_e32 v1, v0
	v_xor_b32_e32 v0, 0x80000000, v0
	s_delay_alu instid0(TRANS32_DEP_1) | instid1(VALU_DEP_1)
	v_fma_f32 v10, v0, v1, 1.0
	s_delay_alu instid0(VALU_DEP_1) | instskip(NEXT) | instid1(VALU_DEP_1)
	v_fmac_f32_e32 v1, v10, v1
	v_mul_f32_e32 v10, v11, v1
	s_delay_alu instid0(VALU_DEP_1) | instskip(NEXT) | instid1(VALU_DEP_1)
	v_fma_f32 v32, v0, v10, v11
	v_fmac_f32_e32 v10, v32, v1
	s_delay_alu instid0(VALU_DEP_1) | instskip(SKIP_1) | instid1(VALU_DEP_1)
	v_fmac_f32_e32 v11, v0, v10
	s_wait_alu 0xfffd
	v_div_fmas_f32 v0, v11, v1, v10
	s_delay_alu instid0(VALU_DEP_1) | instskip(NEXT) | instid1(VALU_DEP_1)
	v_div_fixup_f32 v0, v0, v4, v5
	v_fmac_f32_e32 v4, v5, v0
	s_delay_alu instid0(VALU_DEP_1) | instskip(SKIP_1) | instid1(VALU_DEP_2)
	v_div_scale_f32 v1, null, v4, v4, 1.0
	v_div_scale_f32 v11, vcc_lo, 1.0, v4, 1.0
	v_rcp_f32_e32 v5, v1
	v_xor_b32_e32 v1, 0x80000000, v1
	s_delay_alu instid0(TRANS32_DEP_1) | instid1(VALU_DEP_1)
	v_fma_f32 v10, v1, v5, 1.0
	s_delay_alu instid0(VALU_DEP_1) | instskip(NEXT) | instid1(VALU_DEP_1)
	v_fmac_f32_e32 v5, v10, v5
	v_mul_f32_e32 v10, v11, v5
	s_delay_alu instid0(VALU_DEP_1) | instskip(NEXT) | instid1(VALU_DEP_1)
	v_fma_f32 v32, v1, v10, v11
	v_fmac_f32_e32 v10, v32, v5
	s_delay_alu instid0(VALU_DEP_1) | instskip(SKIP_1) | instid1(VALU_DEP_1)
	v_fmac_f32_e32 v11, v1, v10
	s_wait_alu 0xfffd
	v_div_fmas_f32 v1, v11, v5, v10
	v_fma_f32 v5, v0, v7, v6
	s_delay_alu instid0(VALU_DEP_2) | instskip(SKIP_1) | instid1(VALU_DEP_2)
	v_div_fixup_f32 v1, v1, v4, 1.0
	v_fma_f32 v4, -v0, v6, v7
	v_mul_f32_e32 v0, v5, v1
	s_delay_alu instid0(VALU_DEP_2)
	v_mul_f32_e32 v1, v4, v1
.LBB137_118:                            ;   in Loop: Header=BB137_3 Depth=1
	ds_load_b128 v[32:35], v13 offset:96
	ds_load_b128 v[4:7], v13 offset:112
	s_mov_b32 s14, -1
	ds_store_b64 v19, v[0:1] offset:64
	s_wait_dscnt 0x2
	v_mul_f32_e32 v10, v17, v33
	v_mul_f32_e32 v11, v16, v33
	;; [unrolled: 1-line block ×4, first 2 shown]
	s_delay_alu instid0(VALU_DEP_4)
	v_fma_f32 v10, v16, v32, -v10
	s_wait_dscnt 0x1
	v_dual_fmac_f32 v11, v17, v32 :: v_dual_and_b32 v16, 0x7fffffff, v6
	v_mul_f32_e32 v36, v1, v5
	v_fmac_f32_e32 v35, v9, v34
	v_sub_f32_e32 v2, v2, v10
	v_fma_f32 v8, v8, v34, -v33
	v_mul_f32_e32 v5, v0, v5
	v_sub_f32_e32 v3, v3, v11
	v_and_b32_e32 v9, 0x7fffffff, v7
	v_fma_f32 v10, v0, v4, -v36
	v_sub_f32_e32 v2, v2, v8
	v_fmac_f32_e32 v5, v1, v4
	v_sub_f32_e32 v3, v3, v35
	v_cmp_ngt_f32_e32 vcc_lo, v16, v9
                                        ; implicit-def: $vgpr1
	s_delay_alu instid0(VALU_DEP_2)
	v_dual_sub_f32 v2, v2, v10 :: v_dual_sub_f32 v3, v3, v5
	s_cbranch_vccz .LBB137_120
; %bb.119:                              ;   in Loop: Header=BB137_3 Depth=1
	v_div_scale_f32 v0, null, v7, v7, v6
	v_div_scale_f32 v5, vcc_lo, v6, v7, v6
	s_mov_b32 s14, 0
	v_rcp_f32_e32 v1, v0
	v_xor_b32_e32 v0, 0x80000000, v0
	s_delay_alu instid0(TRANS32_DEP_1) | instid1(VALU_DEP_1)
	v_fma_f32 v4, v0, v1, 1.0
	s_delay_alu instid0(VALU_DEP_1) | instskip(NEXT) | instid1(VALU_DEP_1)
	v_fmac_f32_e32 v1, v4, v1
	v_mul_f32_e32 v4, v5, v1
	s_delay_alu instid0(VALU_DEP_1) | instskip(NEXT) | instid1(VALU_DEP_1)
	v_fma_f32 v8, v0, v4, v5
	v_fmac_f32_e32 v4, v8, v1
	s_delay_alu instid0(VALU_DEP_1) | instskip(SKIP_1) | instid1(VALU_DEP_1)
	v_fmac_f32_e32 v5, v0, v4
	s_wait_alu 0xfffd
	v_div_fmas_f32 v0, v5, v1, v4
	s_delay_alu instid0(VALU_DEP_1) | instskip(NEXT) | instid1(VALU_DEP_1)
	v_div_fixup_f32 v0, v0, v7, v6
	v_fma_f32 v1, v6, v0, v7
	s_delay_alu instid0(VALU_DEP_1) | instskip(SKIP_1) | instid1(VALU_DEP_2)
	v_div_scale_f32 v4, null, v1, v1, 1.0
	v_div_scale_f32 v9, vcc_lo, 1.0, v1, 1.0
	v_rcp_f32_e32 v5, v4
	v_xor_b32_e32 v4, 0x80000000, v4
	s_delay_alu instid0(TRANS32_DEP_1) | instid1(VALU_DEP_1)
	v_fma_f32 v8, v4, v5, 1.0
	s_delay_alu instid0(VALU_DEP_1) | instskip(NEXT) | instid1(VALU_DEP_1)
	v_fmac_f32_e32 v5, v8, v5
	v_mul_f32_e32 v8, v9, v5
	s_delay_alu instid0(VALU_DEP_1) | instskip(NEXT) | instid1(VALU_DEP_1)
	v_fma_f32 v10, v4, v8, v9
	v_fmac_f32_e32 v8, v10, v5
	s_delay_alu instid0(VALU_DEP_1) | instskip(SKIP_1) | instid1(VALU_DEP_1)
	v_fmac_f32_e32 v9, v4, v8
	s_wait_alu 0xfffd
	v_div_fmas_f32 v4, v9, v5, v8
	v_fma_f32 v5, v0, v2, v3
	s_delay_alu instid0(VALU_DEP_2) | instskip(SKIP_1) | instid1(VALU_DEP_2)
	v_div_fixup_f32 v1, v4, v1, 1.0
	v_fma_f32 v4, v0, v3, -v2
	v_mul_f32_e32 v0, v5, v1
	s_delay_alu instid0(VALU_DEP_2)
	v_mul_f32_e32 v1, v4, v1
.LBB137_120:                            ;   in Loop: Header=BB137_3 Depth=1
	s_wait_alu 0xfffe
	s_and_not1_b32 vcc_lo, exec_lo, s14
	s_wait_alu 0xfffe
	s_cbranch_vccnz .LBB137_122
; %bb.121:                              ;   in Loop: Header=BB137_3 Depth=1
	v_div_scale_f32 v0, null, v6, v6, v7
	v_div_scale_f32 v5, vcc_lo, v7, v6, v7
	s_delay_alu instid0(VALU_DEP_2)
	v_rcp_f32_e32 v1, v0
	v_xor_b32_e32 v0, 0x80000000, v0
	s_delay_alu instid0(TRANS32_DEP_1) | instid1(VALU_DEP_1)
	v_fma_f32 v4, v0, v1, 1.0
	s_delay_alu instid0(VALU_DEP_1) | instskip(NEXT) | instid1(VALU_DEP_1)
	v_fmac_f32_e32 v1, v4, v1
	v_mul_f32_e32 v4, v5, v1
	s_delay_alu instid0(VALU_DEP_1) | instskip(NEXT) | instid1(VALU_DEP_1)
	v_fma_f32 v8, v0, v4, v5
	v_fmac_f32_e32 v4, v8, v1
	s_delay_alu instid0(VALU_DEP_1) | instskip(SKIP_1) | instid1(VALU_DEP_1)
	v_fmac_f32_e32 v5, v0, v4
	s_wait_alu 0xfffd
	v_div_fmas_f32 v0, v5, v1, v4
	s_delay_alu instid0(VALU_DEP_1) | instskip(NEXT) | instid1(VALU_DEP_1)
	v_div_fixup_f32 v0, v0, v6, v7
	v_fmac_f32_e32 v6, v7, v0
	s_delay_alu instid0(VALU_DEP_1) | instskip(SKIP_1) | instid1(VALU_DEP_2)
	v_div_scale_f32 v1, null, v6, v6, 1.0
	v_div_scale_f32 v7, vcc_lo, 1.0, v6, 1.0
	v_rcp_f32_e32 v4, v1
	v_xor_b32_e32 v1, 0x80000000, v1
	s_delay_alu instid0(TRANS32_DEP_1) | instid1(VALU_DEP_1)
	v_fma_f32 v5, v1, v4, 1.0
	s_delay_alu instid0(VALU_DEP_1) | instskip(NEXT) | instid1(VALU_DEP_1)
	v_fmac_f32_e32 v4, v5, v4
	v_mul_f32_e32 v5, v7, v4
	s_delay_alu instid0(VALU_DEP_1) | instskip(NEXT) | instid1(VALU_DEP_1)
	v_fma_f32 v8, v1, v5, v7
	v_fmac_f32_e32 v5, v8, v4
	s_delay_alu instid0(VALU_DEP_1) | instskip(SKIP_1) | instid1(VALU_DEP_1)
	v_fmac_f32_e32 v7, v1, v5
	s_wait_alu 0xfffd
	v_div_fmas_f32 v1, v7, v4, v5
	v_fma_f32 v4, v0, v3, v2
	v_fma_f32 v2, -v0, v2, v3
	s_delay_alu instid0(VALU_DEP_3) | instskip(NEXT) | instid1(VALU_DEP_1)
	v_div_fixup_f32 v1, v1, v6, 1.0
	v_mul_f32_e32 v0, v4, v1
	s_delay_alu instid0(VALU_DEP_3)
	v_mul_f32_e32 v1, v2, v1
.LBB137_122:                            ;   in Loop: Header=BB137_3 Depth=1
	s_mov_b32 s14, 4
	ds_store_b64 v19, v[0:1] offset:96
.LBB137_123:                            ;   in Loop: Header=BB137_3 Depth=1
	s_wait_alu 0xfffe
	s_cmp_ge_i32 s14, s26
	s_cbranch_scc1 .LBB137_132
; %bb.124:                              ;   in Loop: Header=BB137_3 Depth=1
	s_lshl_b32 s15, s14, 5
	s_branch .LBB137_126
.LBB137_125:                            ;   in Loop: Header=BB137_126 Depth=2
	s_add_co_i32 s14, s14, 1
	s_add_co_i32 s15, s15, 32
	s_wait_alu 0xfffe
	s_cmp_ge_i32 s14, s26
	ds_store_b64 v6, v[4:5]
	s_cbranch_scc1 .LBB137_132
.LBB137_126:                            ;   Parent Loop BB137_3 Depth=1
                                        ; =>  This Loop Header: Depth=2
                                        ;       Child Loop BB137_127 Depth 3
	v_lshl_add_u32 v6, s14, 5, v19
	v_mov_b32_e32 v2, v19
	s_cmp_eq_u32 s14, 0
	s_wait_alu 0xfffe
	s_mov_b32 s25, s15
	s_mov_b32 s51, s14
	ds_load_b64 v[0:1], v6
	s_cbranch_scc1 .LBB137_128
.LBB137_127:                            ;   Parent Loop BB137_3 Depth=1
                                        ;     Parent Loop BB137_126 Depth=2
                                        ; =>    This Inner Loop Header: Depth=3
	s_wait_alu 0xfffe
	v_mov_b32_e32 v5, s25
	s_add_co_i32 s51, s51, -1
	s_add_co_i32 s25, s25, 8
	s_wait_alu 0xfffe
	s_cmp_eq_u32 s51, 0
	ds_load_b64 v[3:4], v2
	ds_load_b64 v[7:8], v5
	s_wait_dscnt 0x0
	v_dual_mul_f32 v5, v8, v4 :: v_dual_add_nc_u32 v2, 32, v2
	v_mul_f32_e32 v4, v7, v4
	s_delay_alu instid0(VALU_DEP_2) | instskip(NEXT) | instid1(VALU_DEP_2)
	v_fma_f32 v5, v7, v3, -v5
	v_fmac_f32_e32 v4, v8, v3
	s_delay_alu instid0(VALU_DEP_1)
	v_dual_sub_f32 v0, v0, v5 :: v_dual_sub_f32 v1, v1, v4
	s_cbranch_scc0 .LBB137_127
.LBB137_128:                            ;   in Loop: Header=BB137_126 Depth=2
	s_mul_i32 s25, s14, 40
	s_wait_alu 0xfffe
	v_mov_b32_e32 v2, s25
	s_mov_b32 s25, -1
	ds_load_b64 v[2:3], v2
	s_wait_dscnt 0x0
	v_and_b32_e32 v4, 0x7fffffff, v2
	v_and_b32_e32 v5, 0x7fffffff, v3
	s_delay_alu instid0(VALU_DEP_1)
	v_cmp_ngt_f32_e32 vcc_lo, v4, v5
                                        ; implicit-def: $vgpr4
	s_cbranch_vccz .LBB137_130
; %bb.129:                              ;   in Loop: Header=BB137_126 Depth=2
	v_div_scale_f32 v4, null, v3, v3, v2
	v_div_scale_f32 v8, vcc_lo, v2, v3, v2
	s_mov_b32 s25, 0
	v_rcp_f32_e32 v5, v4
	v_xor_b32_e32 v4, 0x80000000, v4
	s_delay_alu instid0(TRANS32_DEP_1) | instid1(VALU_DEP_1)
	v_fma_f32 v7, v4, v5, 1.0
	s_delay_alu instid0(VALU_DEP_1) | instskip(NEXT) | instid1(VALU_DEP_1)
	v_fmac_f32_e32 v5, v7, v5
	v_mul_f32_e32 v7, v8, v5
	s_delay_alu instid0(VALU_DEP_1) | instskip(NEXT) | instid1(VALU_DEP_1)
	v_fma_f32 v9, v4, v7, v8
	v_fmac_f32_e32 v7, v9, v5
	s_delay_alu instid0(VALU_DEP_1) | instskip(SKIP_1) | instid1(VALU_DEP_1)
	v_fmac_f32_e32 v8, v4, v7
	s_wait_alu 0xfffd
	v_div_fmas_f32 v4, v8, v5, v7
	s_delay_alu instid0(VALU_DEP_1) | instskip(NEXT) | instid1(VALU_DEP_1)
	v_div_fixup_f32 v4, v4, v3, v2
	v_fma_f32 v5, v2, v4, v3
	s_delay_alu instid0(VALU_DEP_1) | instskip(SKIP_1) | instid1(VALU_DEP_2)
	v_div_scale_f32 v7, null, v5, v5, 1.0
	v_div_scale_f32 v10, vcc_lo, 1.0, v5, 1.0
	v_rcp_f32_e32 v8, v7
	v_xor_b32_e32 v7, 0x80000000, v7
	s_delay_alu instid0(TRANS32_DEP_1) | instid1(VALU_DEP_1)
	v_fma_f32 v9, v7, v8, 1.0
	s_delay_alu instid0(VALU_DEP_1) | instskip(NEXT) | instid1(VALU_DEP_1)
	v_fmac_f32_e32 v8, v9, v8
	v_mul_f32_e32 v9, v10, v8
	s_delay_alu instid0(VALU_DEP_1) | instskip(NEXT) | instid1(VALU_DEP_1)
	v_fma_f32 v11, v7, v9, v10
	v_fmac_f32_e32 v9, v11, v8
	s_delay_alu instid0(VALU_DEP_1) | instskip(SKIP_1) | instid1(VALU_DEP_1)
	v_fmac_f32_e32 v10, v7, v9
	s_wait_alu 0xfffd
	v_div_fmas_f32 v7, v10, v8, v9
	v_fma_f32 v8, v0, v4, v1
	s_delay_alu instid0(VALU_DEP_2) | instskip(SKIP_1) | instid1(VALU_DEP_2)
	v_div_fixup_f32 v5, v7, v5, 1.0
	v_fma_f32 v7, v1, v4, -v0
	v_mul_f32_e32 v4, v8, v5
	s_delay_alu instid0(VALU_DEP_2)
	v_mul_f32_e32 v5, v7, v5
.LBB137_130:                            ;   in Loop: Header=BB137_126 Depth=2
	s_wait_alu 0xfffe
	s_and_not1_b32 vcc_lo, exec_lo, s25
	s_wait_alu 0xfffe
	s_cbranch_vccnz .LBB137_125
; %bb.131:                              ;   in Loop: Header=BB137_126 Depth=2
	v_div_scale_f32 v4, null, v2, v2, v3
	v_div_scale_f32 v8, vcc_lo, v3, v2, v3
	s_delay_alu instid0(VALU_DEP_2)
	v_rcp_f32_e32 v5, v4
	v_xor_b32_e32 v4, 0x80000000, v4
	s_delay_alu instid0(TRANS32_DEP_1) | instid1(VALU_DEP_1)
	v_fma_f32 v7, v4, v5, 1.0
	s_delay_alu instid0(VALU_DEP_1) | instskip(NEXT) | instid1(VALU_DEP_1)
	v_fmac_f32_e32 v5, v7, v5
	v_mul_f32_e32 v7, v8, v5
	s_delay_alu instid0(VALU_DEP_1) | instskip(NEXT) | instid1(VALU_DEP_1)
	v_fma_f32 v9, v4, v7, v8
	v_fmac_f32_e32 v7, v9, v5
	s_delay_alu instid0(VALU_DEP_1) | instskip(SKIP_1) | instid1(VALU_DEP_1)
	v_fmac_f32_e32 v8, v4, v7
	s_wait_alu 0xfffd
	v_div_fmas_f32 v4, v8, v5, v7
	s_delay_alu instid0(VALU_DEP_1) | instskip(NEXT) | instid1(VALU_DEP_1)
	v_div_fixup_f32 v4, v4, v2, v3
	v_fmac_f32_e32 v2, v3, v4
	s_delay_alu instid0(VALU_DEP_1) | instskip(SKIP_1) | instid1(VALU_DEP_2)
	v_div_scale_f32 v3, null, v2, v2, 1.0
	v_div_scale_f32 v8, vcc_lo, 1.0, v2, 1.0
	v_rcp_f32_e32 v5, v3
	v_xor_b32_e32 v3, 0x80000000, v3
	s_delay_alu instid0(TRANS32_DEP_1) | instid1(VALU_DEP_1)
	v_fma_f32 v7, v3, v5, 1.0
	s_delay_alu instid0(VALU_DEP_1) | instskip(NEXT) | instid1(VALU_DEP_1)
	v_fmac_f32_e32 v5, v7, v5
	v_mul_f32_e32 v7, v8, v5
	s_delay_alu instid0(VALU_DEP_1) | instskip(NEXT) | instid1(VALU_DEP_1)
	v_fma_f32 v9, v3, v7, v8
	v_fmac_f32_e32 v7, v9, v5
	s_delay_alu instid0(VALU_DEP_1) | instskip(SKIP_1) | instid1(VALU_DEP_1)
	v_fmac_f32_e32 v8, v3, v7
	s_wait_alu 0xfffd
	v_div_fmas_f32 v3, v8, v5, v7
	v_fma_f32 v5, v1, v4, v0
	v_fma_f32 v0, -v0, v4, v1
	s_delay_alu instid0(VALU_DEP_3) | instskip(NEXT) | instid1(VALU_DEP_1)
	v_div_fixup_f32 v2, v3, v2, 1.0
	v_mul_f32_e32 v4, v5, v2
	s_delay_alu instid0(VALU_DEP_3)
	v_mul_f32_e32 v5, v0, v2
	s_branch .LBB137_125
.LBB137_132:                            ;   in Loop: Header=BB137_3 Depth=1
	s_and_saveexec_b32 s14, s33
	s_cbranch_execz .LBB137_2
; %bb.133:                              ;   in Loop: Header=BB137_3 Depth=1
	v_add_co_u32 v0, vcc_lo, v14, s6
	s_wait_alu 0xfffd
	v_add_co_ci_u32_e64 v1, null, s7, v15, vcc_lo
	v_mov_b32_e32 v2, v19
	s_delay_alu instid0(VALU_DEP_3) | instskip(SKIP_1) | instid1(VALU_DEP_3)
	v_add_co_u32 v0, vcc_lo, v0, s20
	s_wait_alu 0xfffd
	v_add_co_ci_u32_e64 v1, null, s21, v1, vcc_lo
	s_mov_b32 s15, s16
	v_add_co_u32 v0, vcc_lo, v0, v31
	s_wait_alu 0xfffd
	v_add_co_ci_u32_e64 v1, null, 0, v1, vcc_lo
.LBB137_134:                            ;   Parent Loop BB137_3 Depth=1
                                        ; =>  This Inner Loop Header: Depth=2
	ds_load_b64 v[3:4], v2
	v_add_nc_u32_e32 v2, 32, v2
	s_wait_alu 0xfffe
	s_add_co_i32 s15, s15, -1
	s_wait_alu 0xfffe
	s_cmp_lg_u32 s15, 0
	s_wait_dscnt 0x0
	flat_store_b64 v[0:1], v[3:4]
	v_add_co_u32 v0, vcc_lo, v0, s12
	s_wait_alu 0xfffd
	v_add_co_ci_u32_e64 v1, null, s13, v1, vcc_lo
	s_cbranch_scc1 .LBB137_134
	s_branch .LBB137_2
.LBB137_135:
	s_endpgm
	.section	.rodata,"a",@progbits
	.p2align	6, 0x0
	.amdhsa_kernel _ZL31rocblas_trsm_small_right_deviceI19rocblas_complex_numIfES1_PKPKS1_PKPS1_Li4EEv13rocblas_fill_18rocblas_operation_17rocblas_diagonal_iiT0_T1_lilT2_lili
		.amdhsa_group_segment_fixed_size 256
		.amdhsa_private_segment_fixed_size 0
		.amdhsa_kernarg_size 360
		.amdhsa_user_sgpr_count 2
		.amdhsa_user_sgpr_dispatch_ptr 0
		.amdhsa_user_sgpr_queue_ptr 0
		.amdhsa_user_sgpr_kernarg_segment_ptr 1
		.amdhsa_user_sgpr_dispatch_id 0
		.amdhsa_user_sgpr_private_segment_size 0
		.amdhsa_wavefront_size32 1
		.amdhsa_uses_dynamic_stack 0
		.amdhsa_enable_private_segment 0
		.amdhsa_system_sgpr_workgroup_id_x 1
		.amdhsa_system_sgpr_workgroup_id_y 0
		.amdhsa_system_sgpr_workgroup_id_z 1
		.amdhsa_system_sgpr_workgroup_info 0
		.amdhsa_system_vgpr_workitem_id 0
		.amdhsa_next_free_vgpr 37
		.amdhsa_next_free_sgpr 54
		.amdhsa_reserve_vcc 1
		.amdhsa_float_round_mode_32 0
		.amdhsa_float_round_mode_16_64 0
		.amdhsa_float_denorm_mode_32 3
		.amdhsa_float_denorm_mode_16_64 3
		.amdhsa_fp16_overflow 0
		.amdhsa_workgroup_processor_mode 1
		.amdhsa_memory_ordered 1
		.amdhsa_forward_progress 1
		.amdhsa_inst_pref_size 112
		.amdhsa_round_robin_scheduling 0
		.amdhsa_exception_fp_ieee_invalid_op 0
		.amdhsa_exception_fp_denorm_src 0
		.amdhsa_exception_fp_ieee_div_zero 0
		.amdhsa_exception_fp_ieee_overflow 0
		.amdhsa_exception_fp_ieee_underflow 0
		.amdhsa_exception_fp_ieee_inexact 0
		.amdhsa_exception_int_div_zero 0
	.end_amdhsa_kernel
	.section	.text._ZL31rocblas_trsm_small_right_deviceI19rocblas_complex_numIfES1_PKPKS1_PKPS1_Li4EEv13rocblas_fill_18rocblas_operation_17rocblas_diagonal_iiT0_T1_lilT2_lili,"axG",@progbits,_ZL31rocblas_trsm_small_right_deviceI19rocblas_complex_numIfES1_PKPKS1_PKPS1_Li4EEv13rocblas_fill_18rocblas_operation_17rocblas_diagonal_iiT0_T1_lilT2_lili,comdat
.Lfunc_end137:
	.size	_ZL31rocblas_trsm_small_right_deviceI19rocblas_complex_numIfES1_PKPKS1_PKPS1_Li4EEv13rocblas_fill_18rocblas_operation_17rocblas_diagonal_iiT0_T1_lilT2_lili, .Lfunc_end137-_ZL31rocblas_trsm_small_right_deviceI19rocblas_complex_numIfES1_PKPKS1_PKPS1_Li4EEv13rocblas_fill_18rocblas_operation_17rocblas_diagonal_iiT0_T1_lilT2_lili
                                        ; -- End function
	.set _ZL31rocblas_trsm_small_right_deviceI19rocblas_complex_numIfES1_PKPKS1_PKPS1_Li4EEv13rocblas_fill_18rocblas_operation_17rocblas_diagonal_iiT0_T1_lilT2_lili.num_vgpr, 37
	.set _ZL31rocblas_trsm_small_right_deviceI19rocblas_complex_numIfES1_PKPKS1_PKPS1_Li4EEv13rocblas_fill_18rocblas_operation_17rocblas_diagonal_iiT0_T1_lilT2_lili.num_agpr, 0
	.set _ZL31rocblas_trsm_small_right_deviceI19rocblas_complex_numIfES1_PKPKS1_PKPS1_Li4EEv13rocblas_fill_18rocblas_operation_17rocblas_diagonal_iiT0_T1_lilT2_lili.numbered_sgpr, 54
	.set _ZL31rocblas_trsm_small_right_deviceI19rocblas_complex_numIfES1_PKPKS1_PKPS1_Li4EEv13rocblas_fill_18rocblas_operation_17rocblas_diagonal_iiT0_T1_lilT2_lili.num_named_barrier, 0
	.set _ZL31rocblas_trsm_small_right_deviceI19rocblas_complex_numIfES1_PKPKS1_PKPS1_Li4EEv13rocblas_fill_18rocblas_operation_17rocblas_diagonal_iiT0_T1_lilT2_lili.private_seg_size, 0
	.set _ZL31rocblas_trsm_small_right_deviceI19rocblas_complex_numIfES1_PKPKS1_PKPS1_Li4EEv13rocblas_fill_18rocblas_operation_17rocblas_diagonal_iiT0_T1_lilT2_lili.uses_vcc, 1
	.set _ZL31rocblas_trsm_small_right_deviceI19rocblas_complex_numIfES1_PKPKS1_PKPS1_Li4EEv13rocblas_fill_18rocblas_operation_17rocblas_diagonal_iiT0_T1_lilT2_lili.uses_flat_scratch, 0
	.set _ZL31rocblas_trsm_small_right_deviceI19rocblas_complex_numIfES1_PKPKS1_PKPS1_Li4EEv13rocblas_fill_18rocblas_operation_17rocblas_diagonal_iiT0_T1_lilT2_lili.has_dyn_sized_stack, 0
	.set _ZL31rocblas_trsm_small_right_deviceI19rocblas_complex_numIfES1_PKPKS1_PKPS1_Li4EEv13rocblas_fill_18rocblas_operation_17rocblas_diagonal_iiT0_T1_lilT2_lili.has_recursion, 0
	.set _ZL31rocblas_trsm_small_right_deviceI19rocblas_complex_numIfES1_PKPKS1_PKPS1_Li4EEv13rocblas_fill_18rocblas_operation_17rocblas_diagonal_iiT0_T1_lilT2_lili.has_indirect_call, 0
	.section	.AMDGPU.csdata,"",@progbits
; Kernel info:
; codeLenInByte = 14224
; TotalNumSgprs: 56
; NumVgprs: 37
; ScratchSize: 0
; MemoryBound: 0
; FloatMode: 240
; IeeeMode: 1
; LDSByteSize: 256 bytes/workgroup (compile time only)
; SGPRBlocks: 0
; VGPRBlocks: 4
; NumSGPRsForWavesPerEU: 56
; NumVGPRsForWavesPerEU: 37
; Occupancy: 16
; WaveLimiterHint : 0
; COMPUTE_PGM_RSRC2:SCRATCH_EN: 0
; COMPUTE_PGM_RSRC2:USER_SGPR: 2
; COMPUTE_PGM_RSRC2:TRAP_HANDLER: 0
; COMPUTE_PGM_RSRC2:TGID_X_EN: 1
; COMPUTE_PGM_RSRC2:TGID_Y_EN: 0
; COMPUTE_PGM_RSRC2:TGID_Z_EN: 1
; COMPUTE_PGM_RSRC2:TIDIG_COMP_CNT: 0
	.section	.text._ZL38rocblas_trsm_small_left_device_sharedBILi8ELi8ELb0E19rocblas_complex_numIfES1_PKPKS1_PKPS1_Ev13rocblas_fill_18rocblas_operation_17rocblas_diagonal_iiT3_T4_lilT5_lili,"axG",@progbits,_ZL38rocblas_trsm_small_left_device_sharedBILi8ELi8ELb0E19rocblas_complex_numIfES1_PKPKS1_PKPS1_Ev13rocblas_fill_18rocblas_operation_17rocblas_diagonal_iiT3_T4_lilT5_lili,comdat
	.globl	_ZL38rocblas_trsm_small_left_device_sharedBILi8ELi8ELb0E19rocblas_complex_numIfES1_PKPKS1_PKPS1_Ev13rocblas_fill_18rocblas_operation_17rocblas_diagonal_iiT3_T4_lilT5_lili ; -- Begin function _ZL38rocblas_trsm_small_left_device_sharedBILi8ELi8ELb0E19rocblas_complex_numIfES1_PKPKS1_PKPS1_Ev13rocblas_fill_18rocblas_operation_17rocblas_diagonal_iiT3_T4_lilT5_lili
	.p2align	8
	.type	_ZL38rocblas_trsm_small_left_device_sharedBILi8ELi8ELb0E19rocblas_complex_numIfES1_PKPKS1_PKPS1_Ev13rocblas_fill_18rocblas_operation_17rocblas_diagonal_iiT3_T4_lilT5_lili,@function
_ZL38rocblas_trsm_small_left_device_sharedBILi8ELi8ELb0E19rocblas_complex_numIfES1_PKPKS1_PKPS1_Ev13rocblas_fill_18rocblas_operation_17rocblas_diagonal_iiT3_T4_lilT5_lili: ; @_ZL38rocblas_trsm_small_left_device_sharedBILi8ELi8ELb0E19rocblas_complex_numIfES1_PKPKS1_PKPS1_Ev13rocblas_fill_18rocblas_operation_17rocblas_diagonal_iiT3_T4_lilT5_lili
; %bb.0:
	s_load_b32 s20, s[2:3], 0x60
	s_lshr_b32 s16, ttmp7, 16
	s_wait_kmcnt 0x0
	s_cmp_ge_u32 s16, s20
	s_cbranch_scc1 .LBB138_66
; %bb.1:
	s_clause 0x1
	s_load_b32 s18, s[2:3], 0x30
	s_load_b32 s26, s[2:3], 0x50
	s_load_b64 s[0:1], s[0:1], 0x4
	s_clause 0x2
	s_load_b128 s[12:15], s[2:3], 0x4
	s_load_b32 s17, s[2:3], 0x68
	s_load_b128 s[4:7], s[2:3], 0x20
	v_bfe_u32 v2, v0, 10, 10
	s_clause 0x1
	s_load_b128 s[8:11], s[2:3], 0x40
	s_load_b64 s[2:3], s[2:3], 0x14
	v_and_b32_e32 v1, 0x3ff, v0
	v_bfe_u32 v0, v0, 20, 10
	s_delay_alu instid0(VALU_DEP_2)
	v_lshlrev_b32_e32 v10, 3, v1
	s_wait_kmcnt 0x0
	s_ashr_i32 s19, s18, 31
	s_ashr_i32 s27, s26, 31
	s_lshr_b32 s0, s0, 16
	s_cmp_lg_u32 s12, 0x71
	v_mul_u32_u24_e32 v2, s1, v2
	s_mul_i32 s0, s0, s1
	s_cselect_b32 s1, -1, 0
	s_min_i32 s21, s14, 8
	s_wait_alu 0xfffe
	s_lshl_b32 s28, ttmp9, 3
	s_add_co_i32 s17, s17, -1
	s_add_co_i32 s22, s21, -1
	s_sub_co_i32 s15, s15, s28
	s_cmp_ge_u32 ttmp9, s17
	v_mul_u32_u24_e32 v3, s0, v1
	s_cselect_b32 s15, s15, 8
	s_ashr_i32 s29, s28, 31
	s_cmp_lg_u32 s13, 0x84
	v_cmp_gt_i32_e32 vcc_lo, s15, v1
	s_cselect_b32 s23, -1, 0
	s_cmp_gt_i32 s14, 0
	v_add3_u32 v0, v3, v2, v0
	s_cselect_b32 s17, -1, 0
	s_cmp_lg_u32 s12, 0x6f
	s_mul_u64 s[30:31], s[26:27], s[28:29]
	s_cselect_b32 s24, -1, 0
	s_lshl_b64 s[14:15], s[28:29], 3
	v_lshl_add_u32 v11, v0, 6, 0x400
	s_wait_alu 0xfffe
	v_or_b32_e32 v0, s14, v10
	s_lshl_b64 s[28:29], s[6:7], 3
	s_lshl_b64 s[6:7], s[10:11], 3
	s_lshl_b32 s12, s21, 6
	s_mov_b32 s13, 0
	v_mul_lo_u32 v7, v0, s27
	v_mad_co_u64_u32 v[4:5], null, v0, s26, s[6:7]
	v_add_co_u32 v0, s10, s28, v10
	s_delay_alu instid0(VALU_DEP_1)
	v_add_co_ci_u32_e64 v13, null, s29, 0, s10
	s_mul_i32 s10, s15, s26
	v_or_b32_e32 v14, 4, v0
	v_mov_b32_e32 v0, 1.0
	v_mad_co_i64_i32 v[2:3], null, s26, v1, 0
	v_lshlrev_b32_e32 v6, 6, v1
	v_cmp_gt_i32_e64 s0, s21, v1
	v_dual_mov_b32 v1, 0 :: v_dual_add_nc_u32 v12, 0x200, v10
	s_wait_alu 0xfffe
	v_add3_u32 v15, s10, v5, v7
	v_or_b32_e32 v16, 4, v4
	v_lshlrev_b64_e32 v[2:3], 3, v[2:3]
	v_add_nc_u32_e32 v17, v10, v6
	s_and_b32 s25, vcc_lo, s17
	s_lshl_b64 s[10:11], s[18:19], 3
	s_sub_co_i32 s26, s12, 64
	s_lshl_b64 s[14:15], s[30:31], 3
	s_branch .LBB138_3
.LBB138_2:                              ;   in Loop: Header=BB138_3 Depth=1
	s_or_b32 exec_lo, exec_lo, s12
	s_add_co_i32 s16, s16, 0x10000
	s_wait_alu 0xfffe
	s_cmp_lt_u32 s16, s20
	s_cbranch_scc0 .LBB138_66
.LBB138_3:                              ; =>This Loop Header: Depth=1
                                        ;     Child Loop BB138_6 Depth 2
                                        ;     Child Loop BB138_20 Depth 2
	;; [unrolled: 1-line block ×3, first 2 shown]
                                        ;       Child Loop BB138_27 Depth 3
                                        ;         Child Loop BB138_28 Depth 4
                                        ;         Child Loop BB138_31 Depth 4
                                        ;           Child Loop BB138_32 Depth 5
                                        ;         Child Loop BB138_36 Depth 4
                                        ;           Child Loop BB138_38 Depth 5
                                        ;     Child Loop BB138_46 Depth 2
                                        ;       Child Loop BB138_49 Depth 3
                                        ;         Child Loop BB138_50 Depth 4
                                        ;         Child Loop BB138_52 Depth 4
                                        ;           Child Loop BB138_53 Depth 5
                                        ;         Child Loop BB138_57 Depth 4
                                        ;           Child Loop BB138_59 Depth 5
                                        ;     Child Loop BB138_65 Depth 2
	s_mov_b32 s17, s13
	s_wait_alu 0xfffe
	s_lshl_b64 s[18:19], s[16:17], 3
	s_delay_alu instid0(SALU_CYCLE_1)
	s_add_nc_u64 s[28:29], s[8:9], s[18:19]
	global_load_b64 v[4:5], v1, s[28:29]
	s_and_saveexec_b32 s12, s0
	s_cbranch_execz .LBB138_18
; %bb.4:                                ;   in Loop: Header=BB138_3 Depth=1
	s_add_nc_u64 s[18:19], s[4:5], s[18:19]
	v_mov_b32_e32 v18, v10
	global_load_b64 v[6:7], v1, s[18:19]
	s_mov_b32 s17, s21
	s_wait_loadcnt 0x0
	v_add_co_u32 v6, vcc_lo, v6, v14
	s_wait_alu 0xfffd
	v_add_co_ci_u32_e64 v7, null, v7, v13, vcc_lo
	s_branch .LBB138_6
.LBB138_5:                              ;   in Loop: Header=BB138_6 Depth=2
	flat_load_b32 v8, v[6:7] offset:-4
	v_add_co_u32 v6, vcc_lo, v6, s10
	s_wait_alu 0xfffd
	v_add_co_ci_u32_e64 v7, null, s11, v7, vcc_lo
	s_add_co_i32 s17, s17, -1
	s_wait_alu 0xfffe
	s_cmp_eq_u32 s17, 0
	s_wait_loadcnt_dscnt 0x0
	ds_store_b64 v18, v[8:9]
	v_add_nc_u32_e32 v18, 64, v18
	s_cbranch_scc1 .LBB138_10
.LBB138_6:                              ;   Parent Loop BB138_3 Depth=1
                                        ; =>  This Inner Loop Header: Depth=2
	s_and_b32 vcc_lo, exec_lo, s1
	s_mov_b32 s18, -1
                                        ; implicit-def: $vgpr9
	s_wait_alu 0xfffe
	s_cbranch_vccz .LBB138_8
; %bb.7:                                ;   in Loop: Header=BB138_6 Depth=2
	flat_load_b32 v9, v[6:7]
	s_mov_b32 s18, 0
.LBB138_8:                              ;   in Loop: Header=BB138_6 Depth=2
	s_delay_alu instid0(SALU_CYCLE_1)
	s_and_not1_b32 vcc_lo, exec_lo, s18
	s_wait_alu 0xfffe
	s_cbranch_vccnz .LBB138_5
; %bb.9:                                ;   in Loop: Header=BB138_6 Depth=2
	flat_load_b32 v8, v[6:7]
	s_wait_loadcnt_dscnt 0x0
	v_xor_b32_e32 v9, 0x80000000, v8
	s_branch .LBB138_5
.LBB138_10:                             ;   in Loop: Header=BB138_3 Depth=1
	s_and_b32 vcc_lo, exec_lo, s23
	s_mov_b32 s17, -1
	s_wait_alu 0xfffe
	s_cbranch_vccz .LBB138_16
; %bb.11:                               ;   in Loop: Header=BB138_3 Depth=1
	ds_load_b64 v[6:7], v17
                                        ; implicit-def: $vgpr8
	s_wait_dscnt 0x0
	v_cmp_ngt_f32_e64 s17, |v6|, |v7|
	s_and_saveexec_b32 s18, s17
	s_delay_alu instid0(SALU_CYCLE_1)
	s_xor_b32 s17, exec_lo, s18
	s_cbranch_execz .LBB138_13
; %bb.12:                               ;   in Loop: Header=BB138_3 Depth=1
	v_div_scale_f32 v8, null, v7, v7, v6
	v_div_scale_f32 v19, vcc_lo, v6, v7, v6
	s_delay_alu instid0(VALU_DEP_2) | instskip(NEXT) | instid1(TRANS32_DEP_1)
	v_rcp_f32_e32 v9, v8
	v_fma_f32 v18, -v8, v9, 1.0
	s_delay_alu instid0(VALU_DEP_1) | instskip(NEXT) | instid1(VALU_DEP_1)
	v_fmac_f32_e32 v9, v18, v9
	v_mul_f32_e32 v18, v19, v9
	s_delay_alu instid0(VALU_DEP_1) | instskip(NEXT) | instid1(VALU_DEP_1)
	v_fma_f32 v20, -v8, v18, v19
	v_fmac_f32_e32 v18, v20, v9
	s_delay_alu instid0(VALU_DEP_1) | instskip(SKIP_1) | instid1(VALU_DEP_1)
	v_fma_f32 v8, -v8, v18, v19
	s_wait_alu 0xfffd
	v_div_fmas_f32 v8, v8, v9, v18
	s_delay_alu instid0(VALU_DEP_1) | instskip(NEXT) | instid1(VALU_DEP_1)
	v_div_fixup_f32 v8, v8, v7, v6
	v_fmac_f32_e32 v7, v6, v8
	s_delay_alu instid0(VALU_DEP_1) | instskip(SKIP_1) | instid1(VALU_DEP_2)
	v_div_scale_f32 v6, null, v7, v7, 1.0
	v_div_scale_f32 v19, vcc_lo, 1.0, v7, 1.0
	v_rcp_f32_e32 v9, v6
	s_delay_alu instid0(TRANS32_DEP_1) | instskip(NEXT) | instid1(VALU_DEP_1)
	v_fma_f32 v18, -v6, v9, 1.0
	v_fmac_f32_e32 v9, v18, v9
	s_delay_alu instid0(VALU_DEP_1) | instskip(NEXT) | instid1(VALU_DEP_1)
	v_mul_f32_e32 v18, v19, v9
	v_fma_f32 v20, -v6, v18, v19
	s_delay_alu instid0(VALU_DEP_1) | instskip(NEXT) | instid1(VALU_DEP_1)
	v_fmac_f32_e32 v18, v20, v9
	v_fma_f32 v6, -v6, v18, v19
	s_wait_alu 0xfffd
	s_delay_alu instid0(VALU_DEP_1) | instskip(SKIP_1) | instid1(VALU_DEP_2)
	v_div_fmas_f32 v6, v6, v9, v18
	v_add_f32_e32 v9, 0, v8
	v_div_fixup_f32 v6, v6, v7, 1.0
	v_fma_f32 v7, v8, 0, -1.0
	s_delay_alu instid0(VALU_DEP_2) | instskip(NEXT) | instid1(VALU_DEP_2)
	v_mul_f32_e32 v8, v9, v6
	v_mul_f32_e32 v9, v7, v6
                                        ; implicit-def: $vgpr6_vgpr7
.LBB138_13:                             ;   in Loop: Header=BB138_3 Depth=1
	s_wait_alu 0xfffe
	s_and_not1_saveexec_b32 s17, s17
	s_cbranch_execz .LBB138_15
; %bb.14:                               ;   in Loop: Header=BB138_3 Depth=1
	v_div_scale_f32 v8, null, v6, v6, v7
	v_div_scale_f32 v19, vcc_lo, v7, v6, v7
	s_delay_alu instid0(VALU_DEP_2) | instskip(NEXT) | instid1(TRANS32_DEP_1)
	v_rcp_f32_e32 v9, v8
	v_fma_f32 v18, -v8, v9, 1.0
	s_delay_alu instid0(VALU_DEP_1) | instskip(NEXT) | instid1(VALU_DEP_1)
	v_fmac_f32_e32 v9, v18, v9
	v_mul_f32_e32 v18, v19, v9
	s_delay_alu instid0(VALU_DEP_1) | instskip(NEXT) | instid1(VALU_DEP_1)
	v_fma_f32 v20, -v8, v18, v19
	v_fmac_f32_e32 v18, v20, v9
	s_delay_alu instid0(VALU_DEP_1) | instskip(SKIP_1) | instid1(VALU_DEP_1)
	v_fma_f32 v8, -v8, v18, v19
	s_wait_alu 0xfffd
	v_div_fmas_f32 v8, v8, v9, v18
	s_delay_alu instid0(VALU_DEP_1) | instskip(NEXT) | instid1(VALU_DEP_1)
	v_div_fixup_f32 v9, v8, v6, v7
	v_fmac_f32_e32 v6, v7, v9
	s_delay_alu instid0(VALU_DEP_1) | instskip(SKIP_1) | instid1(VALU_DEP_2)
	v_div_scale_f32 v7, null, v6, v6, 1.0
	v_div_scale_f32 v19, vcc_lo, 1.0, v6, 1.0
	v_rcp_f32_e32 v8, v7
	s_delay_alu instid0(TRANS32_DEP_1) | instskip(NEXT) | instid1(VALU_DEP_1)
	v_fma_f32 v18, -v7, v8, 1.0
	v_fmac_f32_e32 v8, v18, v8
	s_delay_alu instid0(VALU_DEP_1) | instskip(NEXT) | instid1(VALU_DEP_1)
	v_mul_f32_e32 v18, v19, v8
	v_fma_f32 v20, -v7, v18, v19
	s_delay_alu instid0(VALU_DEP_1) | instskip(NEXT) | instid1(VALU_DEP_1)
	v_fmac_f32_e32 v18, v20, v8
	v_fma_f32 v7, -v7, v18, v19
	s_wait_alu 0xfffd
	s_delay_alu instid0(VALU_DEP_1) | instskip(SKIP_1) | instid1(VALU_DEP_2)
	v_div_fmas_f32 v7, v7, v8, v18
	v_fma_f32 v8, v9, 0, 1.0
	v_div_fixup_f32 v6, v7, v6, 1.0
	s_delay_alu instid0(VALU_DEP_1)
	v_mul_f32_e32 v8, v8, v6
	v_mul_f32_e64 v9, -v9, v6
.LBB138_15:                             ;   in Loop: Header=BB138_3 Depth=1
	s_wait_alu 0xfffe
	s_or_b32 exec_lo, exec_lo, s17
	s_mov_b32 s17, 0
	ds_store_b64 v17, v[8:9]
.LBB138_16:                             ;   in Loop: Header=BB138_3 Depth=1
	s_wait_alu 0xfffe
	s_and_b32 vcc_lo, exec_lo, s17
	s_wait_alu 0xfffe
	s_cbranch_vccz .LBB138_18
; %bb.17:                               ;   in Loop: Header=BB138_3 Depth=1
	ds_store_b64 v17, v[0:1]
.LBB138_18:                             ;   in Loop: Header=BB138_3 Depth=1
	s_or_b32 exec_lo, exec_lo, s12
	s_and_saveexec_b32 s12, s25
	s_cbranch_execz .LBB138_21
; %bb.19:                               ;   in Loop: Header=BB138_3 Depth=1
	s_wait_loadcnt 0x0
	v_add_co_u32 v6, vcc_lo, v4, v16
	s_wait_alu 0xfffd
	v_add_co_ci_u32_e64 v7, null, v5, v15, vcc_lo
	v_mov_b32_e32 v8, v12
	s_mov_b32 s17, s21
.LBB138_20:                             ;   Parent Loop BB138_3 Depth=1
                                        ; =>  This Inner Loop Header: Depth=2
	flat_load_b64 v[18:19], v[6:7] offset:-4
	v_add_co_u32 v6, vcc_lo, v6, 8
	s_wait_alu 0xfffd
	v_add_co_ci_u32_e64 v7, null, 0, v7, vcc_lo
	s_wait_alu 0xfffe
	s_add_co_i32 s17, s17, -1
	s_wait_alu 0xfffe
	s_cmp_lg_u32 s17, 0
	s_wait_loadcnt_dscnt 0x0
	v_mul_f32_e32 v20, s2, v19
	s_delay_alu instid0(VALU_DEP_1) | instskip(NEXT) | instid1(VALU_DEP_1)
	v_dual_mul_f32 v9, s3, v19 :: v_dual_fmac_f32 v20, s3, v18
	v_fma_f32 v19, s2, v18, -v9
	ds_store_b64 v8, v[19:20]
	v_add_nc_u32_e32 v8, 64, v8
	s_cbranch_scc1 .LBB138_20
.LBB138_21:                             ;   in Loop: Header=BB138_3 Depth=1
	s_or_b32 exec_lo, exec_lo, s12
	s_delay_alu instid0(SALU_CYCLE_1)
	s_and_not1_b32 vcc_lo, exec_lo, s24
	s_mov_b32 s12, -1
	; wave barrier
	s_wait_loadcnt_dscnt 0x0
	global_inv scope:SCOPE_SE
	s_wait_alu 0xfffe
	s_cbranch_vccnz .LBB138_43
; %bb.22:                               ;   in Loop: Header=BB138_3 Depth=1
	s_mov_b32 s12, 0
	s_delay_alu instid0(SALU_CYCLE_1)
	s_mov_b32 s17, s12
	s_branch .LBB138_24
.LBB138_23:                             ;   in Loop: Header=BB138_24 Depth=2
	s_cmp_lt_i32 s17, s21
	s_cselect_b32 s18, -1, 0
	s_add_co_i32 s19, s12, 1
	s_cmp_lt_u32 s12, 2
	s_cselect_b32 s12, -1, 0
	s_delay_alu instid0(SALU_CYCLE_1) | instskip(NEXT) | instid1(SALU_CYCLE_1)
	s_and_b32 s12, s18, s12
	s_and_b32 vcc_lo, exec_lo, s12
	s_mov_b32 s12, s19
	s_wait_alu 0xfffe
	s_cbranch_vccz .LBB138_42
.LBB138_24:                             ;   Parent Loop BB138_3 Depth=1
                                        ; =>  This Loop Header: Depth=2
                                        ;       Child Loop BB138_27 Depth 3
                                        ;         Child Loop BB138_28 Depth 4
                                        ;         Child Loop BB138_31 Depth 4
                                        ;           Child Loop BB138_32 Depth 5
                                        ;         Child Loop BB138_36 Depth 4
                                        ;           Child Loop BB138_38 Depth 5
	s_getpc_b64 s[18:19]
	s_sext_i32_i16 s19, s19
	s_add_co_u32 s18, s18, __const._ZL38rocblas_trsm_small_left_device_sharedBILi8ELi8ELb0E19rocblas_complex_numIfES1_PKPKS1_PKPS1_Ev13rocblas_fill_18rocblas_operation_17rocblas_diagonal_iiT3_T4_lilT5_lili.step_sizes@rel32@lo+8
	s_add_co_ci_u32 s19, s19, __const._ZL38rocblas_trsm_small_left_device_sharedBILi8ELi8ELb0E19rocblas_complex_numIfES1_PKPKS1_PKPS1_Ev13rocblas_fill_18rocblas_operation_17rocblas_diagonal_iiT3_T4_lilT5_lili.step_sizes@rel32@hi+16
	s_lshl_b64 s[28:29], s[12:13], 2
	s_wait_alu 0xfffe
	s_add_nc_u64 s[18:19], s[18:19], s[28:29]
	s_load_b32 s18, s[18:19], 0x0
	s_wait_kmcnt 0x0
	s_add_co_i32 s19, s18, -1
	s_delay_alu instid0(SALU_CYCLE_1)
	s_add_co_i32 s27, s19, s17
	s_wait_alu 0xfffe
	s_cmp_ge_i32 s27, s21
	s_cbranch_scc1 .LBB138_23
; %bb.25:                               ;   in Loop: Header=BB138_24 Depth=2
	s_lshl_b32 s27, s17, 6
	s_max_i32 s28, s18, 1
	s_wait_alu 0xfffe
	v_add_nc_u32_e32 v8, s27, v12
	s_lshl_b32 s29, s18, 6
	s_mul_i32 s30, s17, 0x48
	s_mul_i32 s31, s18, 0x48
	s_branch .LBB138_27
.LBB138_26:                             ;   in Loop: Header=BB138_27 Depth=3
	s_add_co_i32 s17, s17, s18
	v_add_nc_u32_e32 v8, s29, v8
	s_wait_alu 0xfffe
	s_add_co_i32 s33, s19, s17
	s_add_co_i32 s27, s27, s29
	;; [unrolled: 1-line block ×3, first 2 shown]
	s_wait_alu 0xfffe
	s_cmp_ge_i32 s33, s21
	s_cbranch_scc1 .LBB138_23
.LBB138_27:                             ;   Parent Loop BB138_3 Depth=1
                                        ;     Parent Loop BB138_24 Depth=2
                                        ; =>    This Loop Header: Depth=3
                                        ;         Child Loop BB138_28 Depth 4
                                        ;         Child Loop BB138_31 Depth 4
                                        ;           Child Loop BB138_32 Depth 5
                                        ;         Child Loop BB138_36 Depth 4
                                        ;           Child Loop BB138_38 Depth 5
	v_dual_mov_b32 v6, v11 :: v_dual_mov_b32 v7, v8
	s_mov_b32 s33, s28
.LBB138_28:                             ;   Parent Loop BB138_3 Depth=1
                                        ;     Parent Loop BB138_24 Depth=2
                                        ;       Parent Loop BB138_27 Depth=3
                                        ; =>      This Inner Loop Header: Depth=4
	ds_load_b64 v[18:19], v7
	v_add_nc_u32_e32 v7, 64, v7
	s_wait_alu 0xfffe
	s_add_co_i32 s33, s33, -1
	s_wait_alu 0xfffe
	s_cmp_eq_u32 s33, 0
	s_wait_dscnt 0x0
	ds_store_b64 v6, v[18:19]
	v_add_nc_u32_e32 v6, 8, v6
	s_cbranch_scc0 .LBB138_28
; %bb.29:                               ;   in Loop: Header=BB138_27 Depth=3
	s_cmp_lt_i32 s17, 1
	s_cbranch_scc1 .LBB138_34
; %bb.30:                               ;   in Loop: Header=BB138_27 Depth=3
	s_mov_b32 s33, 0
	s_mov_b32 s34, s27
.LBB138_31:                             ;   Parent Loop BB138_3 Depth=1
                                        ;     Parent Loop BB138_24 Depth=2
                                        ;       Parent Loop BB138_27 Depth=3
                                        ; =>      This Loop Header: Depth=4
                                        ;           Child Loop BB138_32 Depth 5
	s_wait_alu 0xfffe
	v_lshl_add_u32 v6, s33, 6, v12
	v_mov_b32_e32 v9, v11
	s_mov_b32 s35, s34
	s_mov_b32 s36, s28
	ds_load_b64 v[6:7], v6
.LBB138_32:                             ;   Parent Loop BB138_3 Depth=1
                                        ;     Parent Loop BB138_24 Depth=2
                                        ;       Parent Loop BB138_27 Depth=3
                                        ;         Parent Loop BB138_31 Depth=4
                                        ; =>        This Inner Loop Header: Depth=5
	s_wait_alu 0xfffe
	v_mov_b32_e32 v18, s35
	s_add_co_i32 s36, s36, -1
	s_add_co_i32 s35, s35, 64
	s_wait_alu 0xfffe
	s_cmp_eq_u32 s36, 0
	ds_load_b64 v[18:19], v18
	ds_load_b64 v[20:21], v9
	s_wait_dscnt 0x1
	v_mul_f32_e32 v22, v19, v7
	v_mul_f32_e32 v19, v19, v6
	s_delay_alu instid0(VALU_DEP_2) | instskip(SKIP_1) | instid1(VALU_DEP_1)
	v_fma_f32 v22, v18, v6, -v22
	s_wait_dscnt 0x0
	v_dual_fmac_f32 v19, v18, v7 :: v_dual_sub_f32 v18, v20, v22
	s_delay_alu instid0(VALU_DEP_1)
	v_sub_f32_e32 v19, v21, v19
	ds_store_b64 v9, v[18:19]
	v_add_nc_u32_e32 v9, 8, v9
	s_cbranch_scc0 .LBB138_32
; %bb.33:                               ;   in Loop: Header=BB138_31 Depth=4
	s_add_co_i32 s33, s33, 1
	s_add_co_i32 s34, s34, 8
	s_wait_alu 0xfffe
	s_cmp_eq_u32 s33, s17
	s_cbranch_scc0 .LBB138_31
.LBB138_34:                             ;   in Loop: Header=BB138_27 Depth=3
	s_lshl_b32 s33, s17, 6
	s_mov_b32 s34, 0
	s_mov_b32 s35, s30
	s_branch .LBB138_36
.LBB138_35:                             ;   in Loop: Header=BB138_36 Depth=4
	s_wait_alu 0xfffe
	s_mulk_i32 s37, 0x48
	s_add_co_i32 s34, s34, 1
	s_wait_alu 0xfffe
	v_mov_b32_e32 v18, s37
	s_add_co_i32 s35, s35, 64
	s_cmp_eq_u32 s34, s28
	ds_load_b64 v[18:19], v18
	s_wait_dscnt 0x0
	v_mul_f32_e32 v20, v19, v7
	v_mul_f32_e32 v21, v18, v7
	s_delay_alu instid0(VALU_DEP_2) | instskip(NEXT) | instid1(VALU_DEP_2)
	v_fma_f32 v20, v18, v6, -v20
	v_dual_fmac_f32 v21, v19, v6 :: v_dual_add_nc_u32 v6, s36, v12
	ds_store_b64 v9, v[20:21]
	ds_store_b64 v6, v[20:21]
	s_cbranch_scc1 .LBB138_26
.LBB138_36:                             ;   Parent Loop BB138_3 Depth=1
                                        ;     Parent Loop BB138_24 Depth=2
                                        ;       Parent Loop BB138_27 Depth=3
                                        ; =>      This Loop Header: Depth=4
                                        ;           Child Loop BB138_38 Depth 5
	s_wait_alu 0xfffe
	v_lshl_add_u32 v9, s34, 3, v11
	s_cmp_lg_u32 s34, 0
	s_cbranch_scc0 .LBB138_40
; %bb.37:                               ;   in Loop: Header=BB138_36 Depth=4
	ds_load_b64 v[6:7], v9
	v_mov_b32_e32 v18, v11
	s_add_co_i32 s37, s34, s17
	s_mov_b32 s38, s35
	s_wait_alu 0xfffe
	s_lshl_b32 s36, s37, 6
	s_mov_b32 s39, s34
.LBB138_38:                             ;   Parent Loop BB138_3 Depth=1
                                        ;     Parent Loop BB138_24 Depth=2
                                        ;       Parent Loop BB138_27 Depth=3
                                        ;         Parent Loop BB138_36 Depth=4
                                        ; =>        This Inner Loop Header: Depth=5
	v_mov_b32_e32 v21, s38
	s_wait_alu 0xfffe
	s_add_co_i32 s39, s39, -1
	s_add_co_i32 s38, s38, 8
	s_wait_alu 0xfffe
	s_cmp_eq_u32 s39, 0
	ds_load_b64 v[19:20], v18
	ds_load_b64 v[21:22], v21
	s_wait_dscnt 0x0
	v_dual_mul_f32 v23, v22, v20 :: v_dual_add_nc_u32 v18, 8, v18
	v_mul_f32_e32 v20, v21, v20
	s_delay_alu instid0(VALU_DEP_2) | instskip(NEXT) | instid1(VALU_DEP_2)
	v_fma_f32 v21, v21, v19, -v23
	v_fmac_f32_e32 v20, v22, v19
	s_delay_alu instid0(VALU_DEP_1)
	v_dual_sub_f32 v6, v6, v21 :: v_dual_sub_f32 v7, v7, v20
	ds_store_b64 v9, v[6:7]
	s_cbranch_scc0 .LBB138_38
; %bb.39:                               ;   in Loop: Header=BB138_36 Depth=4
	s_branch .LBB138_35
.LBB138_40:                             ;   in Loop: Header=BB138_36 Depth=4
                                        ; implicit-def: $vgpr6
                                        ; implicit-def: $sgpr37
                                        ; implicit-def: $sgpr36
	s_cbranch_execz .LBB138_35
; %bb.41:                               ;   in Loop: Header=BB138_36 Depth=4
	ds_load_b64 v[6:7], v11
	s_mov_b32 s36, s33
	s_mov_b32 s37, s17
	s_branch .LBB138_35
.LBB138_42:                             ;   in Loop: Header=BB138_3 Depth=1
	s_mov_b32 s12, 0
.LBB138_43:                             ;   in Loop: Header=BB138_3 Depth=1
	s_delay_alu instid0(SALU_CYCLE_1)
	s_and_b32 vcc_lo, exec_lo, s12
	s_wait_alu 0xfffe
	s_cbranch_vccz .LBB138_63
; %bb.44:                               ;   in Loop: Header=BB138_3 Depth=1
	s_mov_b32 s12, 0
	s_mov_b32 s17, s22
	s_branch .LBB138_46
.LBB138_45:                             ;   in Loop: Header=BB138_46 Depth=2
	s_cmp_gt_i32 s17, -1
	s_cselect_b32 s18, -1, 0
	s_add_co_i32 s19, s12, 1
	s_cmp_lt_u32 s12, 2
	s_cselect_b32 s12, -1, 0
	s_delay_alu instid0(SALU_CYCLE_1) | instskip(NEXT) | instid1(SALU_CYCLE_1)
	s_and_b32 s12, s18, s12
	s_and_not1_b32 vcc_lo, exec_lo, s12
	s_mov_b32 s12, s19
	s_wait_alu 0xfffe
	s_cbranch_vccnz .LBB138_63
.LBB138_46:                             ;   Parent Loop BB138_3 Depth=1
                                        ; =>  This Loop Header: Depth=2
                                        ;       Child Loop BB138_49 Depth 3
                                        ;         Child Loop BB138_50 Depth 4
                                        ;         Child Loop BB138_52 Depth 4
                                        ;           Child Loop BB138_53 Depth 5
                                        ;         Child Loop BB138_57 Depth 4
                                        ;           Child Loop BB138_59 Depth 5
	s_getpc_b64 s[18:19]
	s_sext_i32_i16 s19, s19
	s_add_co_u32 s18, s18, __const._ZL38rocblas_trsm_small_left_device_sharedBILi8ELi8ELb0E19rocblas_complex_numIfES1_PKPKS1_PKPS1_Ev13rocblas_fill_18rocblas_operation_17rocblas_diagonal_iiT3_T4_lilT5_lili.step_sizes@rel32@lo+8
	s_add_co_ci_u32 s19, s19, __const._ZL38rocblas_trsm_small_left_device_sharedBILi8ELi8ELb0E19rocblas_complex_numIfES1_PKPKS1_PKPS1_Ev13rocblas_fill_18rocblas_operation_17rocblas_diagonal_iiT3_T4_lilT5_lili.step_sizes@rel32@hi+16
	s_lshl_b64 s[28:29], s[12:13], 2
	s_wait_alu 0xfffe
	s_add_nc_u64 s[18:19], s[18:19], s[28:29]
	s_load_b32 s18, s[18:19], 0x0
	s_wait_kmcnt 0x0
	s_add_co_i32 s19, s18, -1
	s_delay_alu instid0(SALU_CYCLE_1)
	s_cmp_lt_i32 s17, s19
	s_cbranch_scc1 .LBB138_45
; %bb.47:                               ;   in Loop: Header=BB138_46 Depth=2
	v_lshl_add_u32 v8, s17, 6, v12
	s_lshl_b32 s28, s18, 6
	s_lshl_b32 s29, s17, 3
	;; [unrolled: 1-line block ×3, first 2 shown]
	s_max_i32 s27, s18, 1
	s_wait_alu 0xfffe
	s_sub_co_i32 s28, 0, s28
	s_add_co_i32 s29, s26, s29
	s_sub_co_i32 s30, 0, s30
	s_mul_i32 s31, s17, 0x48
	s_mul_i32 s33, s18, 0xffffffb8
	s_branch .LBB138_49
.LBB138_48:                             ;   in Loop: Header=BB138_49 Depth=3
	v_add_nc_u32_e32 v8, s28, v8
	s_sub_co_i32 s17, s17, s18
	s_add_co_i32 s29, s29, s30
	s_add_co_i32 s31, s31, s33
	s_wait_alu 0xfffe
	s_cmp_lt_i32 s17, s19
	s_cbranch_scc1 .LBB138_45
.LBB138_49:                             ;   Parent Loop BB138_3 Depth=1
                                        ;     Parent Loop BB138_46 Depth=2
                                        ; =>    This Loop Header: Depth=3
                                        ;         Child Loop BB138_50 Depth 4
                                        ;         Child Loop BB138_52 Depth 4
                                        ;           Child Loop BB138_53 Depth 5
                                        ;         Child Loop BB138_57 Depth 4
                                        ;           Child Loop BB138_59 Depth 5
	v_dual_mov_b32 v6, v11 :: v_dual_mov_b32 v7, v8
	s_mov_b32 s34, s27
.LBB138_50:                             ;   Parent Loop BB138_3 Depth=1
                                        ;     Parent Loop BB138_46 Depth=2
                                        ;       Parent Loop BB138_49 Depth=3
                                        ; =>      This Inner Loop Header: Depth=4
	ds_load_b64 v[18:19], v7
	v_subrev_nc_u32_e32 v7, 64, v7
	s_wait_alu 0xfffe
	s_add_co_i32 s34, s34, -1
	s_wait_alu 0xfffe
	s_cmp_eq_u32 s34, 0
	s_wait_dscnt 0x0
	ds_store_b64 v6, v[18:19]
	v_add_nc_u32_e32 v6, 8, v6
	s_cbranch_scc0 .LBB138_50
; %bb.51:                               ;   in Loop: Header=BB138_49 Depth=3
	s_cmp_le_i32 s22, s17
	s_mov_b32 s34, s29
	s_mov_b32 s35, s22
	s_cbranch_scc1 .LBB138_55
.LBB138_52:                             ;   Parent Loop BB138_3 Depth=1
                                        ;     Parent Loop BB138_46 Depth=2
                                        ;       Parent Loop BB138_49 Depth=3
                                        ; =>      This Loop Header: Depth=4
                                        ;           Child Loop BB138_53 Depth 5
	s_wait_alu 0xfffe
	v_lshl_add_u32 v6, s35, 6, v12
	v_mov_b32_e32 v9, v11
	s_mov_b32 s36, s34
	s_mov_b32 s37, s27
	ds_load_b64 v[6:7], v6
.LBB138_53:                             ;   Parent Loop BB138_3 Depth=1
                                        ;     Parent Loop BB138_46 Depth=2
                                        ;       Parent Loop BB138_49 Depth=3
                                        ;         Parent Loop BB138_52 Depth=4
                                        ; =>        This Inner Loop Header: Depth=5
	s_wait_alu 0xfffe
	v_mov_b32_e32 v18, s36
	s_add_co_i32 s37, s37, -1
	s_add_co_i32 s36, s36, -8
	s_wait_alu 0xfffe
	s_cmp_eq_u32 s37, 0
	ds_load_b64 v[18:19], v18
	ds_load_b64 v[20:21], v9
	s_wait_dscnt 0x1
	v_mul_f32_e32 v22, v19, v7
	v_mul_f32_e32 v19, v19, v6
	s_delay_alu instid0(VALU_DEP_2) | instskip(SKIP_1) | instid1(VALU_DEP_1)
	v_fma_f32 v22, v18, v6, -v22
	s_wait_dscnt 0x0
	v_dual_fmac_f32 v19, v18, v7 :: v_dual_sub_f32 v18, v20, v22
	s_delay_alu instid0(VALU_DEP_1)
	v_sub_f32_e32 v19, v21, v19
	ds_store_b64 v9, v[18:19]
	v_add_nc_u32_e32 v9, 8, v9
	s_cbranch_scc0 .LBB138_53
; %bb.54:                               ;   in Loop: Header=BB138_52 Depth=4
	s_add_co_i32 s35, s35, -1
	s_sub_co_i32 s34, s34, 64
	s_wait_alu 0xfffe
	s_cmp_le_i32 s35, s17
	s_cbranch_scc0 .LBB138_52
.LBB138_55:                             ;   in Loop: Header=BB138_49 Depth=3
	s_mov_b32 s34, 0
	s_mov_b32 s35, s31
	s_branch .LBB138_57
.LBB138_56:                             ;   in Loop: Header=BB138_57 Depth=4
	s_wait_alu 0xfffe
	s_mul_i32 s37, s36, 0x48
	s_add_co_i32 s34, s34, 1
	s_wait_alu 0xfffe
	v_mov_b32_e32 v18, s37
	s_add_co_i32 s35, s35, -8
	s_cmp_eq_u32 s34, s27
	ds_load_b64 v[18:19], v18
	s_wait_dscnt 0x0
	v_mul_f32_e32 v20, v19, v7
	v_mul_f32_e32 v21, v18, v7
	s_delay_alu instid0(VALU_DEP_2) | instskip(NEXT) | instid1(VALU_DEP_2)
	v_fma_f32 v20, v18, v6, -v20
	v_fmac_f32_e32 v21, v19, v6
	v_lshl_add_u32 v6, s36, 6, v12
	ds_store_b64 v9, v[20:21]
	ds_store_b64 v6, v[20:21]
	s_cbranch_scc1 .LBB138_48
.LBB138_57:                             ;   Parent Loop BB138_3 Depth=1
                                        ;     Parent Loop BB138_46 Depth=2
                                        ;       Parent Loop BB138_49 Depth=3
                                        ; =>      This Loop Header: Depth=4
                                        ;           Child Loop BB138_59 Depth 5
	s_wait_alu 0xfffe
	v_lshl_add_u32 v9, s34, 3, v11
	s_cmp_lg_u32 s34, 0
	s_cbranch_scc0 .LBB138_61
; %bb.58:                               ;   in Loop: Header=BB138_57 Depth=4
	ds_load_b64 v[6:7], v9
	v_mov_b32_e32 v18, v11
	s_sub_co_i32 s36, s17, s34
	s_mov_b32 s37, s35
	s_mov_b32 s38, s34
.LBB138_59:                             ;   Parent Loop BB138_3 Depth=1
                                        ;     Parent Loop BB138_46 Depth=2
                                        ;       Parent Loop BB138_49 Depth=3
                                        ;         Parent Loop BB138_57 Depth=4
                                        ; =>        This Inner Loop Header: Depth=5
	s_wait_alu 0xfffe
	v_mov_b32_e32 v21, s37
	s_add_co_i32 s38, s38, -1
	s_sub_co_i32 s37, s37, 64
	s_wait_alu 0xfffe
	s_cmp_eq_u32 s38, 0
	ds_load_b64 v[19:20], v18
	ds_load_b64 v[21:22], v21
	s_wait_dscnt 0x0
	v_dual_mul_f32 v23, v22, v20 :: v_dual_add_nc_u32 v18, 8, v18
	v_mul_f32_e32 v20, v21, v20
	s_delay_alu instid0(VALU_DEP_2) | instskip(NEXT) | instid1(VALU_DEP_2)
	v_fma_f32 v21, v21, v19, -v23
	v_fmac_f32_e32 v20, v22, v19
	s_delay_alu instid0(VALU_DEP_1)
	v_dual_sub_f32 v6, v6, v21 :: v_dual_sub_f32 v7, v7, v20
	ds_store_b64 v9, v[6:7]
	s_cbranch_scc0 .LBB138_59
; %bb.60:                               ;   in Loop: Header=BB138_57 Depth=4
	s_branch .LBB138_56
.LBB138_61:                             ;   in Loop: Header=BB138_57 Depth=4
                                        ; implicit-def: $vgpr6
                                        ; implicit-def: $sgpr36
	s_cbranch_execz .LBB138_56
; %bb.62:                               ;   in Loop: Header=BB138_57 Depth=4
	ds_load_b64 v[6:7], v11
	s_mov_b32 s36, s17
	s_branch .LBB138_56
.LBB138_63:                             ;   in Loop: Header=BB138_3 Depth=1
	; wave barrier
	s_wait_loadcnt_dscnt 0x0
	global_inv scope:SCOPE_SE
	s_and_saveexec_b32 s12, s25
	s_cbranch_execz .LBB138_2
; %bb.64:                               ;   in Loop: Header=BB138_3 Depth=1
	v_add_co_u32 v4, vcc_lo, v4, s6
	s_wait_alu 0xfffd
	v_add_co_ci_u32_e64 v5, null, s7, v5, vcc_lo
	v_mov_b32_e32 v6, v12
	s_delay_alu instid0(VALU_DEP_3) | instskip(SKIP_1) | instid1(VALU_DEP_3)
	v_add_co_u32 v4, vcc_lo, v4, s14
	s_wait_alu 0xfffd
	v_add_co_ci_u32_e64 v5, null, s15, v5, vcc_lo
	s_mov_b32 s17, s21
	v_add_co_u32 v4, vcc_lo, v4, v2
	s_wait_alu 0xfffd
	v_add_co_ci_u32_e64 v5, null, v5, v3, vcc_lo
.LBB138_65:                             ;   Parent Loop BB138_3 Depth=1
                                        ; =>  This Inner Loop Header: Depth=2
	ds_load_b64 v[7:8], v6
	v_add_nc_u32_e32 v6, 64, v6
	s_wait_alu 0xfffe
	s_add_co_i32 s17, s17, -1
	s_wait_alu 0xfffe
	s_cmp_lg_u32 s17, 0
	s_wait_dscnt 0x0
	flat_store_b64 v[4:5], v[7:8]
	v_add_co_u32 v4, vcc_lo, v4, 8
	s_wait_alu 0xfffd
	v_add_co_ci_u32_e64 v5, null, 0, v5, vcc_lo
	s_cbranch_scc1 .LBB138_65
	s_branch .LBB138_2
.LBB138_66:
	s_endpgm
	.section	.rodata,"a",@progbits
	.p2align	6, 0x0
	.amdhsa_kernel _ZL38rocblas_trsm_small_left_device_sharedBILi8ELi8ELb0E19rocblas_complex_numIfES1_PKPKS1_PKPS1_Ev13rocblas_fill_18rocblas_operation_17rocblas_diagonal_iiT3_T4_lilT5_lili
		.amdhsa_group_segment_fixed_size 1536
		.amdhsa_private_segment_fixed_size 0
		.amdhsa_kernarg_size 360
		.amdhsa_user_sgpr_count 4
		.amdhsa_user_sgpr_dispatch_ptr 1
		.amdhsa_user_sgpr_queue_ptr 0
		.amdhsa_user_sgpr_kernarg_segment_ptr 1
		.amdhsa_user_sgpr_dispatch_id 0
		.amdhsa_user_sgpr_private_segment_size 0
		.amdhsa_wavefront_size32 1
		.amdhsa_uses_dynamic_stack 0
		.amdhsa_enable_private_segment 0
		.amdhsa_system_sgpr_workgroup_id_x 1
		.amdhsa_system_sgpr_workgroup_id_y 0
		.amdhsa_system_sgpr_workgroup_id_z 1
		.amdhsa_system_sgpr_workgroup_info 0
		.amdhsa_system_vgpr_workitem_id 2
		.amdhsa_next_free_vgpr 24
		.amdhsa_next_free_sgpr 40
		.amdhsa_reserve_vcc 1
		.amdhsa_float_round_mode_32 0
		.amdhsa_float_round_mode_16_64 0
		.amdhsa_float_denorm_mode_32 3
		.amdhsa_float_denorm_mode_16_64 3
		.amdhsa_fp16_overflow 0
		.amdhsa_workgroup_processor_mode 1
		.amdhsa_memory_ordered 1
		.amdhsa_forward_progress 1
		.amdhsa_inst_pref_size 24
		.amdhsa_round_robin_scheduling 0
		.amdhsa_exception_fp_ieee_invalid_op 0
		.amdhsa_exception_fp_denorm_src 0
		.amdhsa_exception_fp_ieee_div_zero 0
		.amdhsa_exception_fp_ieee_overflow 0
		.amdhsa_exception_fp_ieee_underflow 0
		.amdhsa_exception_fp_ieee_inexact 0
		.amdhsa_exception_int_div_zero 0
	.end_amdhsa_kernel
	.section	.text._ZL38rocblas_trsm_small_left_device_sharedBILi8ELi8ELb0E19rocblas_complex_numIfES1_PKPKS1_PKPS1_Ev13rocblas_fill_18rocblas_operation_17rocblas_diagonal_iiT3_T4_lilT5_lili,"axG",@progbits,_ZL38rocblas_trsm_small_left_device_sharedBILi8ELi8ELb0E19rocblas_complex_numIfES1_PKPKS1_PKPS1_Ev13rocblas_fill_18rocblas_operation_17rocblas_diagonal_iiT3_T4_lilT5_lili,comdat
.Lfunc_end138:
	.size	_ZL38rocblas_trsm_small_left_device_sharedBILi8ELi8ELb0E19rocblas_complex_numIfES1_PKPKS1_PKPS1_Ev13rocblas_fill_18rocblas_operation_17rocblas_diagonal_iiT3_T4_lilT5_lili, .Lfunc_end138-_ZL38rocblas_trsm_small_left_device_sharedBILi8ELi8ELb0E19rocblas_complex_numIfES1_PKPKS1_PKPS1_Ev13rocblas_fill_18rocblas_operation_17rocblas_diagonal_iiT3_T4_lilT5_lili
                                        ; -- End function
	.set _ZL38rocblas_trsm_small_left_device_sharedBILi8ELi8ELb0E19rocblas_complex_numIfES1_PKPKS1_PKPS1_Ev13rocblas_fill_18rocblas_operation_17rocblas_diagonal_iiT3_T4_lilT5_lili.num_vgpr, 24
	.set _ZL38rocblas_trsm_small_left_device_sharedBILi8ELi8ELb0E19rocblas_complex_numIfES1_PKPKS1_PKPS1_Ev13rocblas_fill_18rocblas_operation_17rocblas_diagonal_iiT3_T4_lilT5_lili.num_agpr, 0
	.set _ZL38rocblas_trsm_small_left_device_sharedBILi8ELi8ELb0E19rocblas_complex_numIfES1_PKPKS1_PKPS1_Ev13rocblas_fill_18rocblas_operation_17rocblas_diagonal_iiT3_T4_lilT5_lili.numbered_sgpr, 40
	.set _ZL38rocblas_trsm_small_left_device_sharedBILi8ELi8ELb0E19rocblas_complex_numIfES1_PKPKS1_PKPS1_Ev13rocblas_fill_18rocblas_operation_17rocblas_diagonal_iiT3_T4_lilT5_lili.num_named_barrier, 0
	.set _ZL38rocblas_trsm_small_left_device_sharedBILi8ELi8ELb0E19rocblas_complex_numIfES1_PKPKS1_PKPS1_Ev13rocblas_fill_18rocblas_operation_17rocblas_diagonal_iiT3_T4_lilT5_lili.private_seg_size, 0
	.set _ZL38rocblas_trsm_small_left_device_sharedBILi8ELi8ELb0E19rocblas_complex_numIfES1_PKPKS1_PKPS1_Ev13rocblas_fill_18rocblas_operation_17rocblas_diagonal_iiT3_T4_lilT5_lili.uses_vcc, 1
	.set _ZL38rocblas_trsm_small_left_device_sharedBILi8ELi8ELb0E19rocblas_complex_numIfES1_PKPKS1_PKPS1_Ev13rocblas_fill_18rocblas_operation_17rocblas_diagonal_iiT3_T4_lilT5_lili.uses_flat_scratch, 0
	.set _ZL38rocblas_trsm_small_left_device_sharedBILi8ELi8ELb0E19rocblas_complex_numIfES1_PKPKS1_PKPS1_Ev13rocblas_fill_18rocblas_operation_17rocblas_diagonal_iiT3_T4_lilT5_lili.has_dyn_sized_stack, 0
	.set _ZL38rocblas_trsm_small_left_device_sharedBILi8ELi8ELb0E19rocblas_complex_numIfES1_PKPKS1_PKPS1_Ev13rocblas_fill_18rocblas_operation_17rocblas_diagonal_iiT3_T4_lilT5_lili.has_recursion, 0
	.set _ZL38rocblas_trsm_small_left_device_sharedBILi8ELi8ELb0E19rocblas_complex_numIfES1_PKPKS1_PKPS1_Ev13rocblas_fill_18rocblas_operation_17rocblas_diagonal_iiT3_T4_lilT5_lili.has_indirect_call, 0
	.section	.AMDGPU.csdata,"",@progbits
; Kernel info:
; codeLenInByte = 3016
; TotalNumSgprs: 42
; NumVgprs: 24
; ScratchSize: 0
; MemoryBound: 0
; FloatMode: 240
; IeeeMode: 1
; LDSByteSize: 1536 bytes/workgroup (compile time only)
; SGPRBlocks: 0
; VGPRBlocks: 2
; NumSGPRsForWavesPerEU: 42
; NumVGPRsForWavesPerEU: 24
; Occupancy: 16
; WaveLimiterHint : 0
; COMPUTE_PGM_RSRC2:SCRATCH_EN: 0
; COMPUTE_PGM_RSRC2:USER_SGPR: 4
; COMPUTE_PGM_RSRC2:TRAP_HANDLER: 0
; COMPUTE_PGM_RSRC2:TGID_X_EN: 1
; COMPUTE_PGM_RSRC2:TGID_Y_EN: 0
; COMPUTE_PGM_RSRC2:TGID_Z_EN: 1
; COMPUTE_PGM_RSRC2:TIDIG_COMP_CNT: 2
	.section	.text._ZL30rocblas_trsm_small_left_deviceILi8ELi8ELb0E19rocblas_complex_numIfES1_PKPKS1_PKPS1_Ev13rocblas_fill_18rocblas_operation_17rocblas_diagonal_iiT3_T4_lilT5_lili,"axG",@progbits,_ZL30rocblas_trsm_small_left_deviceILi8ELi8ELb0E19rocblas_complex_numIfES1_PKPKS1_PKPS1_Ev13rocblas_fill_18rocblas_operation_17rocblas_diagonal_iiT3_T4_lilT5_lili,comdat
	.globl	_ZL30rocblas_trsm_small_left_deviceILi8ELi8ELb0E19rocblas_complex_numIfES1_PKPKS1_PKPS1_Ev13rocblas_fill_18rocblas_operation_17rocblas_diagonal_iiT3_T4_lilT5_lili ; -- Begin function _ZL30rocblas_trsm_small_left_deviceILi8ELi8ELb0E19rocblas_complex_numIfES1_PKPKS1_PKPS1_Ev13rocblas_fill_18rocblas_operation_17rocblas_diagonal_iiT3_T4_lilT5_lili
	.p2align	8
	.type	_ZL30rocblas_trsm_small_left_deviceILi8ELi8ELb0E19rocblas_complex_numIfES1_PKPKS1_PKPS1_Ev13rocblas_fill_18rocblas_operation_17rocblas_diagonal_iiT3_T4_lilT5_lili,@function
_ZL30rocblas_trsm_small_left_deviceILi8ELi8ELb0E19rocblas_complex_numIfES1_PKPKS1_PKPS1_Ev13rocblas_fill_18rocblas_operation_17rocblas_diagonal_iiT3_T4_lilT5_lili: ; @_ZL30rocblas_trsm_small_left_deviceILi8ELi8ELb0E19rocblas_complex_numIfES1_PKPKS1_PKPS1_Ev13rocblas_fill_18rocblas_operation_17rocblas_diagonal_iiT3_T4_lilT5_lili
; %bb.0:
	s_load_b32 s26, s[2:3], 0x60
	s_lshr_b32 s16, ttmp7, 16
	s_wait_kmcnt 0x0
	s_cmp_ge_u32 s16, s26
	s_cbranch_scc1 .LBB139_62
; %bb.1:
	s_load_b32 s18, s[2:3], 0x30
	s_load_b64 s[0:1], s[0:1], 0x4
	s_clause 0x5
	s_load_b128 s[12:15], s[2:3], 0x4
	s_load_b32 s17, s[2:3], 0x68
	s_load_b128 s[4:7], s[2:3], 0x20
	s_load_b128 s[8:11], s[2:3], 0x40
	s_load_b32 s20, s[2:3], 0x50
	s_load_b64 s[2:3], s[2:3], 0x14
	v_bfe_u32 v2, v0, 10, 10
	v_and_b32_e32 v1, 0x3ff, v0
	v_bfe_u32 v0, v0, 20, 10
	s_mov_b32 s34, 0
	s_delay_alu instid0(VALU_DEP_2)
	v_lshlrev_b32_e32 v10, 3, v1
	s_wait_kmcnt 0x0
	s_ashr_i32 s19, s18, 31
	s_lshr_b32 s0, s0, 16
	s_cmp_lg_u32 s12, 0x71
	v_mul_u32_u24_e32 v2, s1, v2
	s_mul_i32 s0, s0, s1
	s_cselect_b32 s27, -1, 0
	s_wait_alu 0xfffe
	s_lshl_b32 s1, ttmp9, 3
	v_mul_u32_u24_e32 v3, s0, v1
	s_wait_alu 0xfffe
	v_or_b32_e32 v5, s1, v1
	s_min_i32 s28, s14, 8
	s_add_co_i32 s17, s17, -1
	s_add_co_i32 s29, s28, -1
	s_sub_co_i32 s14, s15, s1
	v_add3_u32 v0, v3, v2, v0
	v_mad_co_i64_i32 v[2:3], null, s20, v5, 0
	s_cmp_ge_u32 ttmp9, s17
	s_cselect_b32 s1, s14, 8
	s_cmp_lg_u32 s13, 0x84
	v_lshl_add_u32 v11, v0, 6, 0x200
	s_cselect_b32 s30, -1, 0
	s_cmp_lg_u32 s12, 0x6f
	v_lshlrev_b64_e32 v[2:3], 3, v[2:3]
	s_cselect_b32 s31, -1, 0
	s_lshl_b64 s[6:7], s[6:7], 3
	s_lshl_b32 s12, s28, 6
	v_add_co_u32 v0, s6, s6, v10
	s_wait_alu 0xf1ff
	v_add_co_ci_u32_e64 v12, null, s7, 0, s6
	s_lshl_b64 s[6:7], s[10:11], 3
	v_or_b32_e32 v13, 4, v0
	s_wait_alu 0xfffe
	v_add_co_u32 v5, vcc_lo, v2, s6
	v_mov_b32_e32 v0, 1.0
	v_lshlrev_b32_e32 v4, 6, v1
	v_cmp_gt_i32_e64 s0, s28, v1
	v_cmp_gt_i32_e64 s1, s1, v1
	v_mov_b32_e32 v1, 0
	v_add_co_ci_u32_e64 v14, null, s7, v3, vcc_lo
	v_or_b32_e32 v15, 4, v5
	v_add_nc_u32_e32 v16, v10, v4
	s_lshl_b64 s[10:11], s[18:19], 3
	s_sub_co_i32 s33, s12, 64
	s_mov_b32 s13, 0
	s_branch .LBB139_4
.LBB139_2:                              ;   in Loop: Header=BB139_4 Depth=1
	s_add_co_i32 s16, s16, 0x10000
	s_delay_alu instid0(SALU_CYCLE_1)
	s_cmp_ge_u32 s16, s26
	s_cselect_b32 s12, -1, 0
	s_wait_alu 0xfffe
	s_or_not1_b32 s12, s12, exec_lo
.LBB139_3:                              ;   in Loop: Header=BB139_4 Depth=1
	s_or_b32 exec_lo, exec_lo, s17
	s_wait_alu 0xfffe
	s_and_b32 s12, exec_lo, s12
	s_wait_alu 0xfffe
	s_or_b32 s34, s12, s34
	s_delay_alu instid0(SALU_CYCLE_1)
	s_and_not1_b32 exec_lo, exec_lo, s34
	s_cbranch_execz .LBB139_62
.LBB139_4:                              ; =>This Loop Header: Depth=1
                                        ;     Child Loop BB139_7 Depth 2
                                        ;     Child Loop BB139_23 Depth 2
                                        ;       Child Loop BB139_26 Depth 3
                                        ;         Child Loop BB139_27 Depth 4
                                        ;         Child Loop BB139_30 Depth 4
                                        ;           Child Loop BB139_31 Depth 5
                                        ;         Child Loop BB139_35 Depth 4
                                        ;           Child Loop BB139_37 Depth 5
                                        ;     Child Loop BB139_45 Depth 2
                                        ;       Child Loop BB139_48 Depth 3
                                        ;         Child Loop BB139_49 Depth 4
                                        ;         Child Loop BB139_51 Depth 4
                                        ;           Child Loop BB139_52 Depth 5
                                        ;         Child Loop BB139_56 Depth 4
                                        ;           Child Loop BB139_58 Depth 5
	s_mov_b32 s17, s13
	s_delay_alu instid0(SALU_CYCLE_1) | instskip(NEXT) | instid1(SALU_CYCLE_1)
	s_lshl_b64 s[14:15], s[16:17], 3
	s_add_nc_u64 s[18:19], s[8:9], s[14:15]
	global_load_b64 v[4:5], v1, s[18:19]
	s_and_saveexec_b32 s12, s0
	s_cbranch_execz .LBB139_19
; %bb.5:                                ;   in Loop: Header=BB139_4 Depth=1
	s_add_nc_u64 s[14:15], s[4:5], s[14:15]
	v_mov_b32_e32 v17, v10
	global_load_b64 v[6:7], v1, s[14:15]
	s_mov_b32 s14, s28
	s_wait_loadcnt 0x0
	v_add_co_u32 v6, vcc_lo, v6, v13
	s_wait_alu 0xfffd
	v_add_co_ci_u32_e64 v7, null, v7, v12, vcc_lo
	s_branch .LBB139_7
.LBB139_6:                              ;   in Loop: Header=BB139_7 Depth=2
	flat_load_b32 v8, v[6:7] offset:-4
	v_add_co_u32 v6, vcc_lo, v6, s10
	s_wait_alu 0xfffd
	v_add_co_ci_u32_e64 v7, null, s11, v7, vcc_lo
	s_add_co_i32 s14, s14, -1
	s_delay_alu instid0(SALU_CYCLE_1)
	s_cmp_eq_u32 s14, 0
	s_wait_loadcnt_dscnt 0x0
	ds_store_b64 v17, v[8:9]
	v_add_nc_u32_e32 v17, 64, v17
	s_cbranch_scc1 .LBB139_11
.LBB139_7:                              ;   Parent Loop BB139_4 Depth=1
                                        ; =>  This Inner Loop Header: Depth=2
	s_and_b32 vcc_lo, exec_lo, s27
	s_mov_b32 s15, -1
                                        ; implicit-def: $vgpr9
	s_wait_alu 0xfffe
	s_cbranch_vccz .LBB139_9
; %bb.8:                                ;   in Loop: Header=BB139_7 Depth=2
	flat_load_b32 v9, v[6:7]
	s_mov_b32 s15, 0
.LBB139_9:                              ;   in Loop: Header=BB139_7 Depth=2
	s_delay_alu instid0(SALU_CYCLE_1)
	s_and_not1_b32 vcc_lo, exec_lo, s15
	s_wait_alu 0xfffe
	s_cbranch_vccnz .LBB139_6
; %bb.10:                               ;   in Loop: Header=BB139_7 Depth=2
	flat_load_b32 v8, v[6:7]
	s_wait_loadcnt_dscnt 0x0
	v_xor_b32_e32 v9, 0x80000000, v8
	s_branch .LBB139_6
.LBB139_11:                             ;   in Loop: Header=BB139_4 Depth=1
	s_and_b32 vcc_lo, exec_lo, s30
	s_mov_b32 s14, -1
	s_wait_alu 0xfffe
	s_cbranch_vccz .LBB139_17
; %bb.12:                               ;   in Loop: Header=BB139_4 Depth=1
	ds_load_b64 v[6:7], v16
                                        ; implicit-def: $vgpr8
	s_wait_dscnt 0x0
	v_cmp_ngt_f32_e64 s14, |v6|, |v7|
	s_and_saveexec_b32 s15, s14
	s_delay_alu instid0(SALU_CYCLE_1)
	s_xor_b32 s14, exec_lo, s15
	s_cbranch_execz .LBB139_14
; %bb.13:                               ;   in Loop: Header=BB139_4 Depth=1
	v_div_scale_f32 v8, null, v7, v7, v6
	v_div_scale_f32 v18, vcc_lo, v6, v7, v6
	s_delay_alu instid0(VALU_DEP_2) | instskip(NEXT) | instid1(TRANS32_DEP_1)
	v_rcp_f32_e32 v9, v8
	v_fma_f32 v17, -v8, v9, 1.0
	s_delay_alu instid0(VALU_DEP_1) | instskip(NEXT) | instid1(VALU_DEP_1)
	v_fmac_f32_e32 v9, v17, v9
	v_mul_f32_e32 v17, v18, v9
	s_delay_alu instid0(VALU_DEP_1) | instskip(NEXT) | instid1(VALU_DEP_1)
	v_fma_f32 v19, -v8, v17, v18
	v_fmac_f32_e32 v17, v19, v9
	s_delay_alu instid0(VALU_DEP_1) | instskip(SKIP_1) | instid1(VALU_DEP_1)
	v_fma_f32 v8, -v8, v17, v18
	s_wait_alu 0xfffd
	v_div_fmas_f32 v8, v8, v9, v17
	s_delay_alu instid0(VALU_DEP_1) | instskip(NEXT) | instid1(VALU_DEP_1)
	v_div_fixup_f32 v8, v8, v7, v6
	v_fmac_f32_e32 v7, v6, v8
	s_delay_alu instid0(VALU_DEP_1) | instskip(SKIP_1) | instid1(VALU_DEP_2)
	v_div_scale_f32 v6, null, v7, v7, 1.0
	v_div_scale_f32 v18, vcc_lo, 1.0, v7, 1.0
	v_rcp_f32_e32 v9, v6
	s_delay_alu instid0(TRANS32_DEP_1) | instskip(NEXT) | instid1(VALU_DEP_1)
	v_fma_f32 v17, -v6, v9, 1.0
	v_fmac_f32_e32 v9, v17, v9
	s_delay_alu instid0(VALU_DEP_1) | instskip(NEXT) | instid1(VALU_DEP_1)
	v_mul_f32_e32 v17, v18, v9
	v_fma_f32 v19, -v6, v17, v18
	s_delay_alu instid0(VALU_DEP_1) | instskip(NEXT) | instid1(VALU_DEP_1)
	v_fmac_f32_e32 v17, v19, v9
	v_fma_f32 v6, -v6, v17, v18
	s_wait_alu 0xfffd
	s_delay_alu instid0(VALU_DEP_1) | instskip(SKIP_1) | instid1(VALU_DEP_2)
	v_div_fmas_f32 v6, v6, v9, v17
	v_add_f32_e32 v9, 0, v8
	v_div_fixup_f32 v6, v6, v7, 1.0
	v_fma_f32 v7, v8, 0, -1.0
	s_delay_alu instid0(VALU_DEP_2) | instskip(NEXT) | instid1(VALU_DEP_2)
	v_mul_f32_e32 v8, v9, v6
	v_mul_f32_e32 v9, v7, v6
                                        ; implicit-def: $vgpr6_vgpr7
.LBB139_14:                             ;   in Loop: Header=BB139_4 Depth=1
	s_and_not1_saveexec_b32 s14, s14
	s_cbranch_execz .LBB139_16
; %bb.15:                               ;   in Loop: Header=BB139_4 Depth=1
	v_div_scale_f32 v8, null, v6, v6, v7
	v_div_scale_f32 v18, vcc_lo, v7, v6, v7
	s_delay_alu instid0(VALU_DEP_2) | instskip(NEXT) | instid1(TRANS32_DEP_1)
	v_rcp_f32_e32 v9, v8
	v_fma_f32 v17, -v8, v9, 1.0
	s_delay_alu instid0(VALU_DEP_1) | instskip(NEXT) | instid1(VALU_DEP_1)
	v_fmac_f32_e32 v9, v17, v9
	v_mul_f32_e32 v17, v18, v9
	s_delay_alu instid0(VALU_DEP_1) | instskip(NEXT) | instid1(VALU_DEP_1)
	v_fma_f32 v19, -v8, v17, v18
	v_fmac_f32_e32 v17, v19, v9
	s_delay_alu instid0(VALU_DEP_1) | instskip(SKIP_1) | instid1(VALU_DEP_1)
	v_fma_f32 v8, -v8, v17, v18
	s_wait_alu 0xfffd
	v_div_fmas_f32 v8, v8, v9, v17
	s_delay_alu instid0(VALU_DEP_1) | instskip(NEXT) | instid1(VALU_DEP_1)
	v_div_fixup_f32 v9, v8, v6, v7
	v_fmac_f32_e32 v6, v7, v9
	s_delay_alu instid0(VALU_DEP_1) | instskip(SKIP_1) | instid1(VALU_DEP_2)
	v_div_scale_f32 v7, null, v6, v6, 1.0
	v_div_scale_f32 v18, vcc_lo, 1.0, v6, 1.0
	v_rcp_f32_e32 v8, v7
	s_delay_alu instid0(TRANS32_DEP_1) | instskip(NEXT) | instid1(VALU_DEP_1)
	v_fma_f32 v17, -v7, v8, 1.0
	v_fmac_f32_e32 v8, v17, v8
	s_delay_alu instid0(VALU_DEP_1) | instskip(NEXT) | instid1(VALU_DEP_1)
	v_mul_f32_e32 v17, v18, v8
	v_fma_f32 v19, -v7, v17, v18
	s_delay_alu instid0(VALU_DEP_1) | instskip(NEXT) | instid1(VALU_DEP_1)
	v_fmac_f32_e32 v17, v19, v8
	v_fma_f32 v7, -v7, v17, v18
	s_wait_alu 0xfffd
	s_delay_alu instid0(VALU_DEP_1) | instskip(SKIP_1) | instid1(VALU_DEP_2)
	v_div_fmas_f32 v7, v7, v8, v17
	v_fma_f32 v8, v9, 0, 1.0
	v_div_fixup_f32 v6, v7, v6, 1.0
	s_delay_alu instid0(VALU_DEP_1)
	v_mul_f32_e32 v8, v8, v6
	v_mul_f32_e64 v9, -v9, v6
.LBB139_16:                             ;   in Loop: Header=BB139_4 Depth=1
	s_or_b32 exec_lo, exec_lo, s14
	s_mov_b32 s14, 0
	ds_store_b64 v16, v[8:9]
.LBB139_17:                             ;   in Loop: Header=BB139_4 Depth=1
	s_and_b32 vcc_lo, exec_lo, s14
	s_wait_alu 0xfffe
	s_cbranch_vccz .LBB139_19
; %bb.18:                               ;   in Loop: Header=BB139_4 Depth=1
	ds_store_b64 v16, v[0:1]
.LBB139_19:                             ;   in Loop: Header=BB139_4 Depth=1
	s_wait_alu 0xfffe
	s_or_b32 exec_lo, exec_lo, s12
	s_mov_b32 s12, -1
	; wave barrier
	s_wait_loadcnt_dscnt 0x0
	global_inv scope:SCOPE_SE
	s_and_saveexec_b32 s17, s1
	s_cbranch_execz .LBB139_3
; %bb.20:                               ;   in Loop: Header=BB139_4 Depth=1
	v_add_co_u32 v6, vcc_lo, v4, s6
	s_wait_alu 0xfffd
	v_add_co_ci_u32_e64 v7, null, s7, v5, vcc_lo
	s_delay_alu instid0(VALU_DEP_2) | instskip(SKIP_1) | instid1(VALU_DEP_2)
	v_add_co_u32 v17, vcc_lo, v6, v2
	s_wait_alu 0xfffd
	v_add_co_ci_u32_e64 v18, null, v7, v3, vcc_lo
	s_and_not1_b32 vcc_lo, exec_lo, s31
	s_wait_alu 0xfffe
	s_cbranch_vccnz .LBB139_42
; %bb.21:                               ;   in Loop: Header=BB139_4 Depth=1
	v_add_co_u32 v19, vcc_lo, v4, v15
	s_wait_alu 0xfffd
	v_add_co_ci_u32_e64 v20, null, v5, v14, vcc_lo
	s_mov_b32 s18, 0
	s_mov_b32 s14, 0
	s_branch .LBB139_23
.LBB139_22:                             ;   in Loop: Header=BB139_23 Depth=2
	s_cmp_lt_i32 s14, s28
	s_cselect_b32 s12, -1, 0
	s_add_co_i32 s15, s18, 1
	s_cmp_lt_u32 s18, 2
	s_cselect_b32 s18, -1, 0
	s_wait_alu 0xfffe
	s_and_b32 s12, s12, s18
	s_mov_b32 s18, s15
	s_wait_alu 0xfffe
	s_and_b32 vcc_lo, exec_lo, s12
	s_wait_alu 0xfffe
	s_cbranch_vccz .LBB139_41
.LBB139_23:                             ;   Parent Loop BB139_4 Depth=1
                                        ; =>  This Loop Header: Depth=2
                                        ;       Child Loop BB139_26 Depth 3
                                        ;         Child Loop BB139_27 Depth 4
                                        ;         Child Loop BB139_30 Depth 4
                                        ;           Child Loop BB139_31 Depth 5
                                        ;         Child Loop BB139_35 Depth 4
                                        ;           Child Loop BB139_37 Depth 5
	s_mov_b32 s19, s13
	s_getpc_b64 s[20:21]
	s_wait_alu 0xfffe
	s_sext_i32_i16 s21, s21
	s_add_co_u32 s20, s20, __const._ZL30rocblas_trsm_small_left_deviceILi8ELi8ELb0E19rocblas_complex_numIfES1_PKPKS1_PKPS1_Ev13rocblas_fill_18rocblas_operation_17rocblas_diagonal_iiT3_T4_lilT5_lili.step_sizes@rel32@lo+12
	s_wait_alu 0xfffe
	s_add_co_ci_u32 s21, s21, __const._ZL30rocblas_trsm_small_left_deviceILi8ELi8ELb0E19rocblas_complex_numIfES1_PKPKS1_PKPS1_Ev13rocblas_fill_18rocblas_operation_17rocblas_diagonal_iiT3_T4_lilT5_lili.step_sizes@rel32@hi+24
	s_lshl_b64 s[22:23], s[18:19], 2
	s_wait_alu 0xfffe
	s_add_nc_u64 s[20:21], s[20:21], s[22:23]
	s_load_b32 s20, s[20:21], 0x0
	s_wait_kmcnt 0x0
	s_add_co_i32 s19, s20, -1
	s_wait_alu 0xfffe
	s_add_co_i32 s12, s19, s14
	s_wait_alu 0xfffe
	s_cmp_ge_i32 s12, s28
	s_cbranch_scc1 .LBB139_22
; %bb.24:                               ;   in Loop: Header=BB139_23 Depth=2
	s_ashr_i32 s15, s14, 31
	s_ashr_i32 s21, s20, 31
	s_lshl_b64 s[22:23], s[14:15], 3
	s_max_i32 s35, s20, 1
	s_wait_alu 0xfffe
	v_add_co_u32 v6, vcc_lo, v19, s22
	s_wait_alu 0xfffd
	v_add_co_ci_u32_e64 v7, null, s23, v20, vcc_lo
	s_lshl_b64 s[22:23], s[20:21], 3
	s_lshl_b32 s15, s14, 6
	s_lshl_b32 s21, s20, 6
	s_mul_i32 s36, s14, 0x48
	s_mul_i32 s37, s20, 0x48
	s_branch .LBB139_26
.LBB139_25:                             ;   in Loop: Header=BB139_26 Depth=3
	v_add_co_u32 v6, vcc_lo, v6, s22
	s_add_co_i32 s14, s14, s20
	s_wait_alu 0xfffd
	v_add_co_ci_u32_e64 v7, null, s23, v7, vcc_lo
	s_add_co_i32 s12, s19, s14
	s_add_co_i32 s15, s15, s21
	;; [unrolled: 1-line block ×3, first 2 shown]
	s_wait_alu 0xfffe
	s_cmp_ge_i32 s12, s28
	s_cbranch_scc1 .LBB139_22
.LBB139_26:                             ;   Parent Loop BB139_4 Depth=1
                                        ;     Parent Loop BB139_23 Depth=2
                                        ; =>    This Loop Header: Depth=3
                                        ;         Child Loop BB139_27 Depth 4
                                        ;         Child Loop BB139_30 Depth 4
                                        ;           Child Loop BB139_31 Depth 5
                                        ;         Child Loop BB139_35 Depth 4
                                        ;           Child Loop BB139_37 Depth 5
	v_mov_b32_e32 v9, v7
	v_dual_mov_b32 v21, v11 :: v_dual_mov_b32 v8, v6
	s_mov_b32 s12, s35
.LBB139_27:                             ;   Parent Loop BB139_4 Depth=1
                                        ;     Parent Loop BB139_23 Depth=2
                                        ;       Parent Loop BB139_26 Depth=3
                                        ; =>      This Inner Loop Header: Depth=4
	flat_load_b64 v[22:23], v[8:9] offset:-4
	v_add_co_u32 v8, vcc_lo, v8, 8
	s_wait_alu 0xfffd
	v_add_co_ci_u32_e64 v9, null, 0, v9, vcc_lo
	s_wait_alu 0xfffe
	s_add_co_i32 s12, s12, -1
	s_wait_alu 0xfffe
	s_cmp_eq_u32 s12, 0
	s_wait_loadcnt_dscnt 0x0
	v_mul_f32_e32 v24, s2, v23
	s_delay_alu instid0(VALU_DEP_1) | instskip(NEXT) | instid1(VALU_DEP_1)
	v_dual_mul_f32 v25, s3, v23 :: v_dual_fmac_f32 v24, s3, v22
	v_fma_f32 v23, v22, s2, -v25
	ds_store_b64 v21, v[23:24]
	v_add_nc_u32_e32 v21, 8, v21
	s_cbranch_scc0 .LBB139_27
; %bb.28:                               ;   in Loop: Header=BB139_26 Depth=3
	s_cmp_lt_i32 s14, 1
	s_cbranch_scc1 .LBB139_33
; %bb.29:                               ;   in Loop: Header=BB139_26 Depth=3
	s_mov_b32 s12, 0
	s_mov_b32 s24, s15
.LBB139_30:                             ;   Parent Loop BB139_4 Depth=1
                                        ;     Parent Loop BB139_23 Depth=2
                                        ;       Parent Loop BB139_26 Depth=3
                                        ; =>      This Loop Header: Depth=4
                                        ;           Child Loop BB139_31 Depth 5
	s_wait_alu 0xfffe
	s_lshl_b64 s[38:39], s[12:13], 3
	v_mov_b32_e32 v21, v11
	s_wait_alu 0xfffe
	v_add_co_u32 v8, vcc_lo, v17, s38
	s_wait_alu 0xfffd
	v_add_co_ci_u32_e64 v9, null, s39, v18, vcc_lo
	s_mov_b32 s25, s24
	s_mov_b32 s38, s35
	flat_load_b64 v[8:9], v[8:9]
.LBB139_31:                             ;   Parent Loop BB139_4 Depth=1
                                        ;     Parent Loop BB139_23 Depth=2
                                        ;       Parent Loop BB139_26 Depth=3
                                        ;         Parent Loop BB139_30 Depth=4
                                        ; =>        This Inner Loop Header: Depth=5
	s_wait_alu 0xfffe
	v_mov_b32_e32 v22, s25
	s_add_co_i32 s38, s38, -1
	s_add_co_i32 s25, s25, 64
	s_wait_alu 0xfffe
	s_cmp_eq_u32 s38, 0
	ds_load_b64 v[22:23], v22
	ds_load_b64 v[24:25], v21
	s_wait_loadcnt_dscnt 0x1
	v_mul_f32_e32 v26, v23, v9
	v_mul_f32_e32 v23, v23, v8
	s_delay_alu instid0(VALU_DEP_1) | instskip(SKIP_1) | instid1(VALU_DEP_1)
	v_fmac_f32_e32 v23, v22, v9
	s_wait_dscnt 0x0
	v_sub_f32_e32 v23, v25, v23
	v_fma_f32 v26, v22, v8, -v26
	s_delay_alu instid0(VALU_DEP_1)
	v_sub_f32_e32 v22, v24, v26
	ds_store_b64 v21, v[22:23]
	v_add_nc_u32_e32 v21, 8, v21
	s_cbranch_scc0 .LBB139_31
; %bb.32:                               ;   in Loop: Header=BB139_30 Depth=4
	s_add_co_i32 s12, s12, 1
	s_add_co_i32 s24, s24, 8
	s_wait_alu 0xfffe
	s_cmp_eq_u32 s12, s14
	s_cbranch_scc0 .LBB139_30
.LBB139_33:                             ;   in Loop: Header=BB139_26 Depth=3
	s_mov_b32 s12, 0
	s_mov_b32 s38, s36
	s_branch .LBB139_35
.LBB139_34:                             ;   in Loop: Header=BB139_35 Depth=4
	s_wait_alu 0xfffe
	s_mul_i32 s25, s24, 0x48
	s_add_co_i32 s12, s12, 1
	s_wait_alu 0xfffe
	v_mov_b32_e32 v22, s25
	s_ashr_i32 s25, s24, 31
	s_add_co_i32 s38, s38, 64
	s_wait_alu 0xfffe
	s_lshl_b64 s[24:25], s[24:25], 3
	s_cmp_eq_u32 s12, s35
	ds_load_b64 v[22:23], v22
	s_wait_dscnt 0x0
	v_mul_f32_e32 v24, v23, v9
	v_mul_f32_e32 v25, v22, v9
	s_delay_alu instid0(VALU_DEP_2) | instskip(NEXT) | instid1(VALU_DEP_2)
	v_fma_f32 v24, v22, v8, -v24
	v_fmac_f32_e32 v25, v23, v8
	s_wait_alu 0xfffe
	v_add_co_u32 v8, vcc_lo, v17, s24
	s_wait_alu 0xfffd
	v_add_co_ci_u32_e64 v9, null, s25, v18, vcc_lo
	ds_store_b64 v21, v[24:25]
	flat_store_b64 v[8:9], v[24:25]
	s_cbranch_scc1 .LBB139_25
.LBB139_35:                             ;   Parent Loop BB139_4 Depth=1
                                        ;     Parent Loop BB139_23 Depth=2
                                        ;       Parent Loop BB139_26 Depth=3
                                        ; =>      This Loop Header: Depth=4
                                        ;           Child Loop BB139_37 Depth 5
	s_wait_alu 0xfffe
	v_lshl_add_u32 v21, s12, 3, v11
	s_cmp_lg_u32 s12, 0
	s_cbranch_scc0 .LBB139_39
; %bb.36:                               ;   in Loop: Header=BB139_35 Depth=4
	ds_load_b64 v[8:9], v21
	v_mov_b32_e32 v22, v11
	s_add_co_i32 s24, s12, s14
	s_mov_b32 s25, s38
	s_mov_b32 s39, s12
.LBB139_37:                             ;   Parent Loop BB139_4 Depth=1
                                        ;     Parent Loop BB139_23 Depth=2
                                        ;       Parent Loop BB139_26 Depth=3
                                        ;         Parent Loop BB139_35 Depth=4
                                        ; =>        This Inner Loop Header: Depth=5
	s_wait_alu 0xfffe
	v_mov_b32_e32 v25, s25
	s_add_co_i32 s39, s39, -1
	s_add_co_i32 s25, s25, 8
	s_wait_alu 0xfffe
	s_cmp_eq_u32 s39, 0
	ds_load_b64 v[23:24], v22
	ds_load_b64 v[25:26], v25
	s_wait_dscnt 0x0
	v_dual_mul_f32 v27, v26, v24 :: v_dual_add_nc_u32 v22, 8, v22
	v_mul_f32_e32 v24, v25, v24
	s_delay_alu instid0(VALU_DEP_2) | instskip(NEXT) | instid1(VALU_DEP_2)
	v_fma_f32 v25, v25, v23, -v27
	v_fmac_f32_e32 v24, v26, v23
	s_delay_alu instid0(VALU_DEP_1)
	v_dual_sub_f32 v8, v8, v25 :: v_dual_sub_f32 v9, v9, v24
	ds_store_b64 v21, v[8:9]
	s_cbranch_scc0 .LBB139_37
; %bb.38:                               ;   in Loop: Header=BB139_35 Depth=4
	s_branch .LBB139_34
.LBB139_39:                             ;   in Loop: Header=BB139_35 Depth=4
                                        ; implicit-def: $vgpr8
                                        ; implicit-def: $sgpr24
	s_cbranch_execz .LBB139_34
; %bb.40:                               ;   in Loop: Header=BB139_35 Depth=4
	ds_load_b64 v[8:9], v11
	s_mov_b32 s24, s14
	s_branch .LBB139_34
.LBB139_41:                             ;   in Loop: Header=BB139_4 Depth=1
	s_mov_b32 s12, 0
.LBB139_42:                             ;   in Loop: Header=BB139_4 Depth=1
	s_wait_alu 0xfffe
	s_and_b32 vcc_lo, exec_lo, s12
	s_wait_alu 0xfffe
	s_cbranch_vccz .LBB139_2
; %bb.43:                               ;   in Loop: Header=BB139_4 Depth=1
	v_add_co_u32 v6, vcc_lo, v4, v15
	s_wait_alu 0xfffd
	v_add_co_ci_u32_e64 v7, null, v5, v14, vcc_lo
	s_mov_b32 s12, 0
	s_mov_b32 s14, s29
	s_branch .LBB139_45
.LBB139_44:                             ;   in Loop: Header=BB139_45 Depth=2
	s_cmp_gt_i32 s14, -1
	s_cselect_b32 s15, -1, 0
	s_add_co_i32 s18, s12, 1
	s_cmp_lt_u32 s12, 2
	s_cselect_b32 s12, -1, 0
	s_wait_alu 0xfffe
	s_and_b32 s12, s15, s12
	s_wait_alu 0xfffe
	s_and_not1_b32 vcc_lo, exec_lo, s12
	s_mov_b32 s12, s18
	s_wait_alu 0xfffe
	s_cbranch_vccnz .LBB139_2
.LBB139_45:                             ;   Parent Loop BB139_4 Depth=1
                                        ; =>  This Loop Header: Depth=2
                                        ;       Child Loop BB139_48 Depth 3
                                        ;         Child Loop BB139_49 Depth 4
                                        ;         Child Loop BB139_51 Depth 4
                                        ;           Child Loop BB139_52 Depth 5
                                        ;         Child Loop BB139_56 Depth 4
                                        ;           Child Loop BB139_58 Depth 5
	s_getpc_b64 s[18:19]
	s_wait_alu 0xfffe
	s_sext_i32_i16 s19, s19
	s_add_co_u32 s18, s18, __const._ZL30rocblas_trsm_small_left_deviceILi8ELi8ELb0E19rocblas_complex_numIfES1_PKPKS1_PKPS1_Ev13rocblas_fill_18rocblas_operation_17rocblas_diagonal_iiT3_T4_lilT5_lili.step_sizes@rel32@lo+12
	s_wait_alu 0xfffe
	s_add_co_ci_u32 s19, s19, __const._ZL30rocblas_trsm_small_left_deviceILi8ELi8ELb0E19rocblas_complex_numIfES1_PKPKS1_PKPS1_Ev13rocblas_fill_18rocblas_operation_17rocblas_diagonal_iiT3_T4_lilT5_lili.step_sizes@rel32@hi+24
	s_lshl_b64 s[20:21], s[12:13], 2
	s_wait_alu 0xfffe
	s_add_nc_u64 s[18:19], s[18:19], s[20:21]
	s_load_b32 s22, s[18:19], 0x0
	s_wait_kmcnt 0x0
	s_add_co_i32 s23, s22, -1
	s_wait_alu 0xfffe
	s_cmp_lt_i32 s14, s23
	s_cbranch_scc1 .LBB139_44
; %bb.46:                               ;   in Loop: Header=BB139_45 Depth=2
	s_lshl_b32 s15, s14, 3
	s_lshl_b32 s18, s22, 3
	s_max_i32 s24, s22, 1
	s_add_co_i32 s25, s33, s15
	s_wait_alu 0xfffe
	s_sub_co_i32 s35, 0, s18
	s_mul_i32 s36, s14, 0x48
	s_mul_i32 s37, s22, 0xffffffb8
	s_branch .LBB139_48
.LBB139_47:                             ;   in Loop: Header=BB139_48 Depth=3
	s_sub_co_i32 s14, s14, s22
	s_add_co_i32 s25, s25, s35
	s_add_co_i32 s36, s36, s37
	s_cmp_lt_i32 s14, s23
	s_cbranch_scc1 .LBB139_44
.LBB139_48:                             ;   Parent Loop BB139_4 Depth=1
                                        ;     Parent Loop BB139_45 Depth=2
                                        ; =>    This Loop Header: Depth=3
                                        ;         Child Loop BB139_49 Depth 4
                                        ;         Child Loop BB139_51 Depth 4
                                        ;           Child Loop BB139_52 Depth 5
                                        ;         Child Loop BB139_56 Depth 4
                                        ;           Child Loop BB139_58 Depth 5
	s_ashr_i32 s15, s14, 31
	v_mov_b32_e32 v8, v11
	s_lshl_b64 s[18:19], s[14:15], 3
	s_wait_alu 0xfffe
	v_add_co_u32 v4, vcc_lo, v6, s18
	s_wait_alu 0xfffd
	v_add_co_ci_u32_e64 v5, null, s19, v7, vcc_lo
	s_mov_b32 s18, s24
.LBB139_49:                             ;   Parent Loop BB139_4 Depth=1
                                        ;     Parent Loop BB139_45 Depth=2
                                        ;       Parent Loop BB139_48 Depth=3
                                        ; =>      This Inner Loop Header: Depth=4
	flat_load_b64 v[19:20], v[4:5] offset:-4
	v_add_co_u32 v4, vcc_lo, v4, -8
	s_wait_alu 0xfffd
	v_add_co_ci_u32_e64 v5, null, -1, v5, vcc_lo
	s_wait_alu 0xfffe
	s_add_co_i32 s18, s18, -1
	s_wait_alu 0xfffe
	s_cmp_eq_u32 s18, 0
	s_wait_loadcnt_dscnt 0x0
	v_mul_f32_e32 v9, s3, v20
	v_mul_f32_e32 v21, s2, v20
	s_delay_alu instid0(VALU_DEP_2) | instskip(NEXT) | instid1(VALU_DEP_2)
	v_fma_f32 v20, v19, s2, -v9
	v_fmac_f32_e32 v21, s3, v19
	ds_store_b64 v8, v[20:21]
	v_add_nc_u32_e32 v8, 8, v8
	s_cbranch_scc0 .LBB139_49
; %bb.50:                               ;   in Loop: Header=BB139_48 Depth=3
	s_cmp_le_i32 s29, s14
	s_mov_b32 s20, s25
	s_mov_b32 s18, s29
	s_cbranch_scc1 .LBB139_54
.LBB139_51:                             ;   Parent Loop BB139_4 Depth=1
                                        ;     Parent Loop BB139_45 Depth=2
                                        ;       Parent Loop BB139_48 Depth=3
                                        ; =>      This Loop Header: Depth=4
                                        ;           Child Loop BB139_52 Depth 5
	s_wait_alu 0xfffe
	s_ashr_i32 s19, s18, 31
	v_mov_b32_e32 v8, v11
	s_wait_alu 0xfffe
	s_lshl_b64 s[38:39], s[18:19], 3
	s_mov_b32 s19, s20
	s_wait_alu 0xfffe
	v_add_co_u32 v4, vcc_lo, v17, s38
	s_wait_alu 0xfffd
	v_add_co_ci_u32_e64 v5, null, s39, v18, vcc_lo
	s_mov_b32 s21, s24
	flat_load_b64 v[4:5], v[4:5]
.LBB139_52:                             ;   Parent Loop BB139_4 Depth=1
                                        ;     Parent Loop BB139_45 Depth=2
                                        ;       Parent Loop BB139_48 Depth=3
                                        ;         Parent Loop BB139_51 Depth=4
                                        ; =>        This Inner Loop Header: Depth=5
	v_mov_b32_e32 v9, s19
	s_wait_alu 0xfffe
	s_add_co_i32 s21, s21, -1
	s_add_co_i32 s19, s19, -8
	s_wait_alu 0xfffe
	s_cmp_eq_u32 s21, 0
	ds_load_b64 v[19:20], v9
	ds_load_b64 v[21:22], v8
	s_wait_loadcnt_dscnt 0x1
	v_mul_f32_e32 v9, v20, v5
	v_mul_f32_e32 v20, v20, v4
	s_delay_alu instid0(VALU_DEP_1) | instskip(SKIP_1) | instid1(VALU_DEP_1)
	v_fmac_f32_e32 v20, v19, v5
	s_wait_dscnt 0x0
	v_sub_f32_e32 v20, v22, v20
	v_fma_f32 v9, v19, v4, -v9
	s_delay_alu instid0(VALU_DEP_1)
	v_sub_f32_e32 v19, v21, v9
	ds_store_b64 v8, v[19:20]
	v_add_nc_u32_e32 v8, 8, v8
	s_cbranch_scc0 .LBB139_52
; %bb.53:                               ;   in Loop: Header=BB139_51 Depth=4
	s_add_co_i32 s18, s18, -1
	s_sub_co_i32 s20, s20, 64
	s_wait_alu 0xfffe
	s_cmp_le_i32 s18, s14
	s_cbranch_scc0 .LBB139_51
.LBB139_54:                             ;   in Loop: Header=BB139_48 Depth=3
	s_mov_b32 s38, 0
	s_mov_b32 s39, s36
	s_branch .LBB139_56
.LBB139_55:                             ;   in Loop: Header=BB139_56 Depth=4
	s_wait_alu 0xfffe
	s_mulk_i32 s20, 0x48
	s_lshl_b64 s[18:19], s[18:19], 3
	s_wait_alu 0xfffe
	v_mov_b32_e32 v9, s20
	s_add_co_i32 s38, s38, 1
	s_add_co_i32 s39, s39, -8
	s_wait_alu 0xfffe
	s_cmp_eq_u32 s38, s24
	ds_load_b64 v[19:20], v9
	s_wait_dscnt 0x0
	v_mul_f32_e32 v9, v20, v5
	v_mul_f32_e32 v22, v19, v5
	s_delay_alu instid0(VALU_DEP_2) | instskip(NEXT) | instid1(VALU_DEP_2)
	v_fma_f32 v21, v19, v4, -v9
	v_fmac_f32_e32 v22, v20, v4
	v_add_co_u32 v4, vcc_lo, v17, s18
	s_wait_alu 0xfffd
	v_add_co_ci_u32_e64 v5, null, s19, v18, vcc_lo
	ds_store_b64 v8, v[21:22]
	flat_store_b64 v[4:5], v[21:22]
	s_cbranch_scc1 .LBB139_47
.LBB139_56:                             ;   Parent Loop BB139_4 Depth=1
                                        ;     Parent Loop BB139_45 Depth=2
                                        ;       Parent Loop BB139_48 Depth=3
                                        ; =>      This Loop Header: Depth=4
                                        ;           Child Loop BB139_58 Depth 5
	s_wait_alu 0xfffe
	v_lshl_add_u32 v8, s38, 3, v11
	s_cmp_lg_u32 s38, 0
	s_cbranch_scc0 .LBB139_60
; %bb.57:                               ;   in Loop: Header=BB139_56 Depth=4
	ds_load_b64 v[4:5], v8
	v_mov_b32_e32 v9, v11
	s_mov_b32 s18, s39
	s_mov_b32 s19, s38
.LBB139_58:                             ;   Parent Loop BB139_4 Depth=1
                                        ;     Parent Loop BB139_45 Depth=2
                                        ;       Parent Loop BB139_48 Depth=3
                                        ;         Parent Loop BB139_56 Depth=4
                                        ; =>        This Inner Loop Header: Depth=5
	s_wait_alu 0xfffe
	v_mov_b32_e32 v21, s18
	s_add_co_i32 s19, s19, -1
	s_sub_co_i32 s18, s18, 64
	s_wait_alu 0xfffe
	s_cmp_eq_u32 s19, 0
	ds_load_b64 v[19:20], v9
	ds_load_b64 v[21:22], v21
	v_add_nc_u32_e32 v9, 8, v9
	s_wait_dscnt 0x0
	v_mul_f32_e32 v23, v22, v20
	v_mul_f32_e32 v20, v21, v20
	s_delay_alu instid0(VALU_DEP_2) | instskip(NEXT) | instid1(VALU_DEP_2)
	v_fma_f32 v21, v21, v19, -v23
	v_fmac_f32_e32 v20, v22, v19
	s_delay_alu instid0(VALU_DEP_1)
	v_dual_sub_f32 v4, v4, v21 :: v_dual_sub_f32 v5, v5, v20
	ds_store_b64 v8, v[4:5]
	s_cbranch_scc0 .LBB139_58
; %bb.59:                               ;   in Loop: Header=BB139_56 Depth=4
	s_sub_co_i32 s20, s14, s38
	s_wait_alu 0xfffe
	s_ashr_i32 s21, s20, 31
	s_wait_alu 0xfffe
	s_mov_b64 s[18:19], s[20:21]
	s_branch .LBB139_55
.LBB139_60:                             ;   in Loop: Header=BB139_56 Depth=4
                                        ; implicit-def: $vgpr4
                                        ; implicit-def: $sgpr20
                                        ; implicit-def: $sgpr18_sgpr19
	s_cbranch_execz .LBB139_55
; %bb.61:                               ;   in Loop: Header=BB139_56 Depth=4
	ds_load_b64 v[4:5], v11
	s_mov_b64 s[18:19], s[14:15]
	s_mov_b32 s20, s14
	s_branch .LBB139_55
.LBB139_62:
	s_endpgm
	.section	.rodata,"a",@progbits
	.p2align	6, 0x0
	.amdhsa_kernel _ZL30rocblas_trsm_small_left_deviceILi8ELi8ELb0E19rocblas_complex_numIfES1_PKPKS1_PKPS1_Ev13rocblas_fill_18rocblas_operation_17rocblas_diagonal_iiT3_T4_lilT5_lili
		.amdhsa_group_segment_fixed_size 1024
		.amdhsa_private_segment_fixed_size 0
		.amdhsa_kernarg_size 360
		.amdhsa_user_sgpr_count 4
		.amdhsa_user_sgpr_dispatch_ptr 1
		.amdhsa_user_sgpr_queue_ptr 0
		.amdhsa_user_sgpr_kernarg_segment_ptr 1
		.amdhsa_user_sgpr_dispatch_id 0
		.amdhsa_user_sgpr_private_segment_size 0
		.amdhsa_wavefront_size32 1
		.amdhsa_uses_dynamic_stack 0
		.amdhsa_enable_private_segment 0
		.amdhsa_system_sgpr_workgroup_id_x 1
		.amdhsa_system_sgpr_workgroup_id_y 0
		.amdhsa_system_sgpr_workgroup_id_z 1
		.amdhsa_system_sgpr_workgroup_info 0
		.amdhsa_system_vgpr_workitem_id 2
		.amdhsa_next_free_vgpr 28
		.amdhsa_next_free_sgpr 40
		.amdhsa_reserve_vcc 1
		.amdhsa_float_round_mode_32 0
		.amdhsa_float_round_mode_16_64 0
		.amdhsa_float_denorm_mode_32 3
		.amdhsa_float_denorm_mode_16_64 3
		.amdhsa_fp16_overflow 0
		.amdhsa_workgroup_processor_mode 1
		.amdhsa_memory_ordered 1
		.amdhsa_forward_progress 1
		.amdhsa_inst_pref_size 24
		.amdhsa_round_robin_scheduling 0
		.amdhsa_exception_fp_ieee_invalid_op 0
		.amdhsa_exception_fp_denorm_src 0
		.amdhsa_exception_fp_ieee_div_zero 0
		.amdhsa_exception_fp_ieee_overflow 0
		.amdhsa_exception_fp_ieee_underflow 0
		.amdhsa_exception_fp_ieee_inexact 0
		.amdhsa_exception_int_div_zero 0
	.end_amdhsa_kernel
	.section	.text._ZL30rocblas_trsm_small_left_deviceILi8ELi8ELb0E19rocblas_complex_numIfES1_PKPKS1_PKPS1_Ev13rocblas_fill_18rocblas_operation_17rocblas_diagonal_iiT3_T4_lilT5_lili,"axG",@progbits,_ZL30rocblas_trsm_small_left_deviceILi8ELi8ELb0E19rocblas_complex_numIfES1_PKPKS1_PKPS1_Ev13rocblas_fill_18rocblas_operation_17rocblas_diagonal_iiT3_T4_lilT5_lili,comdat
.Lfunc_end139:
	.size	_ZL30rocblas_trsm_small_left_deviceILi8ELi8ELb0E19rocblas_complex_numIfES1_PKPKS1_PKPS1_Ev13rocblas_fill_18rocblas_operation_17rocblas_diagonal_iiT3_T4_lilT5_lili, .Lfunc_end139-_ZL30rocblas_trsm_small_left_deviceILi8ELi8ELb0E19rocblas_complex_numIfES1_PKPKS1_PKPS1_Ev13rocblas_fill_18rocblas_operation_17rocblas_diagonal_iiT3_T4_lilT5_lili
                                        ; -- End function
	.set _ZL30rocblas_trsm_small_left_deviceILi8ELi8ELb0E19rocblas_complex_numIfES1_PKPKS1_PKPS1_Ev13rocblas_fill_18rocblas_operation_17rocblas_diagonal_iiT3_T4_lilT5_lili.num_vgpr, 28
	.set _ZL30rocblas_trsm_small_left_deviceILi8ELi8ELb0E19rocblas_complex_numIfES1_PKPKS1_PKPS1_Ev13rocblas_fill_18rocblas_operation_17rocblas_diagonal_iiT3_T4_lilT5_lili.num_agpr, 0
	.set _ZL30rocblas_trsm_small_left_deviceILi8ELi8ELb0E19rocblas_complex_numIfES1_PKPKS1_PKPS1_Ev13rocblas_fill_18rocblas_operation_17rocblas_diagonal_iiT3_T4_lilT5_lili.numbered_sgpr, 40
	.set _ZL30rocblas_trsm_small_left_deviceILi8ELi8ELb0E19rocblas_complex_numIfES1_PKPKS1_PKPS1_Ev13rocblas_fill_18rocblas_operation_17rocblas_diagonal_iiT3_T4_lilT5_lili.num_named_barrier, 0
	.set _ZL30rocblas_trsm_small_left_deviceILi8ELi8ELb0E19rocblas_complex_numIfES1_PKPKS1_PKPS1_Ev13rocblas_fill_18rocblas_operation_17rocblas_diagonal_iiT3_T4_lilT5_lili.private_seg_size, 0
	.set _ZL30rocblas_trsm_small_left_deviceILi8ELi8ELb0E19rocblas_complex_numIfES1_PKPKS1_PKPS1_Ev13rocblas_fill_18rocblas_operation_17rocblas_diagonal_iiT3_T4_lilT5_lili.uses_vcc, 1
	.set _ZL30rocblas_trsm_small_left_deviceILi8ELi8ELb0E19rocblas_complex_numIfES1_PKPKS1_PKPS1_Ev13rocblas_fill_18rocblas_operation_17rocblas_diagonal_iiT3_T4_lilT5_lili.uses_flat_scratch, 0
	.set _ZL30rocblas_trsm_small_left_deviceILi8ELi8ELb0E19rocblas_complex_numIfES1_PKPKS1_PKPS1_Ev13rocblas_fill_18rocblas_operation_17rocblas_diagonal_iiT3_T4_lilT5_lili.has_dyn_sized_stack, 0
	.set _ZL30rocblas_trsm_small_left_deviceILi8ELi8ELb0E19rocblas_complex_numIfES1_PKPKS1_PKPS1_Ev13rocblas_fill_18rocblas_operation_17rocblas_diagonal_iiT3_T4_lilT5_lili.has_recursion, 0
	.set _ZL30rocblas_trsm_small_left_deviceILi8ELi8ELb0E19rocblas_complex_numIfES1_PKPKS1_PKPS1_Ev13rocblas_fill_18rocblas_operation_17rocblas_diagonal_iiT3_T4_lilT5_lili.has_indirect_call, 0
	.section	.AMDGPU.csdata,"",@progbits
; Kernel info:
; codeLenInByte = 3056
; TotalNumSgprs: 42
; NumVgprs: 28
; ScratchSize: 0
; MemoryBound: 0
; FloatMode: 240
; IeeeMode: 1
; LDSByteSize: 1024 bytes/workgroup (compile time only)
; SGPRBlocks: 0
; VGPRBlocks: 3
; NumSGPRsForWavesPerEU: 42
; NumVGPRsForWavesPerEU: 28
; Occupancy: 16
; WaveLimiterHint : 1
; COMPUTE_PGM_RSRC2:SCRATCH_EN: 0
; COMPUTE_PGM_RSRC2:USER_SGPR: 4
; COMPUTE_PGM_RSRC2:TRAP_HANDLER: 0
; COMPUTE_PGM_RSRC2:TGID_X_EN: 1
; COMPUTE_PGM_RSRC2:TGID_Y_EN: 0
; COMPUTE_PGM_RSRC2:TGID_Z_EN: 1
; COMPUTE_PGM_RSRC2:TIDIG_COMP_CNT: 2
	.section	.text._ZL38rocblas_trsm_small_left_device_sharedBILi8ELi8ELb1E19rocblas_complex_numIfES1_PKPKS1_PKPS1_Ev13rocblas_fill_18rocblas_operation_17rocblas_diagonal_iiT3_T4_lilT5_lili,"axG",@progbits,_ZL38rocblas_trsm_small_left_device_sharedBILi8ELi8ELb1E19rocblas_complex_numIfES1_PKPKS1_PKPS1_Ev13rocblas_fill_18rocblas_operation_17rocblas_diagonal_iiT3_T4_lilT5_lili,comdat
	.globl	_ZL38rocblas_trsm_small_left_device_sharedBILi8ELi8ELb1E19rocblas_complex_numIfES1_PKPKS1_PKPS1_Ev13rocblas_fill_18rocblas_operation_17rocblas_diagonal_iiT3_T4_lilT5_lili ; -- Begin function _ZL38rocblas_trsm_small_left_device_sharedBILi8ELi8ELb1E19rocblas_complex_numIfES1_PKPKS1_PKPS1_Ev13rocblas_fill_18rocblas_operation_17rocblas_diagonal_iiT3_T4_lilT5_lili
	.p2align	8
	.type	_ZL38rocblas_trsm_small_left_device_sharedBILi8ELi8ELb1E19rocblas_complex_numIfES1_PKPKS1_PKPS1_Ev13rocblas_fill_18rocblas_operation_17rocblas_diagonal_iiT3_T4_lilT5_lili,@function
_ZL38rocblas_trsm_small_left_device_sharedBILi8ELi8ELb1E19rocblas_complex_numIfES1_PKPKS1_PKPS1_Ev13rocblas_fill_18rocblas_operation_17rocblas_diagonal_iiT3_T4_lilT5_lili: ; @_ZL38rocblas_trsm_small_left_device_sharedBILi8ELi8ELb1E19rocblas_complex_numIfES1_PKPKS1_PKPS1_Ev13rocblas_fill_18rocblas_operation_17rocblas_diagonal_iiT3_T4_lilT5_lili
; %bb.0:
	s_load_b32 s20, s[2:3], 0x60
	s_lshr_b32 s16, ttmp7, 16
	s_wait_kmcnt 0x0
	s_cmp_ge_u32 s16, s20
	s_cbranch_scc1 .LBB140_66
; %bb.1:
	s_clause 0x1
	s_load_b32 s18, s[2:3], 0x30
	s_load_b32 s26, s[2:3], 0x50
	s_load_b64 s[0:1], s[0:1], 0x4
	s_clause 0x2
	s_load_b128 s[12:15], s[2:3], 0x4
	s_load_b32 s17, s[2:3], 0x68
	s_load_b128 s[4:7], s[2:3], 0x20
	v_bfe_u32 v2, v0, 10, 10
	s_clause 0x1
	s_load_b128 s[8:11], s[2:3], 0x40
	s_load_b64 s[2:3], s[2:3], 0x14
	v_and_b32_e32 v1, 0x3ff, v0
	v_bfe_u32 v0, v0, 20, 10
	s_delay_alu instid0(VALU_DEP_2)
	v_lshlrev_b32_e32 v10, 3, v1
	s_wait_kmcnt 0x0
	s_ashr_i32 s19, s18, 31
	s_ashr_i32 s27, s26, 31
	s_lshr_b32 s0, s0, 16
	s_cmp_lg_u32 s12, 0x71
	v_mul_u32_u24_e32 v2, s1, v2
	s_mul_i32 s0, s0, s1
	s_cselect_b32 s1, -1, 0
	s_min_i32 s21, s14, 8
	s_wait_alu 0xfffe
	s_lshl_b32 s28, ttmp9, 3
	s_add_co_i32 s17, s17, -1
	s_add_co_i32 s22, s21, -1
	s_sub_co_i32 s15, s15, s28
	s_cmp_ge_u32 ttmp9, s17
	v_mul_u32_u24_e32 v3, s0, v1
	s_cselect_b32 s15, s15, 8
	s_ashr_i32 s29, s28, 31
	s_cmp_lg_u32 s13, 0x84
	v_cmp_gt_i32_e32 vcc_lo, s15, v1
	s_cselect_b32 s23, -1, 0
	s_cmp_gt_i32 s14, 0
	v_add3_u32 v0, v3, v2, v0
	s_cselect_b32 s17, -1, 0
	s_cmp_lg_u32 s12, 0x6f
	s_mul_u64 s[30:31], s[26:27], s[28:29]
	s_cselect_b32 s24, -1, 0
	s_lshl_b64 s[14:15], s[28:29], 3
	v_lshl_add_u32 v11, v0, 6, 0x400
	s_wait_alu 0xfffe
	v_or_b32_e32 v0, s14, v10
	s_lshl_b64 s[28:29], s[6:7], 3
	s_lshl_b64 s[6:7], s[10:11], 3
	s_mov_b32 s13, 0
	s_and_b32 s25, vcc_lo, s17
	v_mul_lo_u32 v7, v0, s27
	v_mad_co_u64_u32 v[4:5], null, v0, s26, s[6:7]
	v_add_co_u32 v0, s10, s28, v10
	s_delay_alu instid0(VALU_DEP_1)
	v_add_co_ci_u32_e64 v13, null, s29, 0, s10
	s_mul_i32 s10, s15, s26
	v_or_b32_e32 v14, 4, v0
	v_mov_b32_e32 v0, 1.0
	v_mad_co_i64_i32 v[2:3], null, s26, v1, 0
	v_lshlrev_b32_e32 v6, 6, v1
	v_cmp_gt_i32_e64 s0, s21, v1
	v_dual_mov_b32 v1, 0 :: v_dual_add_nc_u32 v12, 0x200, v10
	s_wait_alu 0xfffe
	v_add3_u32 v15, s10, v5, v7
	v_or_b32_e32 v16, 4, v4
	v_lshlrev_b64_e32 v[2:3], 3, v[2:3]
	v_add_nc_u32_e32 v17, v10, v6
	s_lshl_b32 s26, s21, 3
	s_lshl_b64 s[10:11], s[18:19], 3
	s_wait_alu 0xfffe
	s_add_co_i32 s26, s26, -8
	s_lshl_b64 s[14:15], s[30:31], 3
	s_branch .LBB140_3
.LBB140_2:                              ;   in Loop: Header=BB140_3 Depth=1
	s_or_b32 exec_lo, exec_lo, s12
	s_add_co_i32 s16, s16, 0x10000
	s_wait_alu 0xfffe
	s_cmp_lt_u32 s16, s20
	s_cbranch_scc0 .LBB140_66
.LBB140_3:                              ; =>This Loop Header: Depth=1
                                        ;     Child Loop BB140_6 Depth 2
                                        ;     Child Loop BB140_20 Depth 2
	;; [unrolled: 1-line block ×3, first 2 shown]
                                        ;       Child Loop BB140_27 Depth 3
                                        ;         Child Loop BB140_28 Depth 4
                                        ;         Child Loop BB140_30 Depth 4
                                        ;           Child Loop BB140_31 Depth 5
                                        ;         Child Loop BB140_35 Depth 4
                                        ;           Child Loop BB140_37 Depth 5
                                        ;     Child Loop BB140_45 Depth 2
                                        ;       Child Loop BB140_48 Depth 3
                                        ;         Child Loop BB140_49 Depth 4
                                        ;         Child Loop BB140_52 Depth 4
                                        ;           Child Loop BB140_53 Depth 5
                                        ;         Child Loop BB140_57 Depth 4
                                        ;           Child Loop BB140_59 Depth 5
                                        ;     Child Loop BB140_65 Depth 2
	s_mov_b32 s17, s13
	s_wait_alu 0xfffe
	s_lshl_b64 s[18:19], s[16:17], 3
	s_delay_alu instid0(SALU_CYCLE_1)
	s_add_nc_u64 s[28:29], s[8:9], s[18:19]
	global_load_b64 v[4:5], v1, s[28:29]
	s_and_saveexec_b32 s12, s0
	s_cbranch_execz .LBB140_18
; %bb.4:                                ;   in Loop: Header=BB140_3 Depth=1
	s_add_nc_u64 s[18:19], s[4:5], s[18:19]
	v_mov_b32_e32 v18, v10
	global_load_b64 v[6:7], v1, s[18:19]
	s_mov_b32 s17, s21
	s_wait_loadcnt 0x0
	v_add_co_u32 v6, vcc_lo, v6, v14
	s_wait_alu 0xfffd
	v_add_co_ci_u32_e64 v7, null, v7, v13, vcc_lo
	s_branch .LBB140_6
.LBB140_5:                              ;   in Loop: Header=BB140_6 Depth=2
	flat_load_b32 v8, v[6:7] offset:-4
	v_add_co_u32 v6, vcc_lo, v6, s10
	s_wait_alu 0xfffd
	v_add_co_ci_u32_e64 v7, null, s11, v7, vcc_lo
	s_add_co_i32 s17, s17, -1
	s_wait_alu 0xfffe
	s_cmp_eq_u32 s17, 0
	s_wait_loadcnt_dscnt 0x0
	ds_store_b64 v18, v[8:9]
	v_add_nc_u32_e32 v18, 64, v18
	s_cbranch_scc1 .LBB140_10
.LBB140_6:                              ;   Parent Loop BB140_3 Depth=1
                                        ; =>  This Inner Loop Header: Depth=2
	s_and_b32 vcc_lo, exec_lo, s1
	s_mov_b32 s18, -1
                                        ; implicit-def: $vgpr9
	s_wait_alu 0xfffe
	s_cbranch_vccz .LBB140_8
; %bb.7:                                ;   in Loop: Header=BB140_6 Depth=2
	flat_load_b32 v9, v[6:7]
	s_mov_b32 s18, 0
.LBB140_8:                              ;   in Loop: Header=BB140_6 Depth=2
	s_delay_alu instid0(SALU_CYCLE_1)
	s_and_not1_b32 vcc_lo, exec_lo, s18
	s_wait_alu 0xfffe
	s_cbranch_vccnz .LBB140_5
; %bb.9:                                ;   in Loop: Header=BB140_6 Depth=2
	flat_load_b32 v8, v[6:7]
	s_wait_loadcnt_dscnt 0x0
	v_xor_b32_e32 v9, 0x80000000, v8
	s_branch .LBB140_5
.LBB140_10:                             ;   in Loop: Header=BB140_3 Depth=1
	s_and_b32 vcc_lo, exec_lo, s23
	s_mov_b32 s17, -1
	s_wait_alu 0xfffe
	s_cbranch_vccz .LBB140_16
; %bb.11:                               ;   in Loop: Header=BB140_3 Depth=1
	ds_load_b64 v[6:7], v17
                                        ; implicit-def: $vgpr8
	s_wait_dscnt 0x0
	v_cmp_ngt_f32_e64 s17, |v6|, |v7|
	s_and_saveexec_b32 s18, s17
	s_delay_alu instid0(SALU_CYCLE_1)
	s_xor_b32 s17, exec_lo, s18
	s_cbranch_execz .LBB140_13
; %bb.12:                               ;   in Loop: Header=BB140_3 Depth=1
	v_div_scale_f32 v8, null, v7, v7, v6
	v_div_scale_f32 v19, vcc_lo, v6, v7, v6
	s_delay_alu instid0(VALU_DEP_2) | instskip(NEXT) | instid1(TRANS32_DEP_1)
	v_rcp_f32_e32 v9, v8
	v_fma_f32 v18, -v8, v9, 1.0
	s_delay_alu instid0(VALU_DEP_1) | instskip(NEXT) | instid1(VALU_DEP_1)
	v_fmac_f32_e32 v9, v18, v9
	v_mul_f32_e32 v18, v19, v9
	s_delay_alu instid0(VALU_DEP_1) | instskip(NEXT) | instid1(VALU_DEP_1)
	v_fma_f32 v20, -v8, v18, v19
	v_fmac_f32_e32 v18, v20, v9
	s_delay_alu instid0(VALU_DEP_1) | instskip(SKIP_1) | instid1(VALU_DEP_1)
	v_fma_f32 v8, -v8, v18, v19
	s_wait_alu 0xfffd
	v_div_fmas_f32 v8, v8, v9, v18
	s_delay_alu instid0(VALU_DEP_1) | instskip(NEXT) | instid1(VALU_DEP_1)
	v_div_fixup_f32 v8, v8, v7, v6
	v_fmac_f32_e32 v7, v6, v8
	s_delay_alu instid0(VALU_DEP_1) | instskip(SKIP_1) | instid1(VALU_DEP_2)
	v_div_scale_f32 v6, null, v7, v7, 1.0
	v_div_scale_f32 v19, vcc_lo, 1.0, v7, 1.0
	v_rcp_f32_e32 v9, v6
	s_delay_alu instid0(TRANS32_DEP_1) | instskip(NEXT) | instid1(VALU_DEP_1)
	v_fma_f32 v18, -v6, v9, 1.0
	v_fmac_f32_e32 v9, v18, v9
	s_delay_alu instid0(VALU_DEP_1) | instskip(NEXT) | instid1(VALU_DEP_1)
	v_mul_f32_e32 v18, v19, v9
	v_fma_f32 v20, -v6, v18, v19
	s_delay_alu instid0(VALU_DEP_1) | instskip(NEXT) | instid1(VALU_DEP_1)
	v_fmac_f32_e32 v18, v20, v9
	v_fma_f32 v6, -v6, v18, v19
	s_wait_alu 0xfffd
	s_delay_alu instid0(VALU_DEP_1) | instskip(SKIP_1) | instid1(VALU_DEP_2)
	v_div_fmas_f32 v6, v6, v9, v18
	v_add_f32_e32 v9, 0, v8
	v_div_fixup_f32 v6, v6, v7, 1.0
	v_fma_f32 v7, v8, 0, -1.0
	s_delay_alu instid0(VALU_DEP_2) | instskip(NEXT) | instid1(VALU_DEP_2)
	v_mul_f32_e32 v8, v9, v6
	v_mul_f32_e32 v9, v7, v6
                                        ; implicit-def: $vgpr6_vgpr7
.LBB140_13:                             ;   in Loop: Header=BB140_3 Depth=1
	s_wait_alu 0xfffe
	s_and_not1_saveexec_b32 s17, s17
	s_cbranch_execz .LBB140_15
; %bb.14:                               ;   in Loop: Header=BB140_3 Depth=1
	v_div_scale_f32 v8, null, v6, v6, v7
	v_div_scale_f32 v19, vcc_lo, v7, v6, v7
	s_delay_alu instid0(VALU_DEP_2) | instskip(NEXT) | instid1(TRANS32_DEP_1)
	v_rcp_f32_e32 v9, v8
	v_fma_f32 v18, -v8, v9, 1.0
	s_delay_alu instid0(VALU_DEP_1) | instskip(NEXT) | instid1(VALU_DEP_1)
	v_fmac_f32_e32 v9, v18, v9
	v_mul_f32_e32 v18, v19, v9
	s_delay_alu instid0(VALU_DEP_1) | instskip(NEXT) | instid1(VALU_DEP_1)
	v_fma_f32 v20, -v8, v18, v19
	v_fmac_f32_e32 v18, v20, v9
	s_delay_alu instid0(VALU_DEP_1) | instskip(SKIP_1) | instid1(VALU_DEP_1)
	v_fma_f32 v8, -v8, v18, v19
	s_wait_alu 0xfffd
	v_div_fmas_f32 v8, v8, v9, v18
	s_delay_alu instid0(VALU_DEP_1) | instskip(NEXT) | instid1(VALU_DEP_1)
	v_div_fixup_f32 v9, v8, v6, v7
	v_fmac_f32_e32 v6, v7, v9
	s_delay_alu instid0(VALU_DEP_1) | instskip(SKIP_1) | instid1(VALU_DEP_2)
	v_div_scale_f32 v7, null, v6, v6, 1.0
	v_div_scale_f32 v19, vcc_lo, 1.0, v6, 1.0
	v_rcp_f32_e32 v8, v7
	s_delay_alu instid0(TRANS32_DEP_1) | instskip(NEXT) | instid1(VALU_DEP_1)
	v_fma_f32 v18, -v7, v8, 1.0
	v_fmac_f32_e32 v8, v18, v8
	s_delay_alu instid0(VALU_DEP_1) | instskip(NEXT) | instid1(VALU_DEP_1)
	v_mul_f32_e32 v18, v19, v8
	v_fma_f32 v20, -v7, v18, v19
	s_delay_alu instid0(VALU_DEP_1) | instskip(NEXT) | instid1(VALU_DEP_1)
	v_fmac_f32_e32 v18, v20, v8
	v_fma_f32 v7, -v7, v18, v19
	s_wait_alu 0xfffd
	s_delay_alu instid0(VALU_DEP_1) | instskip(SKIP_1) | instid1(VALU_DEP_2)
	v_div_fmas_f32 v7, v7, v8, v18
	v_fma_f32 v8, v9, 0, 1.0
	v_div_fixup_f32 v6, v7, v6, 1.0
	s_delay_alu instid0(VALU_DEP_1)
	v_mul_f32_e32 v8, v8, v6
	v_mul_f32_e64 v9, -v9, v6
.LBB140_15:                             ;   in Loop: Header=BB140_3 Depth=1
	s_wait_alu 0xfffe
	s_or_b32 exec_lo, exec_lo, s17
	s_mov_b32 s17, 0
	ds_store_b64 v17, v[8:9]
.LBB140_16:                             ;   in Loop: Header=BB140_3 Depth=1
	s_wait_alu 0xfffe
	s_and_b32 vcc_lo, exec_lo, s17
	s_wait_alu 0xfffe
	s_cbranch_vccz .LBB140_18
; %bb.17:                               ;   in Loop: Header=BB140_3 Depth=1
	ds_store_b64 v17, v[0:1]
.LBB140_18:                             ;   in Loop: Header=BB140_3 Depth=1
	s_or_b32 exec_lo, exec_lo, s12
	s_and_saveexec_b32 s12, s25
	s_cbranch_execz .LBB140_21
; %bb.19:                               ;   in Loop: Header=BB140_3 Depth=1
	s_wait_loadcnt 0x0
	v_add_co_u32 v6, vcc_lo, v4, v16
	s_wait_alu 0xfffd
	v_add_co_ci_u32_e64 v7, null, v5, v15, vcc_lo
	v_mov_b32_e32 v8, v12
	s_mov_b32 s17, s21
.LBB140_20:                             ;   Parent Loop BB140_3 Depth=1
                                        ; =>  This Inner Loop Header: Depth=2
	flat_load_b64 v[18:19], v[6:7] offset:-4
	v_add_co_u32 v6, vcc_lo, v6, 8
	s_wait_alu 0xfffd
	v_add_co_ci_u32_e64 v7, null, 0, v7, vcc_lo
	s_wait_alu 0xfffe
	s_add_co_i32 s17, s17, -1
	s_wait_alu 0xfffe
	s_cmp_lg_u32 s17, 0
	s_wait_loadcnt_dscnt 0x0
	v_mul_f32_e32 v20, s2, v19
	s_delay_alu instid0(VALU_DEP_1) | instskip(NEXT) | instid1(VALU_DEP_1)
	v_dual_mul_f32 v9, s3, v19 :: v_dual_fmac_f32 v20, s3, v18
	v_fma_f32 v19, s2, v18, -v9
	ds_store_b64 v8, v[19:20]
	v_add_nc_u32_e32 v8, 64, v8
	s_cbranch_scc1 .LBB140_20
.LBB140_21:                             ;   in Loop: Header=BB140_3 Depth=1
	s_or_b32 exec_lo, exec_lo, s12
	s_delay_alu instid0(SALU_CYCLE_1)
	s_and_not1_b32 vcc_lo, exec_lo, s24
	s_mov_b32 s12, -1
	; wave barrier
	s_wait_loadcnt_dscnt 0x0
	global_inv scope:SCOPE_SE
	s_wait_alu 0xfffe
	s_cbranch_vccnz .LBB140_42
; %bb.22:                               ;   in Loop: Header=BB140_3 Depth=1
	s_mov_b32 s12, 0
	s_mov_b32 s17, s22
	s_branch .LBB140_24
.LBB140_23:                             ;   in Loop: Header=BB140_24 Depth=2
	s_cmp_gt_i32 s17, -1
	s_cselect_b32 s18, -1, 0
	s_add_co_i32 s19, s12, 1
	s_cmp_lt_u32 s12, 2
	s_cselect_b32 s12, -1, 0
	s_delay_alu instid0(SALU_CYCLE_1) | instskip(NEXT) | instid1(SALU_CYCLE_1)
	s_and_b32 s12, s18, s12
	s_and_b32 vcc_lo, exec_lo, s12
	s_mov_b32 s12, s19
	s_wait_alu 0xfffe
	s_cbranch_vccz .LBB140_41
.LBB140_24:                             ;   Parent Loop BB140_3 Depth=1
                                        ; =>  This Loop Header: Depth=2
                                        ;       Child Loop BB140_27 Depth 3
                                        ;         Child Loop BB140_28 Depth 4
                                        ;         Child Loop BB140_30 Depth 4
                                        ;           Child Loop BB140_31 Depth 5
                                        ;         Child Loop BB140_35 Depth 4
                                        ;           Child Loop BB140_37 Depth 5
	s_getpc_b64 s[18:19]
	s_sext_i32_i16 s19, s19
	s_add_co_u32 s18, s18, __const._ZL38rocblas_trsm_small_left_device_sharedBILi8ELi8ELb1E19rocblas_complex_numIfES1_PKPKS1_PKPS1_Ev13rocblas_fill_18rocblas_operation_17rocblas_diagonal_iiT3_T4_lilT5_lili.step_sizes@rel32@lo+8
	s_add_co_ci_u32 s19, s19, __const._ZL38rocblas_trsm_small_left_device_sharedBILi8ELi8ELb1E19rocblas_complex_numIfES1_PKPKS1_PKPS1_Ev13rocblas_fill_18rocblas_operation_17rocblas_diagonal_iiT3_T4_lilT5_lili.step_sizes@rel32@hi+16
	s_lshl_b64 s[28:29], s[12:13], 2
	s_wait_alu 0xfffe
	s_add_nc_u64 s[18:19], s[18:19], s[28:29]
	s_load_b32 s18, s[18:19], 0x0
	s_wait_kmcnt 0x0
	s_add_co_i32 s19, s18, -1
	s_delay_alu instid0(SALU_CYCLE_1)
	s_cmp_lt_i32 s17, s19
	s_cbranch_scc1 .LBB140_23
; %bb.25:                               ;   in Loop: Header=BB140_24 Depth=2
	s_lshl_b32 s29, s17, 6
	s_lshl_b32 s28, s18, 6
	s_wait_alu 0xfffe
	v_add_nc_u32_e32 v8, s29, v12
	s_max_i32 s27, s18, 1
	s_sub_co_i32 s28, 0, s28
	s_add_co_i32 s29, s26, s29
	s_mul_i32 s30, s17, 0x48
	s_mul_i32 s31, s18, 0xffffffb8
	s_branch .LBB140_27
.LBB140_26:                             ;   in Loop: Header=BB140_27 Depth=3
	v_add_nc_u32_e32 v8, s28, v8
	s_sub_co_i32 s17, s17, s18
	s_add_co_i32 s29, s29, s28
	s_add_co_i32 s30, s30, s31
	s_wait_alu 0xfffe
	s_cmp_lt_i32 s17, s19
	s_cbranch_scc1 .LBB140_23
.LBB140_27:                             ;   Parent Loop BB140_3 Depth=1
                                        ;     Parent Loop BB140_24 Depth=2
                                        ; =>    This Loop Header: Depth=3
                                        ;         Child Loop BB140_28 Depth 4
                                        ;         Child Loop BB140_30 Depth 4
                                        ;           Child Loop BB140_31 Depth 5
                                        ;         Child Loop BB140_35 Depth 4
                                        ;           Child Loop BB140_37 Depth 5
	v_dual_mov_b32 v6, v11 :: v_dual_mov_b32 v7, v8
	s_wait_alu 0xfffe
	s_mov_b32 s33, s27
.LBB140_28:                             ;   Parent Loop BB140_3 Depth=1
                                        ;     Parent Loop BB140_24 Depth=2
                                        ;       Parent Loop BB140_27 Depth=3
                                        ; =>      This Inner Loop Header: Depth=4
	ds_load_b64 v[18:19], v7
	v_subrev_nc_u32_e32 v7, 64, v7
	s_add_co_i32 s33, s33, -1
	s_delay_alu instid0(SALU_CYCLE_1)
	s_cmp_eq_u32 s33, 0
	s_wait_dscnt 0x0
	ds_store_b64 v6, v[18:19]
	v_add_nc_u32_e32 v6, 8, v6
	s_cbranch_scc0 .LBB140_28
; %bb.29:                               ;   in Loop: Header=BB140_27 Depth=3
	s_cmp_le_i32 s22, s17
	s_mov_b32 s33, s29
	s_mov_b32 s34, s22
	s_cbranch_scc1 .LBB140_33
.LBB140_30:                             ;   Parent Loop BB140_3 Depth=1
                                        ;     Parent Loop BB140_24 Depth=2
                                        ;       Parent Loop BB140_27 Depth=3
                                        ; =>      This Loop Header: Depth=4
                                        ;           Child Loop BB140_31 Depth 5
	s_wait_alu 0xfffe
	v_lshl_add_u32 v6, s34, 6, v12
	v_mov_b32_e32 v9, v11
	s_mov_b32 s35, s33
	s_mov_b32 s36, s27
	ds_load_b64 v[6:7], v6
.LBB140_31:                             ;   Parent Loop BB140_3 Depth=1
                                        ;     Parent Loop BB140_24 Depth=2
                                        ;       Parent Loop BB140_27 Depth=3
                                        ;         Parent Loop BB140_30 Depth=4
                                        ; =>        This Inner Loop Header: Depth=5
	s_wait_alu 0xfffe
	v_mov_b32_e32 v18, s35
	s_add_co_i32 s36, s36, -1
	s_sub_co_i32 s35, s35, 64
	s_wait_alu 0xfffe
	s_cmp_eq_u32 s36, 0
	ds_load_b64 v[18:19], v18
	ds_load_b64 v[20:21], v9
	s_wait_dscnt 0x1
	v_mul_f32_e32 v22, v19, v7
	v_mul_f32_e32 v19, v19, v6
	s_delay_alu instid0(VALU_DEP_2) | instskip(SKIP_1) | instid1(VALU_DEP_1)
	v_fma_f32 v22, v18, v6, -v22
	s_wait_dscnt 0x0
	v_dual_fmac_f32 v19, v18, v7 :: v_dual_sub_f32 v18, v20, v22
	s_delay_alu instid0(VALU_DEP_1)
	v_sub_f32_e32 v19, v21, v19
	ds_store_b64 v9, v[18:19]
	v_add_nc_u32_e32 v9, 8, v9
	s_cbranch_scc0 .LBB140_31
; %bb.32:                               ;   in Loop: Header=BB140_30 Depth=4
	s_add_co_i32 s34, s34, -1
	s_add_co_i32 s33, s33, -8
	s_wait_alu 0xfffe
	s_cmp_le_i32 s34, s17
	s_cbranch_scc0 .LBB140_30
.LBB140_33:                             ;   in Loop: Header=BB140_27 Depth=3
	s_lshl_b32 s33, s17, 6
	s_mov_b32 s34, 0
	s_mov_b32 s35, s30
	s_branch .LBB140_35
.LBB140_34:                             ;   in Loop: Header=BB140_35 Depth=4
	s_wait_alu 0xfffe
	s_mulk_i32 s37, 0x48
	s_add_co_i32 s34, s34, 1
	s_wait_alu 0xfffe
	v_mov_b32_e32 v18, s37
	s_sub_co_i32 s35, s35, 64
	s_cmp_eq_u32 s34, s27
	ds_load_b64 v[18:19], v18
	s_wait_dscnt 0x0
	v_mul_f32_e32 v20, v19, v7
	v_mul_f32_e32 v21, v18, v7
	s_delay_alu instid0(VALU_DEP_2) | instskip(NEXT) | instid1(VALU_DEP_2)
	v_fma_f32 v20, v18, v6, -v20
	v_dual_fmac_f32 v21, v19, v6 :: v_dual_add_nc_u32 v6, s36, v12
	ds_store_b64 v9, v[20:21]
	ds_store_b64 v6, v[20:21]
	s_cbranch_scc1 .LBB140_26
.LBB140_35:                             ;   Parent Loop BB140_3 Depth=1
                                        ;     Parent Loop BB140_24 Depth=2
                                        ;       Parent Loop BB140_27 Depth=3
                                        ; =>      This Loop Header: Depth=4
                                        ;           Child Loop BB140_37 Depth 5
	s_wait_alu 0xfffe
	v_lshl_add_u32 v9, s34, 3, v11
	s_cmp_lg_u32 s34, 0
	s_cbranch_scc0 .LBB140_39
; %bb.36:                               ;   in Loop: Header=BB140_35 Depth=4
	ds_load_b64 v[6:7], v9
	v_mov_b32_e32 v18, v11
	s_sub_co_i32 s37, s17, s34
	s_mov_b32 s38, s35
	s_wait_alu 0xfffe
	s_lshl_b32 s36, s37, 6
	s_mov_b32 s39, s34
.LBB140_37:                             ;   Parent Loop BB140_3 Depth=1
                                        ;     Parent Loop BB140_24 Depth=2
                                        ;       Parent Loop BB140_27 Depth=3
                                        ;         Parent Loop BB140_35 Depth=4
                                        ; =>        This Inner Loop Header: Depth=5
	v_mov_b32_e32 v21, s38
	s_wait_alu 0xfffe
	s_add_co_i32 s39, s39, -1
	s_add_co_i32 s38, s38, -8
	s_wait_alu 0xfffe
	s_cmp_eq_u32 s39, 0
	ds_load_b64 v[19:20], v18
	ds_load_b64 v[21:22], v21
	s_wait_dscnt 0x0
	v_dual_mul_f32 v23, v22, v20 :: v_dual_add_nc_u32 v18, 8, v18
	v_mul_f32_e32 v20, v21, v20
	s_delay_alu instid0(VALU_DEP_2) | instskip(NEXT) | instid1(VALU_DEP_2)
	v_fma_f32 v21, v21, v19, -v23
	v_fmac_f32_e32 v20, v22, v19
	s_delay_alu instid0(VALU_DEP_1)
	v_dual_sub_f32 v6, v6, v21 :: v_dual_sub_f32 v7, v7, v20
	ds_store_b64 v9, v[6:7]
	s_cbranch_scc0 .LBB140_37
; %bb.38:                               ;   in Loop: Header=BB140_35 Depth=4
	s_branch .LBB140_34
.LBB140_39:                             ;   in Loop: Header=BB140_35 Depth=4
                                        ; implicit-def: $vgpr6
                                        ; implicit-def: $sgpr37
                                        ; implicit-def: $sgpr36
	s_cbranch_execz .LBB140_34
; %bb.40:                               ;   in Loop: Header=BB140_35 Depth=4
	ds_load_b64 v[6:7], v11
	s_mov_b32 s36, s33
	s_mov_b32 s37, s17
	s_branch .LBB140_34
.LBB140_41:                             ;   in Loop: Header=BB140_3 Depth=1
	s_mov_b32 s12, 0
.LBB140_42:                             ;   in Loop: Header=BB140_3 Depth=1
	s_delay_alu instid0(SALU_CYCLE_1)
	s_and_b32 vcc_lo, exec_lo, s12
	s_wait_alu 0xfffe
	s_cbranch_vccz .LBB140_63
; %bb.43:                               ;   in Loop: Header=BB140_3 Depth=1
	s_mov_b32 s12, 0
	s_delay_alu instid0(SALU_CYCLE_1)
	s_mov_b32 s17, s12
	s_branch .LBB140_45
.LBB140_44:                             ;   in Loop: Header=BB140_45 Depth=2
	s_cmp_lt_i32 s17, s21
	s_cselect_b32 s18, -1, 0
	s_add_co_i32 s19, s12, 1
	s_cmp_lt_u32 s12, 2
	s_cselect_b32 s12, -1, 0
	s_delay_alu instid0(SALU_CYCLE_1) | instskip(NEXT) | instid1(SALU_CYCLE_1)
	s_and_b32 s12, s18, s12
	s_and_not1_b32 vcc_lo, exec_lo, s12
	s_mov_b32 s12, s19
	s_wait_alu 0xfffe
	s_cbranch_vccnz .LBB140_63
.LBB140_45:                             ;   Parent Loop BB140_3 Depth=1
                                        ; =>  This Loop Header: Depth=2
                                        ;       Child Loop BB140_48 Depth 3
                                        ;         Child Loop BB140_49 Depth 4
                                        ;         Child Loop BB140_52 Depth 4
                                        ;           Child Loop BB140_53 Depth 5
                                        ;         Child Loop BB140_57 Depth 4
                                        ;           Child Loop BB140_59 Depth 5
	s_getpc_b64 s[18:19]
	s_sext_i32_i16 s19, s19
	s_add_co_u32 s18, s18, __const._ZL38rocblas_trsm_small_left_device_sharedBILi8ELi8ELb1E19rocblas_complex_numIfES1_PKPKS1_PKPS1_Ev13rocblas_fill_18rocblas_operation_17rocblas_diagonal_iiT3_T4_lilT5_lili.step_sizes@rel32@lo+8
	s_add_co_ci_u32 s19, s19, __const._ZL38rocblas_trsm_small_left_device_sharedBILi8ELi8ELb1E19rocblas_complex_numIfES1_PKPKS1_PKPS1_Ev13rocblas_fill_18rocblas_operation_17rocblas_diagonal_iiT3_T4_lilT5_lili.step_sizes@rel32@hi+16
	s_lshl_b64 s[28:29], s[12:13], 2
	s_wait_alu 0xfffe
	s_add_nc_u64 s[18:19], s[18:19], s[28:29]
	s_load_b32 s18, s[18:19], 0x0
	s_wait_kmcnt 0x0
	s_add_co_i32 s19, s18, -1
	s_delay_alu instid0(SALU_CYCLE_1)
	s_add_co_i32 s27, s19, s17
	s_wait_alu 0xfffe
	s_cmp_ge_i32 s27, s21
	s_cbranch_scc1 .LBB140_44
; %bb.46:                               ;   in Loop: Header=BB140_45 Depth=2
	v_lshl_add_u32 v8, s17, 6, v12
	s_max_i32 s27, s18, 1
	s_lshl_b32 s28, s18, 6
	s_lshl_b32 s29, s17, 3
	;; [unrolled: 1-line block ×3, first 2 shown]
	s_mul_i32 s31, s17, 0x48
	s_mul_i32 s33, s18, 0x48
	s_branch .LBB140_48
.LBB140_47:                             ;   in Loop: Header=BB140_48 Depth=3
	s_add_co_i32 s17, s17, s18
	v_add_nc_u32_e32 v8, s28, v8
	s_wait_alu 0xfffe
	s_add_co_i32 s34, s19, s17
	s_add_co_i32 s29, s29, s30
	;; [unrolled: 1-line block ×3, first 2 shown]
	s_wait_alu 0xfffe
	s_cmp_ge_i32 s34, s21
	s_cbranch_scc1 .LBB140_44
.LBB140_48:                             ;   Parent Loop BB140_3 Depth=1
                                        ;     Parent Loop BB140_45 Depth=2
                                        ; =>    This Loop Header: Depth=3
                                        ;         Child Loop BB140_49 Depth 4
                                        ;         Child Loop BB140_52 Depth 4
                                        ;           Child Loop BB140_53 Depth 5
                                        ;         Child Loop BB140_57 Depth 4
                                        ;           Child Loop BB140_59 Depth 5
	v_dual_mov_b32 v6, v11 :: v_dual_mov_b32 v7, v8
	s_wait_alu 0xfffe
	s_mov_b32 s34, s27
.LBB140_49:                             ;   Parent Loop BB140_3 Depth=1
                                        ;     Parent Loop BB140_45 Depth=2
                                        ;       Parent Loop BB140_48 Depth=3
                                        ; =>      This Inner Loop Header: Depth=4
	ds_load_b64 v[18:19], v7
	v_add_nc_u32_e32 v7, 64, v7
	s_wait_alu 0xfffe
	s_add_co_i32 s34, s34, -1
	s_wait_alu 0xfffe
	s_cmp_eq_u32 s34, 0
	s_wait_dscnt 0x0
	ds_store_b64 v6, v[18:19]
	v_add_nc_u32_e32 v6, 8, v6
	s_cbranch_scc0 .LBB140_49
; %bb.50:                               ;   in Loop: Header=BB140_48 Depth=3
	s_cmp_lt_i32 s17, 1
	s_cbranch_scc1 .LBB140_55
; %bb.51:                               ;   in Loop: Header=BB140_48 Depth=3
	s_mov_b32 s34, 0
	s_mov_b32 s35, s29
.LBB140_52:                             ;   Parent Loop BB140_3 Depth=1
                                        ;     Parent Loop BB140_45 Depth=2
                                        ;       Parent Loop BB140_48 Depth=3
                                        ; =>      This Loop Header: Depth=4
                                        ;           Child Loop BB140_53 Depth 5
	s_wait_alu 0xfffe
	v_lshl_add_u32 v6, s34, 6, v12
	v_mov_b32_e32 v9, v11
	s_mov_b32 s36, s35
	s_mov_b32 s37, s27
	ds_load_b64 v[6:7], v6
.LBB140_53:                             ;   Parent Loop BB140_3 Depth=1
                                        ;     Parent Loop BB140_45 Depth=2
                                        ;       Parent Loop BB140_48 Depth=3
                                        ;         Parent Loop BB140_52 Depth=4
                                        ; =>        This Inner Loop Header: Depth=5
	s_wait_alu 0xfffe
	v_mov_b32_e32 v18, s36
	s_add_co_i32 s37, s37, -1
	s_add_co_i32 s36, s36, 8
	s_wait_alu 0xfffe
	s_cmp_eq_u32 s37, 0
	ds_load_b64 v[18:19], v18
	ds_load_b64 v[20:21], v9
	s_wait_dscnt 0x1
	v_mul_f32_e32 v22, v19, v7
	v_mul_f32_e32 v19, v19, v6
	s_delay_alu instid0(VALU_DEP_2) | instskip(SKIP_1) | instid1(VALU_DEP_1)
	v_fma_f32 v22, v18, v6, -v22
	s_wait_dscnt 0x0
	v_dual_fmac_f32 v19, v18, v7 :: v_dual_sub_f32 v18, v20, v22
	s_delay_alu instid0(VALU_DEP_1)
	v_sub_f32_e32 v19, v21, v19
	ds_store_b64 v9, v[18:19]
	v_add_nc_u32_e32 v9, 8, v9
	s_cbranch_scc0 .LBB140_53
; %bb.54:                               ;   in Loop: Header=BB140_52 Depth=4
	s_add_co_i32 s34, s34, 1
	s_add_co_i32 s35, s35, 64
	s_wait_alu 0xfffe
	s_cmp_eq_u32 s34, s17
	s_cbranch_scc0 .LBB140_52
.LBB140_55:                             ;   in Loop: Header=BB140_48 Depth=3
	s_mov_b32 s34, 0
	s_mov_b32 s35, s31
	s_branch .LBB140_57
.LBB140_56:                             ;   in Loop: Header=BB140_57 Depth=4
	s_add_co_i32 s36, s34, s17
	s_add_co_i32 s34, s34, 1
	s_wait_alu 0xfffe
	s_mul_i32 s37, s36, 0x48
	s_add_co_i32 s35, s35, 8
	s_wait_alu 0xfffe
	v_mov_b32_e32 v18, s37
	s_cmp_eq_u32 s34, s27
	ds_load_b64 v[18:19], v18
	s_wait_dscnt 0x0
	v_mul_f32_e32 v20, v19, v7
	v_mul_f32_e32 v21, v18, v7
	s_delay_alu instid0(VALU_DEP_2) | instskip(NEXT) | instid1(VALU_DEP_2)
	v_fma_f32 v20, v18, v6, -v20
	v_fmac_f32_e32 v21, v19, v6
	v_lshl_add_u32 v6, s36, 6, v12
	ds_store_b64 v9, v[20:21]
	ds_store_b64 v6, v[20:21]
	s_cbranch_scc1 .LBB140_47
.LBB140_57:                             ;   Parent Loop BB140_3 Depth=1
                                        ;     Parent Loop BB140_45 Depth=2
                                        ;       Parent Loop BB140_48 Depth=3
                                        ; =>      This Loop Header: Depth=4
                                        ;           Child Loop BB140_59 Depth 5
	s_wait_alu 0xfffe
	v_lshl_add_u32 v9, s34, 3, v11
	s_cmp_lg_u32 s34, 0
	s_cbranch_scc0 .LBB140_61
; %bb.58:                               ;   in Loop: Header=BB140_57 Depth=4
	ds_load_b64 v[6:7], v9
	v_mov_b32_e32 v18, v11
	s_mov_b32 s36, s35
	s_mov_b32 s37, s34
.LBB140_59:                             ;   Parent Loop BB140_3 Depth=1
                                        ;     Parent Loop BB140_45 Depth=2
                                        ;       Parent Loop BB140_48 Depth=3
                                        ;         Parent Loop BB140_57 Depth=4
                                        ; =>        This Inner Loop Header: Depth=5
	s_wait_alu 0xfffe
	v_mov_b32_e32 v21, s36
	s_add_co_i32 s37, s37, -1
	s_add_co_i32 s36, s36, 64
	s_wait_alu 0xfffe
	s_cmp_eq_u32 s37, 0
	ds_load_b64 v[19:20], v18
	ds_load_b64 v[21:22], v21
	s_wait_dscnt 0x0
	v_dual_mul_f32 v23, v22, v20 :: v_dual_add_nc_u32 v18, 8, v18
	v_mul_f32_e32 v20, v21, v20
	s_delay_alu instid0(VALU_DEP_2) | instskip(NEXT) | instid1(VALU_DEP_2)
	v_fma_f32 v21, v21, v19, -v23
	v_fmac_f32_e32 v20, v22, v19
	s_delay_alu instid0(VALU_DEP_1)
	v_dual_sub_f32 v6, v6, v21 :: v_dual_sub_f32 v7, v7, v20
	ds_store_b64 v9, v[6:7]
	s_cbranch_scc0 .LBB140_59
; %bb.60:                               ;   in Loop: Header=BB140_57 Depth=4
	s_branch .LBB140_56
.LBB140_61:                             ;   in Loop: Header=BB140_57 Depth=4
                                        ; implicit-def: $vgpr6
	s_cbranch_execz .LBB140_56
; %bb.62:                               ;   in Loop: Header=BB140_57 Depth=4
	ds_load_b64 v[6:7], v11
	s_branch .LBB140_56
.LBB140_63:                             ;   in Loop: Header=BB140_3 Depth=1
	; wave barrier
	s_wait_loadcnt_dscnt 0x0
	global_inv scope:SCOPE_SE
	s_and_saveexec_b32 s12, s25
	s_cbranch_execz .LBB140_2
; %bb.64:                               ;   in Loop: Header=BB140_3 Depth=1
	v_add_co_u32 v4, vcc_lo, v4, s6
	s_wait_alu 0xfffd
	v_add_co_ci_u32_e64 v5, null, s7, v5, vcc_lo
	v_mov_b32_e32 v6, v12
	s_delay_alu instid0(VALU_DEP_3) | instskip(SKIP_1) | instid1(VALU_DEP_3)
	v_add_co_u32 v4, vcc_lo, v4, s14
	s_wait_alu 0xfffd
	v_add_co_ci_u32_e64 v5, null, s15, v5, vcc_lo
	s_mov_b32 s17, s21
	v_add_co_u32 v4, vcc_lo, v4, v2
	s_wait_alu 0xfffd
	v_add_co_ci_u32_e64 v5, null, v5, v3, vcc_lo
.LBB140_65:                             ;   Parent Loop BB140_3 Depth=1
                                        ; =>  This Inner Loop Header: Depth=2
	ds_load_b64 v[7:8], v6
	v_add_nc_u32_e32 v6, 64, v6
	s_wait_alu 0xfffe
	s_add_co_i32 s17, s17, -1
	s_wait_alu 0xfffe
	s_cmp_lg_u32 s17, 0
	s_wait_dscnt 0x0
	flat_store_b64 v[4:5], v[7:8]
	v_add_co_u32 v4, vcc_lo, v4, 8
	s_wait_alu 0xfffd
	v_add_co_ci_u32_e64 v5, null, 0, v5, vcc_lo
	s_cbranch_scc1 .LBB140_65
	s_branch .LBB140_2
.LBB140_66:
	s_endpgm
	.section	.rodata,"a",@progbits
	.p2align	6, 0x0
	.amdhsa_kernel _ZL38rocblas_trsm_small_left_device_sharedBILi8ELi8ELb1E19rocblas_complex_numIfES1_PKPKS1_PKPS1_Ev13rocblas_fill_18rocblas_operation_17rocblas_diagonal_iiT3_T4_lilT5_lili
		.amdhsa_group_segment_fixed_size 1536
		.amdhsa_private_segment_fixed_size 0
		.amdhsa_kernarg_size 360
		.amdhsa_user_sgpr_count 4
		.amdhsa_user_sgpr_dispatch_ptr 1
		.amdhsa_user_sgpr_queue_ptr 0
		.amdhsa_user_sgpr_kernarg_segment_ptr 1
		.amdhsa_user_sgpr_dispatch_id 0
		.amdhsa_user_sgpr_private_segment_size 0
		.amdhsa_wavefront_size32 1
		.amdhsa_uses_dynamic_stack 0
		.amdhsa_enable_private_segment 0
		.amdhsa_system_sgpr_workgroup_id_x 1
		.amdhsa_system_sgpr_workgroup_id_y 0
		.amdhsa_system_sgpr_workgroup_id_z 1
		.amdhsa_system_sgpr_workgroup_info 0
		.amdhsa_system_vgpr_workitem_id 2
		.amdhsa_next_free_vgpr 24
		.amdhsa_next_free_sgpr 40
		.amdhsa_reserve_vcc 1
		.amdhsa_float_round_mode_32 0
		.amdhsa_float_round_mode_16_64 0
		.amdhsa_float_denorm_mode_32 3
		.amdhsa_float_denorm_mode_16_64 3
		.amdhsa_fp16_overflow 0
		.amdhsa_workgroup_processor_mode 1
		.amdhsa_memory_ordered 1
		.amdhsa_forward_progress 1
		.amdhsa_inst_pref_size 24
		.amdhsa_round_robin_scheduling 0
		.amdhsa_exception_fp_ieee_invalid_op 0
		.amdhsa_exception_fp_denorm_src 0
		.amdhsa_exception_fp_ieee_div_zero 0
		.amdhsa_exception_fp_ieee_overflow 0
		.amdhsa_exception_fp_ieee_underflow 0
		.amdhsa_exception_fp_ieee_inexact 0
		.amdhsa_exception_int_div_zero 0
	.end_amdhsa_kernel
	.section	.text._ZL38rocblas_trsm_small_left_device_sharedBILi8ELi8ELb1E19rocblas_complex_numIfES1_PKPKS1_PKPS1_Ev13rocblas_fill_18rocblas_operation_17rocblas_diagonal_iiT3_T4_lilT5_lili,"axG",@progbits,_ZL38rocblas_trsm_small_left_device_sharedBILi8ELi8ELb1E19rocblas_complex_numIfES1_PKPKS1_PKPS1_Ev13rocblas_fill_18rocblas_operation_17rocblas_diagonal_iiT3_T4_lilT5_lili,comdat
.Lfunc_end140:
	.size	_ZL38rocblas_trsm_small_left_device_sharedBILi8ELi8ELb1E19rocblas_complex_numIfES1_PKPKS1_PKPS1_Ev13rocblas_fill_18rocblas_operation_17rocblas_diagonal_iiT3_T4_lilT5_lili, .Lfunc_end140-_ZL38rocblas_trsm_small_left_device_sharedBILi8ELi8ELb1E19rocblas_complex_numIfES1_PKPKS1_PKPS1_Ev13rocblas_fill_18rocblas_operation_17rocblas_diagonal_iiT3_T4_lilT5_lili
                                        ; -- End function
	.set _ZL38rocblas_trsm_small_left_device_sharedBILi8ELi8ELb1E19rocblas_complex_numIfES1_PKPKS1_PKPS1_Ev13rocblas_fill_18rocblas_operation_17rocblas_diagonal_iiT3_T4_lilT5_lili.num_vgpr, 24
	.set _ZL38rocblas_trsm_small_left_device_sharedBILi8ELi8ELb1E19rocblas_complex_numIfES1_PKPKS1_PKPS1_Ev13rocblas_fill_18rocblas_operation_17rocblas_diagonal_iiT3_T4_lilT5_lili.num_agpr, 0
	.set _ZL38rocblas_trsm_small_left_device_sharedBILi8ELi8ELb1E19rocblas_complex_numIfES1_PKPKS1_PKPS1_Ev13rocblas_fill_18rocblas_operation_17rocblas_diagonal_iiT3_T4_lilT5_lili.numbered_sgpr, 40
	.set _ZL38rocblas_trsm_small_left_device_sharedBILi8ELi8ELb1E19rocblas_complex_numIfES1_PKPKS1_PKPS1_Ev13rocblas_fill_18rocblas_operation_17rocblas_diagonal_iiT3_T4_lilT5_lili.num_named_barrier, 0
	.set _ZL38rocblas_trsm_small_left_device_sharedBILi8ELi8ELb1E19rocblas_complex_numIfES1_PKPKS1_PKPS1_Ev13rocblas_fill_18rocblas_operation_17rocblas_diagonal_iiT3_T4_lilT5_lili.private_seg_size, 0
	.set _ZL38rocblas_trsm_small_left_device_sharedBILi8ELi8ELb1E19rocblas_complex_numIfES1_PKPKS1_PKPS1_Ev13rocblas_fill_18rocblas_operation_17rocblas_diagonal_iiT3_T4_lilT5_lili.uses_vcc, 1
	.set _ZL38rocblas_trsm_small_left_device_sharedBILi8ELi8ELb1E19rocblas_complex_numIfES1_PKPKS1_PKPS1_Ev13rocblas_fill_18rocblas_operation_17rocblas_diagonal_iiT3_T4_lilT5_lili.uses_flat_scratch, 0
	.set _ZL38rocblas_trsm_small_left_device_sharedBILi8ELi8ELb1E19rocblas_complex_numIfES1_PKPKS1_PKPS1_Ev13rocblas_fill_18rocblas_operation_17rocblas_diagonal_iiT3_T4_lilT5_lili.has_dyn_sized_stack, 0
	.set _ZL38rocblas_trsm_small_left_device_sharedBILi8ELi8ELb1E19rocblas_complex_numIfES1_PKPKS1_PKPS1_Ev13rocblas_fill_18rocblas_operation_17rocblas_diagonal_iiT3_T4_lilT5_lili.has_recursion, 0
	.set _ZL38rocblas_trsm_small_left_device_sharedBILi8ELi8ELb1E19rocblas_complex_numIfES1_PKPKS1_PKPS1_Ev13rocblas_fill_18rocblas_operation_17rocblas_diagonal_iiT3_T4_lilT5_lili.has_indirect_call, 0
	.section	.AMDGPU.csdata,"",@progbits
; Kernel info:
; codeLenInByte = 3012
; TotalNumSgprs: 42
; NumVgprs: 24
; ScratchSize: 0
; MemoryBound: 0
; FloatMode: 240
; IeeeMode: 1
; LDSByteSize: 1536 bytes/workgroup (compile time only)
; SGPRBlocks: 0
; VGPRBlocks: 2
; NumSGPRsForWavesPerEU: 42
; NumVGPRsForWavesPerEU: 24
; Occupancy: 16
; WaveLimiterHint : 0
; COMPUTE_PGM_RSRC2:SCRATCH_EN: 0
; COMPUTE_PGM_RSRC2:USER_SGPR: 4
; COMPUTE_PGM_RSRC2:TRAP_HANDLER: 0
; COMPUTE_PGM_RSRC2:TGID_X_EN: 1
; COMPUTE_PGM_RSRC2:TGID_Y_EN: 0
; COMPUTE_PGM_RSRC2:TGID_Z_EN: 1
; COMPUTE_PGM_RSRC2:TIDIG_COMP_CNT: 2
	.section	.text._ZL30rocblas_trsm_small_left_deviceILi8ELi8ELb1E19rocblas_complex_numIfES1_PKPKS1_PKPS1_Ev13rocblas_fill_18rocblas_operation_17rocblas_diagonal_iiT3_T4_lilT5_lili,"axG",@progbits,_ZL30rocblas_trsm_small_left_deviceILi8ELi8ELb1E19rocblas_complex_numIfES1_PKPKS1_PKPS1_Ev13rocblas_fill_18rocblas_operation_17rocblas_diagonal_iiT3_T4_lilT5_lili,comdat
	.globl	_ZL30rocblas_trsm_small_left_deviceILi8ELi8ELb1E19rocblas_complex_numIfES1_PKPKS1_PKPS1_Ev13rocblas_fill_18rocblas_operation_17rocblas_diagonal_iiT3_T4_lilT5_lili ; -- Begin function _ZL30rocblas_trsm_small_left_deviceILi8ELi8ELb1E19rocblas_complex_numIfES1_PKPKS1_PKPS1_Ev13rocblas_fill_18rocblas_operation_17rocblas_diagonal_iiT3_T4_lilT5_lili
	.p2align	8
	.type	_ZL30rocblas_trsm_small_left_deviceILi8ELi8ELb1E19rocblas_complex_numIfES1_PKPKS1_PKPS1_Ev13rocblas_fill_18rocblas_operation_17rocblas_diagonal_iiT3_T4_lilT5_lili,@function
_ZL30rocblas_trsm_small_left_deviceILi8ELi8ELb1E19rocblas_complex_numIfES1_PKPKS1_PKPS1_Ev13rocblas_fill_18rocblas_operation_17rocblas_diagonal_iiT3_T4_lilT5_lili: ; @_ZL30rocblas_trsm_small_left_deviceILi8ELi8ELb1E19rocblas_complex_numIfES1_PKPKS1_PKPS1_Ev13rocblas_fill_18rocblas_operation_17rocblas_diagonal_iiT3_T4_lilT5_lili
; %bb.0:
	s_load_b32 s24, s[2:3], 0x60
	s_lshr_b32 s16, ttmp7, 16
	s_wait_kmcnt 0x0
	s_cmp_ge_u32 s16, s24
	s_cbranch_scc1 .LBB141_62
; %bb.1:
	s_load_b32 s18, s[2:3], 0x30
	s_load_b64 s[0:1], s[0:1], 0x4
	s_clause 0x5
	s_load_b128 s[12:15], s[2:3], 0x4
	s_load_b32 s17, s[2:3], 0x68
	s_load_b128 s[4:7], s[2:3], 0x20
	s_load_b128 s[8:11], s[2:3], 0x40
	s_load_b32 s20, s[2:3], 0x50
	s_load_b64 s[2:3], s[2:3], 0x14
	v_bfe_u32 v2, v0, 10, 10
	v_and_b32_e32 v1, 0x3ff, v0
	v_bfe_u32 v0, v0, 20, 10
	s_mov_b32 s31, 0
	s_delay_alu instid0(VALU_DEP_2)
	v_lshlrev_b32_e32 v10, 3, v1
	s_wait_kmcnt 0x0
	s_ashr_i32 s19, s18, 31
	s_lshr_b32 s0, s0, 16
	s_cmp_lg_u32 s12, 0x71
	v_mul_u32_u24_e32 v2, s1, v2
	s_mul_i32 s0, s0, s1
	s_cselect_b32 s25, -1, 0
	s_wait_alu 0xfffe
	s_lshl_b32 s1, ttmp9, 3
	v_mul_u32_u24_e32 v3, s0, v1
	s_wait_alu 0xfffe
	v_or_b32_e32 v5, s1, v1
	s_min_i32 s26, s14, 8
	s_add_co_i32 s17, s17, -1
	s_add_co_i32 s27, s26, -1
	s_sub_co_i32 s14, s15, s1
	v_add3_u32 v0, v3, v2, v0
	v_mad_co_i64_i32 v[2:3], null, s20, v5, 0
	s_cmp_ge_u32 ttmp9, s17
	s_cselect_b32 s1, s14, 8
	s_cmp_lg_u32 s13, 0x84
	v_lshl_add_u32 v11, v0, 6, 0x200
	s_cselect_b32 s28, -1, 0
	s_cmp_lg_u32 s12, 0x6f
	v_lshlrev_b64_e32 v[2:3], 3, v[2:3]
	s_cselect_b32 s29, -1, 0
	s_lshl_b64 s[6:7], s[6:7], 3
	s_lshl_b32 s30, s26, 3
	v_add_co_u32 v0, s6, s6, v10
	s_wait_alu 0xf1ff
	v_add_co_ci_u32_e64 v12, null, s7, 0, s6
	s_lshl_b64 s[6:7], s[10:11], 3
	v_or_b32_e32 v13, 4, v0
	s_wait_alu 0xfffe
	v_add_co_u32 v5, vcc_lo, v2, s6
	v_mov_b32_e32 v0, 1.0
	v_lshlrev_b32_e32 v4, 6, v1
	v_cmp_gt_i32_e64 s0, s26, v1
	v_cmp_gt_i32_e64 s1, s1, v1
	v_mov_b32_e32 v1, 0
	v_add_co_ci_u32_e64 v14, null, s7, v3, vcc_lo
	v_or_b32_e32 v15, 4, v5
	v_add_nc_u32_e32 v16, v10, v4
	s_lshl_b64 s[10:11], s[18:19], 3
	s_add_co_i32 s30, s30, -8
	s_mov_b32 s13, 0
	s_branch .LBB141_4
.LBB141_2:                              ;   in Loop: Header=BB141_4 Depth=1
	s_add_co_i32 s16, s16, 0x10000
	s_delay_alu instid0(SALU_CYCLE_1)
	s_cmp_ge_u32 s16, s24
	s_cselect_b32 s12, -1, 0
	s_wait_alu 0xfffe
	s_or_not1_b32 s12, s12, exec_lo
.LBB141_3:                              ;   in Loop: Header=BB141_4 Depth=1
	s_or_b32 exec_lo, exec_lo, s17
	s_wait_alu 0xfffe
	s_and_b32 s12, exec_lo, s12
	s_wait_alu 0xfffe
	s_or_b32 s31, s12, s31
	s_delay_alu instid0(SALU_CYCLE_1)
	s_and_not1_b32 exec_lo, exec_lo, s31
	s_cbranch_execz .LBB141_62
.LBB141_4:                              ; =>This Loop Header: Depth=1
                                        ;     Child Loop BB141_7 Depth 2
                                        ;     Child Loop BB141_23 Depth 2
                                        ;       Child Loop BB141_26 Depth 3
                                        ;         Child Loop BB141_27 Depth 4
                                        ;         Child Loop BB141_29 Depth 4
                                        ;           Child Loop BB141_30 Depth 5
                                        ;         Child Loop BB141_34 Depth 4
                                        ;           Child Loop BB141_36 Depth 5
                                        ;     Child Loop BB141_44 Depth 2
                                        ;       Child Loop BB141_47 Depth 3
                                        ;         Child Loop BB141_48 Depth 4
                                        ;         Child Loop BB141_51 Depth 4
                                        ;           Child Loop BB141_52 Depth 5
                                        ;         Child Loop BB141_56 Depth 4
                                        ;           Child Loop BB141_58 Depth 5
	s_mov_b32 s17, s13
	s_delay_alu instid0(SALU_CYCLE_1) | instskip(NEXT) | instid1(SALU_CYCLE_1)
	s_lshl_b64 s[14:15], s[16:17], 3
	s_add_nc_u64 s[18:19], s[8:9], s[14:15]
	global_load_b64 v[4:5], v1, s[18:19]
	s_and_saveexec_b32 s12, s0
	s_cbranch_execz .LBB141_19
; %bb.5:                                ;   in Loop: Header=BB141_4 Depth=1
	s_add_nc_u64 s[14:15], s[4:5], s[14:15]
	v_mov_b32_e32 v17, v10
	global_load_b64 v[6:7], v1, s[14:15]
	s_mov_b32 s14, s26
	s_wait_loadcnt 0x0
	v_add_co_u32 v6, vcc_lo, v6, v13
	s_wait_alu 0xfffd
	v_add_co_ci_u32_e64 v7, null, v7, v12, vcc_lo
	s_branch .LBB141_7
.LBB141_6:                              ;   in Loop: Header=BB141_7 Depth=2
	flat_load_b32 v8, v[6:7] offset:-4
	v_add_co_u32 v6, vcc_lo, v6, s10
	s_wait_alu 0xfffd
	v_add_co_ci_u32_e64 v7, null, s11, v7, vcc_lo
	s_add_co_i32 s14, s14, -1
	s_delay_alu instid0(SALU_CYCLE_1)
	s_cmp_eq_u32 s14, 0
	s_wait_loadcnt_dscnt 0x0
	ds_store_b64 v17, v[8:9]
	v_add_nc_u32_e32 v17, 64, v17
	s_cbranch_scc1 .LBB141_11
.LBB141_7:                              ;   Parent Loop BB141_4 Depth=1
                                        ; =>  This Inner Loop Header: Depth=2
	s_and_b32 vcc_lo, exec_lo, s25
	s_mov_b32 s15, -1
                                        ; implicit-def: $vgpr9
	s_wait_alu 0xfffe
	s_cbranch_vccz .LBB141_9
; %bb.8:                                ;   in Loop: Header=BB141_7 Depth=2
	flat_load_b32 v9, v[6:7]
	s_mov_b32 s15, 0
.LBB141_9:                              ;   in Loop: Header=BB141_7 Depth=2
	s_delay_alu instid0(SALU_CYCLE_1)
	s_and_not1_b32 vcc_lo, exec_lo, s15
	s_wait_alu 0xfffe
	s_cbranch_vccnz .LBB141_6
; %bb.10:                               ;   in Loop: Header=BB141_7 Depth=2
	flat_load_b32 v8, v[6:7]
	s_wait_loadcnt_dscnt 0x0
	v_xor_b32_e32 v9, 0x80000000, v8
	s_branch .LBB141_6
.LBB141_11:                             ;   in Loop: Header=BB141_4 Depth=1
	s_and_b32 vcc_lo, exec_lo, s28
	s_mov_b32 s14, -1
	s_wait_alu 0xfffe
	s_cbranch_vccz .LBB141_17
; %bb.12:                               ;   in Loop: Header=BB141_4 Depth=1
	ds_load_b64 v[6:7], v16
                                        ; implicit-def: $vgpr8
	s_wait_dscnt 0x0
	v_cmp_ngt_f32_e64 s14, |v6|, |v7|
	s_and_saveexec_b32 s15, s14
	s_delay_alu instid0(SALU_CYCLE_1)
	s_xor_b32 s14, exec_lo, s15
	s_cbranch_execz .LBB141_14
; %bb.13:                               ;   in Loop: Header=BB141_4 Depth=1
	v_div_scale_f32 v8, null, v7, v7, v6
	v_div_scale_f32 v18, vcc_lo, v6, v7, v6
	s_delay_alu instid0(VALU_DEP_2) | instskip(NEXT) | instid1(TRANS32_DEP_1)
	v_rcp_f32_e32 v9, v8
	v_fma_f32 v17, -v8, v9, 1.0
	s_delay_alu instid0(VALU_DEP_1) | instskip(NEXT) | instid1(VALU_DEP_1)
	v_fmac_f32_e32 v9, v17, v9
	v_mul_f32_e32 v17, v18, v9
	s_delay_alu instid0(VALU_DEP_1) | instskip(NEXT) | instid1(VALU_DEP_1)
	v_fma_f32 v19, -v8, v17, v18
	v_fmac_f32_e32 v17, v19, v9
	s_delay_alu instid0(VALU_DEP_1) | instskip(SKIP_1) | instid1(VALU_DEP_1)
	v_fma_f32 v8, -v8, v17, v18
	s_wait_alu 0xfffd
	v_div_fmas_f32 v8, v8, v9, v17
	s_delay_alu instid0(VALU_DEP_1) | instskip(NEXT) | instid1(VALU_DEP_1)
	v_div_fixup_f32 v8, v8, v7, v6
	v_fmac_f32_e32 v7, v6, v8
	s_delay_alu instid0(VALU_DEP_1) | instskip(SKIP_1) | instid1(VALU_DEP_2)
	v_div_scale_f32 v6, null, v7, v7, 1.0
	v_div_scale_f32 v18, vcc_lo, 1.0, v7, 1.0
	v_rcp_f32_e32 v9, v6
	s_delay_alu instid0(TRANS32_DEP_1) | instskip(NEXT) | instid1(VALU_DEP_1)
	v_fma_f32 v17, -v6, v9, 1.0
	v_fmac_f32_e32 v9, v17, v9
	s_delay_alu instid0(VALU_DEP_1) | instskip(NEXT) | instid1(VALU_DEP_1)
	v_mul_f32_e32 v17, v18, v9
	v_fma_f32 v19, -v6, v17, v18
	s_delay_alu instid0(VALU_DEP_1) | instskip(NEXT) | instid1(VALU_DEP_1)
	v_fmac_f32_e32 v17, v19, v9
	v_fma_f32 v6, -v6, v17, v18
	s_wait_alu 0xfffd
	s_delay_alu instid0(VALU_DEP_1) | instskip(SKIP_1) | instid1(VALU_DEP_2)
	v_div_fmas_f32 v6, v6, v9, v17
	v_add_f32_e32 v9, 0, v8
	v_div_fixup_f32 v6, v6, v7, 1.0
	v_fma_f32 v7, v8, 0, -1.0
	s_delay_alu instid0(VALU_DEP_2) | instskip(NEXT) | instid1(VALU_DEP_2)
	v_mul_f32_e32 v8, v9, v6
	v_mul_f32_e32 v9, v7, v6
                                        ; implicit-def: $vgpr6_vgpr7
.LBB141_14:                             ;   in Loop: Header=BB141_4 Depth=1
	s_and_not1_saveexec_b32 s14, s14
	s_cbranch_execz .LBB141_16
; %bb.15:                               ;   in Loop: Header=BB141_4 Depth=1
	v_div_scale_f32 v8, null, v6, v6, v7
	v_div_scale_f32 v18, vcc_lo, v7, v6, v7
	s_delay_alu instid0(VALU_DEP_2) | instskip(NEXT) | instid1(TRANS32_DEP_1)
	v_rcp_f32_e32 v9, v8
	v_fma_f32 v17, -v8, v9, 1.0
	s_delay_alu instid0(VALU_DEP_1) | instskip(NEXT) | instid1(VALU_DEP_1)
	v_fmac_f32_e32 v9, v17, v9
	v_mul_f32_e32 v17, v18, v9
	s_delay_alu instid0(VALU_DEP_1) | instskip(NEXT) | instid1(VALU_DEP_1)
	v_fma_f32 v19, -v8, v17, v18
	v_fmac_f32_e32 v17, v19, v9
	s_delay_alu instid0(VALU_DEP_1) | instskip(SKIP_1) | instid1(VALU_DEP_1)
	v_fma_f32 v8, -v8, v17, v18
	s_wait_alu 0xfffd
	v_div_fmas_f32 v8, v8, v9, v17
	s_delay_alu instid0(VALU_DEP_1) | instskip(NEXT) | instid1(VALU_DEP_1)
	v_div_fixup_f32 v9, v8, v6, v7
	v_fmac_f32_e32 v6, v7, v9
	s_delay_alu instid0(VALU_DEP_1) | instskip(SKIP_1) | instid1(VALU_DEP_2)
	v_div_scale_f32 v7, null, v6, v6, 1.0
	v_div_scale_f32 v18, vcc_lo, 1.0, v6, 1.0
	v_rcp_f32_e32 v8, v7
	s_delay_alu instid0(TRANS32_DEP_1) | instskip(NEXT) | instid1(VALU_DEP_1)
	v_fma_f32 v17, -v7, v8, 1.0
	v_fmac_f32_e32 v8, v17, v8
	s_delay_alu instid0(VALU_DEP_1) | instskip(NEXT) | instid1(VALU_DEP_1)
	v_mul_f32_e32 v17, v18, v8
	v_fma_f32 v19, -v7, v17, v18
	s_delay_alu instid0(VALU_DEP_1) | instskip(NEXT) | instid1(VALU_DEP_1)
	v_fmac_f32_e32 v17, v19, v8
	v_fma_f32 v7, -v7, v17, v18
	s_wait_alu 0xfffd
	s_delay_alu instid0(VALU_DEP_1) | instskip(SKIP_1) | instid1(VALU_DEP_2)
	v_div_fmas_f32 v7, v7, v8, v17
	v_fma_f32 v8, v9, 0, 1.0
	v_div_fixup_f32 v6, v7, v6, 1.0
	s_delay_alu instid0(VALU_DEP_1)
	v_mul_f32_e32 v8, v8, v6
	v_mul_f32_e64 v9, -v9, v6
.LBB141_16:                             ;   in Loop: Header=BB141_4 Depth=1
	s_or_b32 exec_lo, exec_lo, s14
	s_mov_b32 s14, 0
	ds_store_b64 v16, v[8:9]
.LBB141_17:                             ;   in Loop: Header=BB141_4 Depth=1
	s_and_b32 vcc_lo, exec_lo, s14
	s_wait_alu 0xfffe
	s_cbranch_vccz .LBB141_19
; %bb.18:                               ;   in Loop: Header=BB141_4 Depth=1
	ds_store_b64 v16, v[0:1]
.LBB141_19:                             ;   in Loop: Header=BB141_4 Depth=1
	s_wait_alu 0xfffe
	s_or_b32 exec_lo, exec_lo, s12
	s_mov_b32 s12, -1
	; wave barrier
	s_wait_loadcnt_dscnt 0x0
	global_inv scope:SCOPE_SE
	s_and_saveexec_b32 s17, s1
	s_cbranch_execz .LBB141_3
; %bb.20:                               ;   in Loop: Header=BB141_4 Depth=1
	v_add_co_u32 v6, vcc_lo, v4, s6
	s_wait_alu 0xfffd
	v_add_co_ci_u32_e64 v7, null, s7, v5, vcc_lo
	s_delay_alu instid0(VALU_DEP_2) | instskip(SKIP_1) | instid1(VALU_DEP_2)
	v_add_co_u32 v8, vcc_lo, v6, v2
	s_wait_alu 0xfffd
	v_add_co_ci_u32_e64 v9, null, v7, v3, vcc_lo
	s_and_not1_b32 vcc_lo, exec_lo, s29
	s_wait_alu 0xfffe
	s_cbranch_vccnz .LBB141_41
; %bb.21:                               ;   in Loop: Header=BB141_4 Depth=1
	v_add_co_u32 v17, vcc_lo, v4, v15
	s_wait_alu 0xfffd
	v_add_co_ci_u32_e64 v18, null, v5, v14, vcc_lo
	s_mov_b32 s12, 0
	s_mov_b32 s14, s27
	s_branch .LBB141_23
.LBB141_22:                             ;   in Loop: Header=BB141_23 Depth=2
	s_cmp_gt_i32 s14, -1
	s_cselect_b32 s15, -1, 0
	s_add_co_i32 s18, s12, 1
	s_cmp_lt_u32 s12, 2
	s_cselect_b32 s12, -1, 0
	s_wait_alu 0xfffe
	s_and_b32 s12, s15, s12
	s_wait_alu 0xfffe
	s_and_b32 vcc_lo, exec_lo, s12
	s_mov_b32 s12, s18
	s_wait_alu 0xfffe
	s_cbranch_vccz .LBB141_40
.LBB141_23:                             ;   Parent Loop BB141_4 Depth=1
                                        ; =>  This Loop Header: Depth=2
                                        ;       Child Loop BB141_26 Depth 3
                                        ;         Child Loop BB141_27 Depth 4
                                        ;         Child Loop BB141_29 Depth 4
                                        ;           Child Loop BB141_30 Depth 5
                                        ;         Child Loop BB141_34 Depth 4
                                        ;           Child Loop BB141_36 Depth 5
	s_getpc_b64 s[18:19]
	s_wait_alu 0xfffe
	s_sext_i32_i16 s19, s19
	s_add_co_u32 s18, s18, __const._ZL30rocblas_trsm_small_left_deviceILi8ELi8ELb1E19rocblas_complex_numIfES1_PKPKS1_PKPS1_Ev13rocblas_fill_18rocblas_operation_17rocblas_diagonal_iiT3_T4_lilT5_lili.step_sizes@rel32@lo+12
	s_wait_alu 0xfffe
	s_add_co_ci_u32 s19, s19, __const._ZL30rocblas_trsm_small_left_deviceILi8ELi8ELb1E19rocblas_complex_numIfES1_PKPKS1_PKPS1_Ev13rocblas_fill_18rocblas_operation_17rocblas_diagonal_iiT3_T4_lilT5_lili.step_sizes@rel32@hi+24
	s_lshl_b64 s[20:21], s[12:13], 2
	s_wait_alu 0xfffe
	s_add_nc_u64 s[18:19], s[18:19], s[20:21]
	s_load_b32 s22, s[18:19], 0x0
	s_wait_kmcnt 0x0
	s_add_co_i32 s23, s22, -1
	s_wait_alu 0xfffe
	s_cmp_lt_i32 s14, s23
	s_cbranch_scc1 .LBB141_22
; %bb.24:                               ;   in Loop: Header=BB141_23 Depth=2
	s_lshl_b32 s15, s14, 6
	s_lshl_b32 s18, s22, 6
	s_max_i32 s33, s22, 1
	s_add_co_i32 s34, s30, s15
	s_wait_alu 0xfffe
	s_sub_co_i32 s35, 0, s18
	s_mul_i32 s36, s14, 0x48
	s_mul_i32 s37, s22, 0xffffffb8
	s_branch .LBB141_26
.LBB141_25:                             ;   in Loop: Header=BB141_26 Depth=3
	s_sub_co_i32 s14, s14, s22
	s_add_co_i32 s34, s34, s35
	s_add_co_i32 s36, s36, s37
	s_cmp_lt_i32 s14, s23
	s_cbranch_scc1 .LBB141_22
.LBB141_26:                             ;   Parent Loop BB141_4 Depth=1
                                        ;     Parent Loop BB141_23 Depth=2
                                        ; =>    This Loop Header: Depth=3
                                        ;         Child Loop BB141_27 Depth 4
                                        ;         Child Loop BB141_29 Depth 4
                                        ;           Child Loop BB141_30 Depth 5
                                        ;         Child Loop BB141_34 Depth 4
                                        ;           Child Loop BB141_36 Depth 5
	s_ashr_i32 s15, s14, 31
	v_mov_b32_e32 v19, v11
	s_lshl_b64 s[18:19], s[14:15], 3
	s_wait_alu 0xfffe
	v_add_co_u32 v6, vcc_lo, v17, s18
	s_wait_alu 0xfffd
	v_add_co_ci_u32_e64 v7, null, s19, v18, vcc_lo
	s_mov_b32 s18, s33
.LBB141_27:                             ;   Parent Loop BB141_4 Depth=1
                                        ;     Parent Loop BB141_23 Depth=2
                                        ;       Parent Loop BB141_26 Depth=3
                                        ; =>      This Inner Loop Header: Depth=4
	flat_load_b64 v[20:21], v[6:7] offset:-4
	v_add_co_u32 v6, vcc_lo, v6, -8
	s_wait_alu 0xfffd
	v_add_co_ci_u32_e64 v7, null, -1, v7, vcc_lo
	s_wait_alu 0xfffe
	s_add_co_i32 s18, s18, -1
	s_wait_alu 0xfffe
	s_cmp_eq_u32 s18, 0
	s_wait_loadcnt_dscnt 0x0
	v_mul_f32_e32 v22, s2, v21
	s_delay_alu instid0(VALU_DEP_1) | instskip(NEXT) | instid1(VALU_DEP_1)
	v_dual_mul_f32 v23, s3, v21 :: v_dual_fmac_f32 v22, s3, v20
	v_fma_f32 v21, v20, s2, -v23
	ds_store_b64 v19, v[21:22]
	v_add_nc_u32_e32 v19, 8, v19
	s_cbranch_scc0 .LBB141_27
; %bb.28:                               ;   in Loop: Header=BB141_26 Depth=3
	s_cmp_le_i32 s27, s14
	s_mov_b32 s20, s34
	s_mov_b32 s18, s27
	s_cbranch_scc1 .LBB141_32
.LBB141_29:                             ;   Parent Loop BB141_4 Depth=1
                                        ;     Parent Loop BB141_23 Depth=2
                                        ;       Parent Loop BB141_26 Depth=3
                                        ; =>      This Loop Header: Depth=4
                                        ;           Child Loop BB141_30 Depth 5
	s_wait_alu 0xfffe
	s_ashr_i32 s19, s18, 31
	v_mov_b32_e32 v19, v11
	s_wait_alu 0xfffe
	s_lshl_b64 s[38:39], s[18:19], 3
	s_mov_b32 s19, s20
	s_wait_alu 0xfffe
	v_add_co_u32 v6, vcc_lo, v8, s38
	s_wait_alu 0xfffd
	v_add_co_ci_u32_e64 v7, null, s39, v9, vcc_lo
	s_mov_b32 s21, s33
	flat_load_b64 v[6:7], v[6:7]
.LBB141_30:                             ;   Parent Loop BB141_4 Depth=1
                                        ;     Parent Loop BB141_23 Depth=2
                                        ;       Parent Loop BB141_26 Depth=3
                                        ;         Parent Loop BB141_29 Depth=4
                                        ; =>        This Inner Loop Header: Depth=5
	s_wait_alu 0xfffe
	v_mov_b32_e32 v20, s19
	s_add_co_i32 s21, s21, -1
	s_sub_co_i32 s19, s19, 64
	s_wait_alu 0xfffe
	s_cmp_eq_u32 s21, 0
	ds_load_b64 v[20:21], v20
	ds_load_b64 v[22:23], v19
	s_wait_loadcnt_dscnt 0x1
	v_mul_f32_e32 v24, v21, v7
	v_mul_f32_e32 v21, v21, v6
	s_delay_alu instid0(VALU_DEP_1) | instskip(SKIP_1) | instid1(VALU_DEP_1)
	v_fmac_f32_e32 v21, v20, v7
	s_wait_dscnt 0x0
	v_sub_f32_e32 v21, v23, v21
	v_fma_f32 v24, v20, v6, -v24
	s_delay_alu instid0(VALU_DEP_1)
	v_sub_f32_e32 v20, v22, v24
	ds_store_b64 v19, v[20:21]
	v_add_nc_u32_e32 v19, 8, v19
	s_cbranch_scc0 .LBB141_30
; %bb.31:                               ;   in Loop: Header=BB141_29 Depth=4
	s_add_co_i32 s18, s18, -1
	s_add_co_i32 s20, s20, -8
	s_wait_alu 0xfffe
	s_cmp_le_i32 s18, s14
	s_cbranch_scc0 .LBB141_29
.LBB141_32:                             ;   in Loop: Header=BB141_26 Depth=3
	s_mov_b32 s38, 0
	s_mov_b32 s39, s36
	s_branch .LBB141_34
.LBB141_33:                             ;   in Loop: Header=BB141_34 Depth=4
	s_wait_alu 0xfffe
	s_mulk_i32 s20, 0x48
	s_lshl_b64 s[18:19], s[18:19], 3
	s_wait_alu 0xfffe
	v_mov_b32_e32 v20, s20
	s_add_co_i32 s38, s38, 1
	s_sub_co_i32 s39, s39, 64
	s_wait_alu 0xfffe
	s_cmp_eq_u32 s38, s33
	ds_load_b64 v[20:21], v20
	s_wait_dscnt 0x0
	v_mul_f32_e32 v22, v21, v7
	v_mul_f32_e32 v23, v20, v7
	s_delay_alu instid0(VALU_DEP_2) | instskip(NEXT) | instid1(VALU_DEP_2)
	v_fma_f32 v22, v20, v6, -v22
	v_fmac_f32_e32 v23, v21, v6
	v_add_co_u32 v6, vcc_lo, v8, s18
	s_wait_alu 0xfffd
	v_add_co_ci_u32_e64 v7, null, s19, v9, vcc_lo
	ds_store_b64 v19, v[22:23]
	flat_store_b64 v[6:7], v[22:23]
	s_cbranch_scc1 .LBB141_25
.LBB141_34:                             ;   Parent Loop BB141_4 Depth=1
                                        ;     Parent Loop BB141_23 Depth=2
                                        ;       Parent Loop BB141_26 Depth=3
                                        ; =>      This Loop Header: Depth=4
                                        ;           Child Loop BB141_36 Depth 5
	s_wait_alu 0xfffe
	v_lshl_add_u32 v19, s38, 3, v11
	s_cmp_lg_u32 s38, 0
	s_cbranch_scc0 .LBB141_38
; %bb.35:                               ;   in Loop: Header=BB141_34 Depth=4
	ds_load_b64 v[6:7], v19
	v_mov_b32_e32 v20, v11
	s_mov_b32 s18, s39
	s_mov_b32 s19, s38
.LBB141_36:                             ;   Parent Loop BB141_4 Depth=1
                                        ;     Parent Loop BB141_23 Depth=2
                                        ;       Parent Loop BB141_26 Depth=3
                                        ;         Parent Loop BB141_34 Depth=4
                                        ; =>        This Inner Loop Header: Depth=5
	s_wait_alu 0xfffe
	v_mov_b32_e32 v23, s18
	s_add_co_i32 s19, s19, -1
	s_add_co_i32 s18, s18, -8
	s_wait_alu 0xfffe
	s_cmp_eq_u32 s19, 0
	ds_load_b64 v[21:22], v20
	ds_load_b64 v[23:24], v23
	s_wait_dscnt 0x0
	v_dual_mul_f32 v25, v24, v22 :: v_dual_add_nc_u32 v20, 8, v20
	v_mul_f32_e32 v22, v23, v22
	s_delay_alu instid0(VALU_DEP_2) | instskip(NEXT) | instid1(VALU_DEP_2)
	v_fma_f32 v23, v23, v21, -v25
	v_fmac_f32_e32 v22, v24, v21
	s_delay_alu instid0(VALU_DEP_1)
	v_dual_sub_f32 v6, v6, v23 :: v_dual_sub_f32 v7, v7, v22
	ds_store_b64 v19, v[6:7]
	s_cbranch_scc0 .LBB141_36
; %bb.37:                               ;   in Loop: Header=BB141_34 Depth=4
	s_sub_co_i32 s20, s14, s38
	s_wait_alu 0xfffe
	s_ashr_i32 s21, s20, 31
	s_wait_alu 0xfffe
	s_mov_b64 s[18:19], s[20:21]
	s_branch .LBB141_33
.LBB141_38:                             ;   in Loop: Header=BB141_34 Depth=4
                                        ; implicit-def: $vgpr6
                                        ; implicit-def: $sgpr20
                                        ; implicit-def: $sgpr18_sgpr19
	s_cbranch_execz .LBB141_33
; %bb.39:                               ;   in Loop: Header=BB141_34 Depth=4
	ds_load_b64 v[6:7], v11
	s_mov_b64 s[18:19], s[14:15]
	s_mov_b32 s20, s14
	s_branch .LBB141_33
.LBB141_40:                             ;   in Loop: Header=BB141_4 Depth=1
	s_mov_b32 s12, 0
.LBB141_41:                             ;   in Loop: Header=BB141_4 Depth=1
	s_wait_alu 0xfffe
	s_and_b32 vcc_lo, exec_lo, s12
	s_wait_alu 0xfffe
	s_cbranch_vccz .LBB141_2
; %bb.42:                               ;   in Loop: Header=BB141_4 Depth=1
	v_add_co_u32 v17, vcc_lo, v4, v15
	s_wait_alu 0xfffd
	v_add_co_ci_u32_e64 v18, null, v5, v14, vcc_lo
	s_mov_b32 s14, 0
	s_mov_b32 s18, 0
	s_branch .LBB141_44
.LBB141_43:                             ;   in Loop: Header=BB141_44 Depth=2
	s_cmp_lt_i32 s14, s26
	s_cselect_b32 s12, -1, 0
	s_add_co_i32 s15, s18, 1
	s_cmp_lt_u32 s18, 2
	s_cselect_b32 s18, -1, 0
	s_wait_alu 0xfffe
	s_and_b32 s12, s12, s18
	s_mov_b32 s18, s15
	s_wait_alu 0xfffe
	s_and_not1_b32 vcc_lo, exec_lo, s12
	s_wait_alu 0xfffe
	s_cbranch_vccnz .LBB141_2
.LBB141_44:                             ;   Parent Loop BB141_4 Depth=1
                                        ; =>  This Loop Header: Depth=2
                                        ;       Child Loop BB141_47 Depth 3
                                        ;         Child Loop BB141_48 Depth 4
                                        ;         Child Loop BB141_51 Depth 4
                                        ;           Child Loop BB141_52 Depth 5
                                        ;         Child Loop BB141_56 Depth 4
                                        ;           Child Loop BB141_58 Depth 5
	s_mov_b32 s19, s13
	s_getpc_b64 s[20:21]
	s_wait_alu 0xfffe
	s_sext_i32_i16 s21, s21
	s_add_co_u32 s20, s20, __const._ZL30rocblas_trsm_small_left_deviceILi8ELi8ELb1E19rocblas_complex_numIfES1_PKPKS1_PKPS1_Ev13rocblas_fill_18rocblas_operation_17rocblas_diagonal_iiT3_T4_lilT5_lili.step_sizes@rel32@lo+12
	s_wait_alu 0xfffe
	s_add_co_ci_u32 s21, s21, __const._ZL30rocblas_trsm_small_left_deviceILi8ELi8ELb1E19rocblas_complex_numIfES1_PKPKS1_PKPS1_Ev13rocblas_fill_18rocblas_operation_17rocblas_diagonal_iiT3_T4_lilT5_lili.step_sizes@rel32@hi+24
	s_lshl_b64 s[22:23], s[18:19], 2
	s_wait_alu 0xfffe
	s_add_nc_u64 s[20:21], s[20:21], s[22:23]
	s_load_b32 s20, s[20:21], 0x0
	s_wait_kmcnt 0x0
	s_add_co_i32 s19, s20, -1
	s_wait_alu 0xfffe
	s_add_co_i32 s12, s19, s14
	s_wait_alu 0xfffe
	s_cmp_ge_i32 s12, s26
	s_cbranch_scc1 .LBB141_43
; %bb.45:                               ;   in Loop: Header=BB141_44 Depth=2
	s_ashr_i32 s15, s14, 31
	s_ashr_i32 s21, s20, 31
	s_lshl_b64 s[22:23], s[14:15], 3
	s_max_i32 s33, s20, 1
	s_wait_alu 0xfffe
	v_add_co_u32 v4, vcc_lo, v17, s22
	s_wait_alu 0xfffd
	v_add_co_ci_u32_e64 v5, null, s23, v18, vcc_lo
	s_lshl_b64 s[22:23], s[20:21], 3
	s_lshl_b32 s15, s14, 3
	s_lshl_b32 s21, s20, 3
	s_mul_i32 s34, s14, 0x48
	s_mul_i32 s35, s20, 0x48
	s_branch .LBB141_47
.LBB141_46:                             ;   in Loop: Header=BB141_47 Depth=3
	v_add_co_u32 v4, vcc_lo, v4, s22
	s_add_co_i32 s14, s14, s20
	s_wait_alu 0xfffd
	v_add_co_ci_u32_e64 v5, null, s23, v5, vcc_lo
	s_add_co_i32 s12, s19, s14
	s_add_co_i32 s15, s15, s21
	s_add_co_i32 s34, s34, s35
	s_wait_alu 0xfffe
	s_cmp_ge_i32 s12, s26
	s_cbranch_scc1 .LBB141_43
.LBB141_47:                             ;   Parent Loop BB141_4 Depth=1
                                        ;     Parent Loop BB141_44 Depth=2
                                        ; =>    This Loop Header: Depth=3
                                        ;         Child Loop BB141_48 Depth 4
                                        ;         Child Loop BB141_51 Depth 4
                                        ;           Child Loop BB141_52 Depth 5
                                        ;         Child Loop BB141_56 Depth 4
                                        ;           Child Loop BB141_58 Depth 5
	v_mov_b32_e32 v7, v5
	v_dual_mov_b32 v19, v11 :: v_dual_mov_b32 v6, v4
	s_mov_b32 s12, s33
.LBB141_48:                             ;   Parent Loop BB141_4 Depth=1
                                        ;     Parent Loop BB141_44 Depth=2
                                        ;       Parent Loop BB141_47 Depth=3
                                        ; =>      This Inner Loop Header: Depth=4
	flat_load_b64 v[20:21], v[6:7] offset:-4
	v_add_co_u32 v6, vcc_lo, v6, 8
	s_wait_alu 0xfffd
	v_add_co_ci_u32_e64 v7, null, 0, v7, vcc_lo
	s_wait_alu 0xfffe
	s_add_co_i32 s12, s12, -1
	s_wait_alu 0xfffe
	s_cmp_eq_u32 s12, 0
	s_wait_loadcnt_dscnt 0x0
	v_mul_f32_e32 v22, s2, v21
	s_delay_alu instid0(VALU_DEP_1) | instskip(NEXT) | instid1(VALU_DEP_1)
	v_dual_mul_f32 v23, s3, v21 :: v_dual_fmac_f32 v22, s3, v20
	v_fma_f32 v21, v20, s2, -v23
	ds_store_b64 v19, v[21:22]
	v_add_nc_u32_e32 v19, 8, v19
	s_cbranch_scc0 .LBB141_48
; %bb.49:                               ;   in Loop: Header=BB141_47 Depth=3
	s_cmp_lt_i32 s14, 1
	s_cbranch_scc1 .LBB141_54
; %bb.50:                               ;   in Loop: Header=BB141_47 Depth=3
	s_mov_b32 s12, 0
	s_mov_b32 s36, s15
.LBB141_51:                             ;   Parent Loop BB141_4 Depth=1
                                        ;     Parent Loop BB141_44 Depth=2
                                        ;       Parent Loop BB141_47 Depth=3
                                        ; =>      This Loop Header: Depth=4
                                        ;           Child Loop BB141_52 Depth 5
	s_wait_alu 0xfffe
	s_lshl_b64 s[38:39], s[12:13], 3
	v_mov_b32_e32 v19, v11
	s_wait_alu 0xfffe
	v_add_co_u32 v6, vcc_lo, v8, s38
	s_wait_alu 0xfffd
	v_add_co_ci_u32_e64 v7, null, s39, v9, vcc_lo
	s_mov_b32 s37, s36
	s_mov_b32 s38, s33
	flat_load_b64 v[6:7], v[6:7]
.LBB141_52:                             ;   Parent Loop BB141_4 Depth=1
                                        ;     Parent Loop BB141_44 Depth=2
                                        ;       Parent Loop BB141_47 Depth=3
                                        ;         Parent Loop BB141_51 Depth=4
                                        ; =>        This Inner Loop Header: Depth=5
	s_wait_alu 0xfffe
	v_mov_b32_e32 v20, s37
	s_add_co_i32 s38, s38, -1
	s_add_co_i32 s37, s37, 8
	s_wait_alu 0xfffe
	s_cmp_eq_u32 s38, 0
	ds_load_b64 v[20:21], v20
	ds_load_b64 v[22:23], v19
	s_wait_loadcnt_dscnt 0x1
	v_mul_f32_e32 v24, v21, v7
	v_mul_f32_e32 v21, v21, v6
	s_delay_alu instid0(VALU_DEP_1) | instskip(SKIP_1) | instid1(VALU_DEP_1)
	v_fmac_f32_e32 v21, v20, v7
	s_wait_dscnt 0x0
	v_sub_f32_e32 v21, v23, v21
	v_fma_f32 v24, v20, v6, -v24
	s_delay_alu instid0(VALU_DEP_1)
	v_sub_f32_e32 v20, v22, v24
	ds_store_b64 v19, v[20:21]
	v_add_nc_u32_e32 v19, 8, v19
	s_cbranch_scc0 .LBB141_52
; %bb.53:                               ;   in Loop: Header=BB141_51 Depth=4
	s_add_co_i32 s12, s12, 1
	s_add_co_i32 s36, s36, 64
	s_wait_alu 0xfffe
	s_cmp_eq_u32 s12, s14
	s_cbranch_scc0 .LBB141_51
.LBB141_54:                             ;   in Loop: Header=BB141_47 Depth=3
	s_mov_b32 s12, 0
	s_mov_b32 s36, s34
	s_branch .LBB141_56
.LBB141_55:                             ;   in Loop: Header=BB141_56 Depth=4
	s_add_co_i32 s38, s12, s14
	s_add_co_i32 s12, s12, 1
	s_wait_alu 0xfffe
	s_mul_i32 s37, s38, 0x48
	s_ashr_i32 s39, s38, 31
	s_wait_alu 0xfffe
	v_mov_b32_e32 v20, s37
	s_lshl_b64 s[38:39], s[38:39], 3
	s_add_co_i32 s36, s36, 8
	s_cmp_eq_u32 s12, s33
	ds_load_b64 v[20:21], v20
	s_wait_dscnt 0x0
	v_mul_f32_e32 v22, v21, v7
	v_mul_f32_e32 v23, v20, v7
	s_delay_alu instid0(VALU_DEP_2) | instskip(NEXT) | instid1(VALU_DEP_2)
	v_fma_f32 v22, v20, v6, -v22
	v_fmac_f32_e32 v23, v21, v6
	s_wait_alu 0xfffe
	v_add_co_u32 v6, vcc_lo, v8, s38
	s_wait_alu 0xfffd
	v_add_co_ci_u32_e64 v7, null, s39, v9, vcc_lo
	ds_store_b64 v19, v[22:23]
	flat_store_b64 v[6:7], v[22:23]
	s_cbranch_scc1 .LBB141_46
.LBB141_56:                             ;   Parent Loop BB141_4 Depth=1
                                        ;     Parent Loop BB141_44 Depth=2
                                        ;       Parent Loop BB141_47 Depth=3
                                        ; =>      This Loop Header: Depth=4
                                        ;           Child Loop BB141_58 Depth 5
	s_wait_alu 0xfffe
	v_lshl_add_u32 v19, s12, 3, v11
	s_cmp_lg_u32 s12, 0
	s_cbranch_scc0 .LBB141_60
; %bb.57:                               ;   in Loop: Header=BB141_56 Depth=4
	ds_load_b64 v[6:7], v19
	v_mov_b32_e32 v20, v11
	s_mov_b32 s37, s36
	s_mov_b32 s38, s12
.LBB141_58:                             ;   Parent Loop BB141_4 Depth=1
                                        ;     Parent Loop BB141_44 Depth=2
                                        ;       Parent Loop BB141_47 Depth=3
                                        ;         Parent Loop BB141_56 Depth=4
                                        ; =>        This Inner Loop Header: Depth=5
	s_wait_alu 0xfffe
	v_mov_b32_e32 v23, s37
	s_add_co_i32 s38, s38, -1
	s_add_co_i32 s37, s37, 64
	s_wait_alu 0xfffe
	s_cmp_eq_u32 s38, 0
	ds_load_b64 v[21:22], v20
	ds_load_b64 v[23:24], v23
	s_wait_dscnt 0x0
	v_dual_mul_f32 v25, v24, v22 :: v_dual_add_nc_u32 v20, 8, v20
	v_mul_f32_e32 v22, v23, v22
	s_delay_alu instid0(VALU_DEP_2) | instskip(NEXT) | instid1(VALU_DEP_2)
	v_fma_f32 v23, v23, v21, -v25
	v_fmac_f32_e32 v22, v24, v21
	s_delay_alu instid0(VALU_DEP_1)
	v_dual_sub_f32 v6, v6, v23 :: v_dual_sub_f32 v7, v7, v22
	ds_store_b64 v19, v[6:7]
	s_cbranch_scc0 .LBB141_58
; %bb.59:                               ;   in Loop: Header=BB141_56 Depth=4
	s_branch .LBB141_55
.LBB141_60:                             ;   in Loop: Header=BB141_56 Depth=4
                                        ; implicit-def: $vgpr6
	s_cbranch_execz .LBB141_55
; %bb.61:                               ;   in Loop: Header=BB141_56 Depth=4
	ds_load_b64 v[6:7], v11
	s_branch .LBB141_55
.LBB141_62:
	s_endpgm
	.section	.rodata,"a",@progbits
	.p2align	6, 0x0
	.amdhsa_kernel _ZL30rocblas_trsm_small_left_deviceILi8ELi8ELb1E19rocblas_complex_numIfES1_PKPKS1_PKPS1_Ev13rocblas_fill_18rocblas_operation_17rocblas_diagonal_iiT3_T4_lilT5_lili
		.amdhsa_group_segment_fixed_size 1024
		.amdhsa_private_segment_fixed_size 0
		.amdhsa_kernarg_size 360
		.amdhsa_user_sgpr_count 4
		.amdhsa_user_sgpr_dispatch_ptr 1
		.amdhsa_user_sgpr_queue_ptr 0
		.amdhsa_user_sgpr_kernarg_segment_ptr 1
		.amdhsa_user_sgpr_dispatch_id 0
		.amdhsa_user_sgpr_private_segment_size 0
		.amdhsa_wavefront_size32 1
		.amdhsa_uses_dynamic_stack 0
		.amdhsa_enable_private_segment 0
		.amdhsa_system_sgpr_workgroup_id_x 1
		.amdhsa_system_sgpr_workgroup_id_y 0
		.amdhsa_system_sgpr_workgroup_id_z 1
		.amdhsa_system_sgpr_workgroup_info 0
		.amdhsa_system_vgpr_workitem_id 2
		.amdhsa_next_free_vgpr 26
		.amdhsa_next_free_sgpr 40
		.amdhsa_reserve_vcc 1
		.amdhsa_float_round_mode_32 0
		.amdhsa_float_round_mode_16_64 0
		.amdhsa_float_denorm_mode_32 3
		.amdhsa_float_denorm_mode_16_64 3
		.amdhsa_fp16_overflow 0
		.amdhsa_workgroup_processor_mode 1
		.amdhsa_memory_ordered 1
		.amdhsa_forward_progress 1
		.amdhsa_inst_pref_size 24
		.amdhsa_round_robin_scheduling 0
		.amdhsa_exception_fp_ieee_invalid_op 0
		.amdhsa_exception_fp_denorm_src 0
		.amdhsa_exception_fp_ieee_div_zero 0
		.amdhsa_exception_fp_ieee_overflow 0
		.amdhsa_exception_fp_ieee_underflow 0
		.amdhsa_exception_fp_ieee_inexact 0
		.amdhsa_exception_int_div_zero 0
	.end_amdhsa_kernel
	.section	.text._ZL30rocblas_trsm_small_left_deviceILi8ELi8ELb1E19rocblas_complex_numIfES1_PKPKS1_PKPS1_Ev13rocblas_fill_18rocblas_operation_17rocblas_diagonal_iiT3_T4_lilT5_lili,"axG",@progbits,_ZL30rocblas_trsm_small_left_deviceILi8ELi8ELb1E19rocblas_complex_numIfES1_PKPKS1_PKPS1_Ev13rocblas_fill_18rocblas_operation_17rocblas_diagonal_iiT3_T4_lilT5_lili,comdat
.Lfunc_end141:
	.size	_ZL30rocblas_trsm_small_left_deviceILi8ELi8ELb1E19rocblas_complex_numIfES1_PKPKS1_PKPS1_Ev13rocblas_fill_18rocblas_operation_17rocblas_diagonal_iiT3_T4_lilT5_lili, .Lfunc_end141-_ZL30rocblas_trsm_small_left_deviceILi8ELi8ELb1E19rocblas_complex_numIfES1_PKPKS1_PKPS1_Ev13rocblas_fill_18rocblas_operation_17rocblas_diagonal_iiT3_T4_lilT5_lili
                                        ; -- End function
	.set _ZL30rocblas_trsm_small_left_deviceILi8ELi8ELb1E19rocblas_complex_numIfES1_PKPKS1_PKPS1_Ev13rocblas_fill_18rocblas_operation_17rocblas_diagonal_iiT3_T4_lilT5_lili.num_vgpr, 26
	.set _ZL30rocblas_trsm_small_left_deviceILi8ELi8ELb1E19rocblas_complex_numIfES1_PKPKS1_PKPS1_Ev13rocblas_fill_18rocblas_operation_17rocblas_diagonal_iiT3_T4_lilT5_lili.num_agpr, 0
	.set _ZL30rocblas_trsm_small_left_deviceILi8ELi8ELb1E19rocblas_complex_numIfES1_PKPKS1_PKPS1_Ev13rocblas_fill_18rocblas_operation_17rocblas_diagonal_iiT3_T4_lilT5_lili.numbered_sgpr, 40
	.set _ZL30rocblas_trsm_small_left_deviceILi8ELi8ELb1E19rocblas_complex_numIfES1_PKPKS1_PKPS1_Ev13rocblas_fill_18rocblas_operation_17rocblas_diagonal_iiT3_T4_lilT5_lili.num_named_barrier, 0
	.set _ZL30rocblas_trsm_small_left_deviceILi8ELi8ELb1E19rocblas_complex_numIfES1_PKPKS1_PKPS1_Ev13rocblas_fill_18rocblas_operation_17rocblas_diagonal_iiT3_T4_lilT5_lili.private_seg_size, 0
	.set _ZL30rocblas_trsm_small_left_deviceILi8ELi8ELb1E19rocblas_complex_numIfES1_PKPKS1_PKPS1_Ev13rocblas_fill_18rocblas_operation_17rocblas_diagonal_iiT3_T4_lilT5_lili.uses_vcc, 1
	.set _ZL30rocblas_trsm_small_left_deviceILi8ELi8ELb1E19rocblas_complex_numIfES1_PKPKS1_PKPS1_Ev13rocblas_fill_18rocblas_operation_17rocblas_diagonal_iiT3_T4_lilT5_lili.uses_flat_scratch, 0
	.set _ZL30rocblas_trsm_small_left_deviceILi8ELi8ELb1E19rocblas_complex_numIfES1_PKPKS1_PKPS1_Ev13rocblas_fill_18rocblas_operation_17rocblas_diagonal_iiT3_T4_lilT5_lili.has_dyn_sized_stack, 0
	.set _ZL30rocblas_trsm_small_left_deviceILi8ELi8ELb1E19rocblas_complex_numIfES1_PKPKS1_PKPS1_Ev13rocblas_fill_18rocblas_operation_17rocblas_diagonal_iiT3_T4_lilT5_lili.has_recursion, 0
	.set _ZL30rocblas_trsm_small_left_deviceILi8ELi8ELb1E19rocblas_complex_numIfES1_PKPKS1_PKPS1_Ev13rocblas_fill_18rocblas_operation_17rocblas_diagonal_iiT3_T4_lilT5_lili.has_indirect_call, 0
	.section	.AMDGPU.csdata,"",@progbits
; Kernel info:
; codeLenInByte = 3048
; TotalNumSgprs: 42
; NumVgprs: 26
; ScratchSize: 0
; MemoryBound: 0
; FloatMode: 240
; IeeeMode: 1
; LDSByteSize: 1024 bytes/workgroup (compile time only)
; SGPRBlocks: 0
; VGPRBlocks: 3
; NumSGPRsForWavesPerEU: 42
; NumVGPRsForWavesPerEU: 26
; Occupancy: 16
; WaveLimiterHint : 1
; COMPUTE_PGM_RSRC2:SCRATCH_EN: 0
; COMPUTE_PGM_RSRC2:USER_SGPR: 4
; COMPUTE_PGM_RSRC2:TRAP_HANDLER: 0
; COMPUTE_PGM_RSRC2:TGID_X_EN: 1
; COMPUTE_PGM_RSRC2:TGID_Y_EN: 0
; COMPUTE_PGM_RSRC2:TGID_Z_EN: 1
; COMPUTE_PGM_RSRC2:TIDIG_COMP_CNT: 2
	.section	.text._ZL31rocblas_trsm_small_right_deviceI19rocblas_complex_numIfES1_PKPKS1_PKPS1_Li8EEv13rocblas_fill_18rocblas_operation_17rocblas_diagonal_iiT0_T1_lilT2_lili,"axG",@progbits,_ZL31rocblas_trsm_small_right_deviceI19rocblas_complex_numIfES1_PKPKS1_PKPS1_Li8EEv13rocblas_fill_18rocblas_operation_17rocblas_diagonal_iiT0_T1_lilT2_lili,comdat
	.globl	_ZL31rocblas_trsm_small_right_deviceI19rocblas_complex_numIfES1_PKPKS1_PKPS1_Li8EEv13rocblas_fill_18rocblas_operation_17rocblas_diagonal_iiT0_T1_lilT2_lili ; -- Begin function _ZL31rocblas_trsm_small_right_deviceI19rocblas_complex_numIfES1_PKPKS1_PKPS1_Li8EEv13rocblas_fill_18rocblas_operation_17rocblas_diagonal_iiT0_T1_lilT2_lili
	.p2align	8
	.type	_ZL31rocblas_trsm_small_right_deviceI19rocblas_complex_numIfES1_PKPKS1_PKPS1_Li8EEv13rocblas_fill_18rocblas_operation_17rocblas_diagonal_iiT0_T1_lilT2_lili,@function
_ZL31rocblas_trsm_small_right_deviceI19rocblas_complex_numIfES1_PKPKS1_PKPS1_Li8EEv13rocblas_fill_18rocblas_operation_17rocblas_diagonal_iiT0_T1_lilT2_lili: ; @_ZL31rocblas_trsm_small_right_deviceI19rocblas_complex_numIfES1_PKPKS1_PKPS1_Li8EEv13rocblas_fill_18rocblas_operation_17rocblas_diagonal_iiT0_T1_lilT2_lili
; %bb.0:
	s_load_b32 s19, s[0:1], 0x60
	s_lshr_b32 s2, ttmp7, 16
	s_wait_kmcnt 0x0
	s_cmp_ge_u32 s2, s19
	s_cbranch_scc1 .LBB142_151
; %bb.1:
	s_clause 0x6
	s_load_b32 s22, s[0:1], 0x30
	s_load_b32 s24, s[0:1], 0x50
	s_load_b128 s[12:15], s[0:1], 0x0
	s_load_b96 s[16:18], s[0:1], 0x10
	s_load_b32 s3, s[0:1], 0x68
	s_load_b128 s[4:7], s[0:1], 0x20
	s_load_b128 s[8:11], s[0:1], 0x40
	s_mov_b32 s20, ttmp9
	v_dual_mov_b32 v5, 0 :: v_dual_lshlrev_b32 v16, 3, v0
	v_dual_mov_b32 v4, 1.0 :: v_dual_lshlrev_b32 v1, 6, v0
	v_lshlrev_b32_e32 v25, 3, v0
	s_delay_alu instid0(VALU_DEP_3) | instskip(NEXT) | instid1(VALU_DEP_3)
	v_or_b32_e32 v17, 0x200, v16
	v_add_nc_u32_e32 v24, v16, v1
	s_wait_kmcnt 0x0
	s_ashr_i32 s23, s22, 31
	s_ashr_i32 s25, s24, 31
	s_cmp_lg_u32 s12, 0x7a
	s_cselect_b32 s29, -1, 0
	s_cmp_lg_u32 s13, 0x71
	s_cselect_b32 s1, -1, 0
	s_min_i32 s26, s16, 8
	s_lshl_b32 s0, ttmp9, 3
	s_add_co_i32 s3, s3, -1
	s_add_co_i32 s27, s26, -1
	s_sub_co_i32 s0, s15, s0
	s_cmp_ge_u32 ttmp9, s3
	s_mul_i32 s15, s26, 0x48
	s_cselect_b32 s0, s0, 8
	s_ashr_i32 s21, ttmp9, 31
	v_cmp_gt_i32_e32 vcc_lo, s0, v0
	s_lshl_b64 s[20:21], s[20:21], 6
	s_cmp_eq_u32 s14, 0x84
	s_mov_b32 s3, 0
	s_cselect_b32 s28, -1, 0
	s_cmp_gt_i32 s16, 0
	s_cselect_b32 s14, -1, 0
	s_cmp_lg_u32 s13, 0x6f
	s_cselect_b32 s13, -1, 0
	s_cmp_lg_u32 s12, 0x79
	s_cselect_b32 s0, -1, 0
	s_or_b32 s29, s29, s13
	s_wait_alu 0xfffe
	s_or_b32 s30, s0, s13
	s_cmp_gt_i32 s16, 3
	v_cndmask_b32_e64 v18, 0, 1, s0
	s_cselect_b32 s31, -1, 0
	s_lshl_b64 s[12:13], s[6:7], 3
	s_lshl_b64 s[10:11], s[10:11], 3
	v_add_co_u32 v2, s12, s12, v16
	s_and_b32 s33, vcc_lo, s14
	s_wait_alu 0xf1ff
	v_add_co_ci_u32_e64 v19, null, s13, 0, s12
	s_add_nc_u64 s[12:13], s[20:21], s[10:11]
	s_lshl_b32 s14, s26, 6
	v_or_b32_e32 v20, 4, v2
	s_wait_alu 0xfffe
	v_add_co_u32 v2, s12, s12, v16
	v_or_b32_e32 v3, s14, v16
	v_cmp_gt_i32_e64 s0, s26, v0
	s_wait_alu 0xf1ff
	v_add_co_ci_u32_e64 v21, null, s13, 0, s12
	v_or_b32_e32 v22, 4, v2
	v_add_nc_u32_e32 v23, 0x1c0, v3
	s_lshl_b64 s[12:13], s[24:25], 3
	s_lshl_b32 s25, s26, 3
	s_lshl_b64 s[6:7], s[22:23], 3
	s_add_co_i32 s22, s15, 0xffffffa0
	s_sub_co_i32 s23, s14, 64
	s_add_co_i32 s24, s15, 0xfffffef8
	s_add_co_i32 s25, s25, -8
	s_branch .LBB142_3
.LBB142_2:                              ;   in Loop: Header=BB142_3 Depth=1
	s_wait_alu 0xfffe
	s_or_b32 exec_lo, exec_lo, s14
	s_add_co_i32 s2, s2, 0x10000
	s_delay_alu instid0(SALU_CYCLE_1)
	s_cmp_lt_u32 s2, s19
	s_cbranch_scc0 .LBB142_151
.LBB142_3:                              ; =>This Loop Header: Depth=1
                                        ;     Child Loop BB142_6 Depth 2
                                        ;     Child Loop BB142_14 Depth 2
	;; [unrolled: 1-line block ×3, first 2 shown]
                                        ;       Child Loop BB142_21 Depth 3
                                        ;     Child Loop BB142_43 Depth 2
                                        ;       Child Loop BB142_44 Depth 3
                                        ;     Child Loop BB142_52 Depth 2
	;; [unrolled: 2-line block ×8, first 2 shown]
	s_lshl_b64 s[14:15], s[2:3], 3
	s_wait_alu 0xfffe
	s_add_nc_u64 s[34:35], s[8:9], s[14:15]
	global_load_b64 v[6:7], v5, s[34:35]
	s_and_saveexec_b32 s34, s0
	s_cbranch_execz .LBB142_12
; %bb.4:                                ;   in Loop: Header=BB142_3 Depth=1
	s_add_nc_u64 s[14:15], s[4:5], s[14:15]
	v_mov_b32_e32 v8, v16
	global_load_b64 v[0:1], v5, s[14:15]
	s_mov_b32 s14, s26
	s_wait_loadcnt 0x0
	v_add_co_u32 v0, vcc_lo, v0, v20
	s_wait_alu 0xfffd
	v_add_co_ci_u32_e64 v1, null, v1, v19, vcc_lo
	s_branch .LBB142_6
.LBB142_5:                              ;   in Loop: Header=BB142_6 Depth=2
	flat_load_b32 v2, v[0:1] offset:-4
	v_add_co_u32 v0, vcc_lo, v0, s6
	s_wait_alu 0xfffd
	v_add_co_ci_u32_e64 v1, null, s7, v1, vcc_lo
	s_add_co_i32 s14, s14, -1
	s_wait_alu 0xfffe
	s_cmp_eq_u32 s14, 0
	s_wait_loadcnt_dscnt 0x0
	ds_store_b64 v8, v[2:3]
	v_add_nc_u32_e32 v8, 64, v8
	s_cbranch_scc1 .LBB142_10
.LBB142_6:                              ;   Parent Loop BB142_3 Depth=1
                                        ; =>  This Inner Loop Header: Depth=2
	s_and_b32 vcc_lo, exec_lo, s1
	s_mov_b32 s15, -1
                                        ; implicit-def: $vgpr3
	s_wait_alu 0xfffe
	s_cbranch_vccz .LBB142_8
; %bb.7:                                ;   in Loop: Header=BB142_6 Depth=2
	flat_load_b32 v3, v[0:1]
	s_mov_b32 s15, 0
.LBB142_8:                              ;   in Loop: Header=BB142_6 Depth=2
	s_wait_alu 0xfffe
	s_and_not1_b32 vcc_lo, exec_lo, s15
	s_wait_alu 0xfffe
	s_cbranch_vccnz .LBB142_5
; %bb.9:                                ;   in Loop: Header=BB142_6 Depth=2
	flat_load_b32 v2, v[0:1]
	s_wait_loadcnt_dscnt 0x0
	v_xor_b32_e32 v3, 0x80000000, v2
	s_branch .LBB142_5
.LBB142_10:                             ;   in Loop: Header=BB142_3 Depth=1
	s_and_b32 vcc_lo, exec_lo, s28
	s_wait_alu 0xfffe
	s_cbranch_vccz .LBB142_12
; %bb.11:                               ;   in Loop: Header=BB142_3 Depth=1
	ds_store_b64 v24, v[4:5]
.LBB142_12:                             ;   in Loop: Header=BB142_3 Depth=1
	s_wait_alu 0xfffe
	s_or_b32 exec_lo, exec_lo, s34
	s_and_saveexec_b32 s14, s33
	s_cbranch_execz .LBB142_15
; %bb.13:                               ;   in Loop: Header=BB142_3 Depth=1
	s_wait_loadcnt 0x0
	v_add_co_u32 v0, vcc_lo, v6, v22
	s_wait_alu 0xfffd
	v_add_co_ci_u32_e64 v1, null, v7, v21, vcc_lo
	v_mov_b32_e32 v2, v17
	s_mov_b32 s15, s16
.LBB142_14:                             ;   Parent Loop BB142_3 Depth=1
                                        ; =>  This Inner Loop Header: Depth=2
	flat_load_b64 v[8:9], v[0:1] offset:-4
	v_add_co_u32 v0, vcc_lo, v0, s12
	s_wait_alu 0xfffd
	v_add_co_ci_u32_e64 v1, null, s13, v1, vcc_lo
	s_wait_alu 0xfffe
	s_add_co_i32 s15, s15, -1
	s_wait_alu 0xfffe
	s_cmp_lg_u32 s15, 0
	s_wait_loadcnt_dscnt 0x0
	v_mul_f32_e32 v10, s17, v9
	s_delay_alu instid0(VALU_DEP_1) | instskip(NEXT) | instid1(VALU_DEP_1)
	v_dual_mul_f32 v3, s18, v9 :: v_dual_fmac_f32 v10, s18, v8
	v_fma_f32 v9, s17, v8, -v3
	ds_store_b64 v2, v[9:10]
	v_add_nc_u32_e32 v2, 64, v2
	s_cbranch_scc1 .LBB142_14
.LBB142_15:                             ;   in Loop: Header=BB142_3 Depth=1
	s_wait_alu 0xfffe
	s_or_b32 exec_lo, exec_lo, s14
	s_delay_alu instid0(SALU_CYCLE_1)
	s_and_b32 vcc_lo, exec_lo, s30
	s_mov_b32 s14, -1
	; wave barrier
	s_wait_loadcnt_dscnt 0x0
	global_inv scope:SCOPE_SE
	s_wait_alu 0xfffe
	s_cbranch_vccz .LBB142_116
; %bb.16:                               ;   in Loop: Header=BB142_3 Depth=1
	s_and_b32 vcc_lo, exec_lo, s29
	s_wait_alu 0xfffe
	s_cbranch_vccz .LBB142_83
; %bb.17:                               ;   in Loop: Header=BB142_3 Depth=1
	v_cmp_ne_u32_e32 vcc_lo, 1, v18
	s_cbranch_vccnz .LBB142_50
; %bb.18:                               ;   in Loop: Header=BB142_3 Depth=1
	s_and_not1_b32 vcc_lo, exec_lo, s31
	s_mov_b32 s34, 0
	s_wait_alu 0xfffe
	s_cbranch_vccnz .LBB142_40
; %bb.19:                               ;   in Loop: Header=BB142_3 Depth=1
	s_mov_b32 s14, 0
	s_mov_b32 s15, 0
.LBB142_20:                             ;   Parent Loop BB142_3 Depth=1
                                        ; =>  This Loop Header: Depth=2
                                        ;       Child Loop BB142_21 Depth 3
	s_wait_alu 0xfffe
	s_lshl_b32 s36, s15, 6
	s_or_b32 s35, s15, 1
	s_wait_alu 0xfffe
	v_dual_mov_b32 v2, v17 :: v_dual_add_nc_u32 v29, s36, v17
	s_or_b32 s38, s15, 2
	v_lshl_add_u32 v28, s35, 6, v17
	s_or_b32 s34, s36, 0xc0
	s_wait_alu 0xfffe
	v_lshl_add_u32 v27, s38, 6, v17
	v_add_nc_u32_e32 v26, s34, v17
	ds_load_b64 v[0:1], v29
	ds_load_b64 v[14:15], v28
	ds_load_b64 v[10:11], v27
	ds_load_b64 v[8:9], v26
	s_cmp_eq_u32 s15, 0
	s_mov_b32 s34, s14
	s_mov_b32 s37, s15
	s_cbranch_scc1 .LBB142_22
.LBB142_21:                             ;   Parent Loop BB142_3 Depth=1
                                        ;     Parent Loop BB142_20 Depth=2
                                        ; =>    This Inner Loop Header: Depth=3
	s_wait_alu 0xfffe
	v_mov_b32_e32 v3, s34
	s_add_co_i32 s37, s37, -1
	s_add_co_i32 s34, s34, 64
	s_wait_alu 0xfffe
	s_cmp_eq_u32 s37, 0
	ds_load_b64 v[12:13], v2
	ds_load_b128 v[30:33], v3
	ds_load_b128 v[34:37], v3 offset:16
	s_wait_dscnt 0x1
	v_dual_mul_f32 v3, v31, v13 :: v_dual_add_nc_u32 v2, 64, v2
	v_mul_f32_e32 v38, v30, v13
	s_wait_dscnt 0x0
	v_mul_f32_e32 v40, v35, v13
	v_mul_f32_e32 v39, v33, v13
	;; [unrolled: 1-line block ×5, first 2 shown]
	v_fma_f32 v3, v30, v12, -v3
	v_mul_f32_e32 v35, v35, v12
	v_fmac_f32_e32 v38, v31, v12
	v_fma_f32 v31, v34, v12, -v40
	v_fma_f32 v30, v32, v12, -v39
	v_fmac_f32_e32 v33, v32, v13
	v_fmac_f32_e32 v37, v36, v13
	v_sub_f32_e32 v0, v0, v3
	v_sub_f32_e32 v10, v10, v31
	v_fma_f32 v12, v36, v12, -v41
	v_fmac_f32_e32 v35, v34, v13
	v_sub_f32_e32 v1, v1, v38
	v_dual_sub_f32 v14, v14, v30 :: v_dual_sub_f32 v15, v15, v33
	s_delay_alu instid0(VALU_DEP_3)
	v_dual_sub_f32 v8, v8, v12 :: v_dual_sub_f32 v11, v11, v35
	v_sub_f32_e32 v9, v9, v37
	s_cbranch_scc0 .LBB142_21
.LBB142_22:                             ;   in Loop: Header=BB142_20 Depth=2
	s_lshl_b32 s34, s15, 3
	s_lshl_b32 s37, s35, 3
	s_wait_alu 0xfffe
	s_add_co_i32 s36, s34, s36
	s_lshl_b32 s35, s38, 3
	s_wait_alu 0xfffe
	v_mov_b32_e32 v2, s36
	s_mov_b32 s38, -1
	ds_load_b64 v[2:3], v2
	s_wait_dscnt 0x0
	v_and_b32_e32 v12, 0x7fffffff, v2
	v_and_b32_e32 v13, 0x7fffffff, v3
	s_delay_alu instid0(VALU_DEP_1)
	v_cmp_ngt_f32_e32 vcc_lo, v12, v13
                                        ; implicit-def: $vgpr13
	s_cbranch_vccz .LBB142_24
; %bb.23:                               ;   in Loop: Header=BB142_20 Depth=2
	v_div_scale_f32 v12, null, v3, v3, v2
	v_div_scale_f32 v31, vcc_lo, v2, v3, v2
	s_mov_b32 s38, 0
	v_rcp_f32_e32 v13, v12
	v_xor_b32_e32 v12, 0x80000000, v12
	s_delay_alu instid0(TRANS32_DEP_1) | instid1(VALU_DEP_1)
	v_fma_f32 v30, v12, v13, 1.0
	s_delay_alu instid0(VALU_DEP_1) | instskip(NEXT) | instid1(VALU_DEP_1)
	v_fmac_f32_e32 v13, v30, v13
	v_mul_f32_e32 v30, v31, v13
	s_delay_alu instid0(VALU_DEP_1) | instskip(NEXT) | instid1(VALU_DEP_1)
	v_fma_f32 v32, v12, v30, v31
	v_fmac_f32_e32 v30, v32, v13
	s_delay_alu instid0(VALU_DEP_1) | instskip(SKIP_1) | instid1(VALU_DEP_1)
	v_fmac_f32_e32 v31, v12, v30
	s_wait_alu 0xfffd
	v_div_fmas_f32 v12, v31, v13, v30
	s_delay_alu instid0(VALU_DEP_1) | instskip(NEXT) | instid1(VALU_DEP_1)
	v_div_fixup_f32 v12, v12, v3, v2
	v_fma_f32 v13, v2, v12, v3
	s_delay_alu instid0(VALU_DEP_1) | instskip(SKIP_1) | instid1(VALU_DEP_2)
	v_div_scale_f32 v30, null, v13, v13, 1.0
	v_div_scale_f32 v33, vcc_lo, 1.0, v13, 1.0
	v_rcp_f32_e32 v31, v30
	v_xor_b32_e32 v30, 0x80000000, v30
	s_delay_alu instid0(TRANS32_DEP_1) | instid1(VALU_DEP_1)
	v_fma_f32 v32, v30, v31, 1.0
	s_delay_alu instid0(VALU_DEP_1) | instskip(NEXT) | instid1(VALU_DEP_1)
	v_fmac_f32_e32 v31, v32, v31
	v_mul_f32_e32 v32, v33, v31
	s_delay_alu instid0(VALU_DEP_1) | instskip(NEXT) | instid1(VALU_DEP_1)
	v_fma_f32 v34, v30, v32, v33
	v_fmac_f32_e32 v32, v34, v31
	s_delay_alu instid0(VALU_DEP_1) | instskip(SKIP_1) | instid1(VALU_DEP_1)
	v_fmac_f32_e32 v33, v30, v32
	s_wait_alu 0xfffd
	v_div_fmas_f32 v30, v33, v31, v32
	v_fma_f32 v31, v0, v12, v1
	s_delay_alu instid0(VALU_DEP_2) | instskip(SKIP_1) | instid1(VALU_DEP_2)
	v_div_fixup_f32 v13, v30, v13, 1.0
	v_fma_f32 v30, v1, v12, -v0
	v_mul_f32_e32 v12, v31, v13
	s_delay_alu instid0(VALU_DEP_2)
	v_mul_f32_e32 v13, v30, v13
.LBB142_24:                             ;   in Loop: Header=BB142_20 Depth=2
	s_wait_alu 0xfffe
	s_and_not1_b32 vcc_lo, exec_lo, s38
	s_wait_alu 0xfffe
	s_cbranch_vccnz .LBB142_26
; %bb.25:                               ;   in Loop: Header=BB142_20 Depth=2
	v_div_scale_f32 v12, null, v2, v2, v3
	v_div_scale_f32 v31, vcc_lo, v3, v2, v3
	s_delay_alu instid0(VALU_DEP_2)
	v_rcp_f32_e32 v13, v12
	v_xor_b32_e32 v12, 0x80000000, v12
	s_delay_alu instid0(TRANS32_DEP_1) | instid1(VALU_DEP_1)
	v_fma_f32 v30, v12, v13, 1.0
	s_delay_alu instid0(VALU_DEP_1) | instskip(NEXT) | instid1(VALU_DEP_1)
	v_fmac_f32_e32 v13, v30, v13
	v_mul_f32_e32 v30, v31, v13
	s_delay_alu instid0(VALU_DEP_1) | instskip(NEXT) | instid1(VALU_DEP_1)
	v_fma_f32 v32, v12, v30, v31
	v_fmac_f32_e32 v30, v32, v13
	s_delay_alu instid0(VALU_DEP_1) | instskip(SKIP_1) | instid1(VALU_DEP_1)
	v_fmac_f32_e32 v31, v12, v30
	s_wait_alu 0xfffd
	v_div_fmas_f32 v12, v31, v13, v30
	s_delay_alu instid0(VALU_DEP_1) | instskip(NEXT) | instid1(VALU_DEP_1)
	v_div_fixup_f32 v12, v12, v2, v3
	v_fmac_f32_e32 v2, v3, v12
	s_delay_alu instid0(VALU_DEP_1) | instskip(SKIP_1) | instid1(VALU_DEP_2)
	v_div_scale_f32 v3, null, v2, v2, 1.0
	v_div_scale_f32 v31, vcc_lo, 1.0, v2, 1.0
	v_rcp_f32_e32 v13, v3
	v_xor_b32_e32 v3, 0x80000000, v3
	s_delay_alu instid0(TRANS32_DEP_1) | instid1(VALU_DEP_1)
	v_fma_f32 v30, v3, v13, 1.0
	s_delay_alu instid0(VALU_DEP_1) | instskip(NEXT) | instid1(VALU_DEP_1)
	v_fmac_f32_e32 v13, v30, v13
	v_mul_f32_e32 v30, v31, v13
	s_delay_alu instid0(VALU_DEP_1) | instskip(NEXT) | instid1(VALU_DEP_1)
	v_fma_f32 v32, v3, v30, v31
	v_fmac_f32_e32 v30, v32, v13
	s_delay_alu instid0(VALU_DEP_1) | instskip(SKIP_1) | instid1(VALU_DEP_1)
	v_fmac_f32_e32 v31, v3, v30
	s_wait_alu 0xfffd
	v_div_fmas_f32 v3, v31, v13, v30
	v_fma_f32 v13, v1, v12, v0
	v_fma_f32 v0, -v0, v12, v1
	s_delay_alu instid0(VALU_DEP_3) | instskip(NEXT) | instid1(VALU_DEP_1)
	v_div_fixup_f32 v2, v3, v2, 1.0
	v_mul_f32_e32 v12, v13, v2
	s_delay_alu instid0(VALU_DEP_3)
	v_mul_f32_e32 v13, v0, v2
.LBB142_26:                             ;   in Loop: Header=BB142_20 Depth=2
	s_sub_co_i32 s36, s36, s34
	s_mov_b32 s38, -1
	s_wait_alu 0xfffe
	s_add_co_i32 s36, s36, s34
	ds_store_b64 v29, v[12:13]
	s_wait_alu 0xfffe
	v_mov_b32_e32 v0, s36
	ds_load_2addr_b64 v[0:3], v0 offset0:1 offset1:9
	s_wait_dscnt 0x0
	v_dual_mul_f32 v30, v13, v1 :: v_dual_and_b32 v31, 0x7fffffff, v2
	v_dual_mul_f32 v1, v12, v1 :: v_dual_and_b32 v32, 0x7fffffff, v3
	s_delay_alu instid0(VALU_DEP_2) | instskip(NEXT) | instid1(VALU_DEP_2)
	v_fma_f32 v30, v12, v0, -v30
	v_fmac_f32_e32 v1, v13, v0
	s_delay_alu instid0(VALU_DEP_3) | instskip(NEXT) | instid1(VALU_DEP_2)
	v_cmp_ngt_f32_e32 vcc_lo, v31, v32
	v_dual_sub_f32 v0, v14, v30 :: v_dual_sub_f32 v1, v15, v1
                                        ; implicit-def: $vgpr15
	s_cbranch_vccz .LBB142_28
; %bb.27:                               ;   in Loop: Header=BB142_20 Depth=2
	v_div_scale_f32 v14, null, v3, v3, v2
	v_div_scale_f32 v30, vcc_lo, v2, v3, v2
	s_mov_b32 s38, 0
	v_rcp_f32_e32 v15, v14
	v_xor_b32_e32 v14, 0x80000000, v14
	s_delay_alu instid0(TRANS32_DEP_1) | instid1(VALU_DEP_1)
	v_fma_f32 v29, v14, v15, 1.0
	s_delay_alu instid0(VALU_DEP_1) | instskip(NEXT) | instid1(VALU_DEP_1)
	v_fmac_f32_e32 v15, v29, v15
	v_mul_f32_e32 v29, v30, v15
	s_delay_alu instid0(VALU_DEP_1) | instskip(NEXT) | instid1(VALU_DEP_1)
	v_fma_f32 v31, v14, v29, v30
	v_fmac_f32_e32 v29, v31, v15
	s_delay_alu instid0(VALU_DEP_1) | instskip(SKIP_1) | instid1(VALU_DEP_1)
	v_fmac_f32_e32 v30, v14, v29
	s_wait_alu 0xfffd
	v_div_fmas_f32 v14, v30, v15, v29
	s_delay_alu instid0(VALU_DEP_1) | instskip(NEXT) | instid1(VALU_DEP_1)
	v_div_fixup_f32 v14, v14, v3, v2
	v_fma_f32 v15, v2, v14, v3
	s_delay_alu instid0(VALU_DEP_1) | instskip(SKIP_1) | instid1(VALU_DEP_2)
	v_div_scale_f32 v29, null, v15, v15, 1.0
	v_div_scale_f32 v32, vcc_lo, 1.0, v15, 1.0
	v_rcp_f32_e32 v30, v29
	v_xor_b32_e32 v29, 0x80000000, v29
	s_delay_alu instid0(TRANS32_DEP_1) | instid1(VALU_DEP_1)
	v_fma_f32 v31, v29, v30, 1.0
	s_delay_alu instid0(VALU_DEP_1) | instskip(NEXT) | instid1(VALU_DEP_1)
	v_fmac_f32_e32 v30, v31, v30
	v_mul_f32_e32 v31, v32, v30
	s_delay_alu instid0(VALU_DEP_1) | instskip(NEXT) | instid1(VALU_DEP_1)
	v_fma_f32 v33, v29, v31, v32
	v_fmac_f32_e32 v31, v33, v30
	s_delay_alu instid0(VALU_DEP_1) | instskip(SKIP_1) | instid1(VALU_DEP_1)
	v_fmac_f32_e32 v32, v29, v31
	s_wait_alu 0xfffd
	v_div_fmas_f32 v29, v32, v30, v31
	v_fma_f32 v30, v14, v0, v1
	s_delay_alu instid0(VALU_DEP_2) | instskip(SKIP_1) | instid1(VALU_DEP_2)
	v_div_fixup_f32 v15, v29, v15, 1.0
	v_fma_f32 v29, v14, v1, -v0
	v_mul_f32_e32 v14, v30, v15
	s_delay_alu instid0(VALU_DEP_2)
	v_mul_f32_e32 v15, v29, v15
.LBB142_28:                             ;   in Loop: Header=BB142_20 Depth=2
	s_wait_alu 0xfffe
	s_and_not1_b32 vcc_lo, exec_lo, s38
	s_wait_alu 0xfffe
	s_cbranch_vccnz .LBB142_30
; %bb.29:                               ;   in Loop: Header=BB142_20 Depth=2
	v_div_scale_f32 v14, null, v2, v2, v3
	v_div_scale_f32 v30, vcc_lo, v3, v2, v3
	s_delay_alu instid0(VALU_DEP_2)
	v_rcp_f32_e32 v15, v14
	v_xor_b32_e32 v14, 0x80000000, v14
	s_delay_alu instid0(TRANS32_DEP_1) | instid1(VALU_DEP_1)
	v_fma_f32 v29, v14, v15, 1.0
	s_delay_alu instid0(VALU_DEP_1) | instskip(NEXT) | instid1(VALU_DEP_1)
	v_fmac_f32_e32 v15, v29, v15
	v_mul_f32_e32 v29, v30, v15
	s_delay_alu instid0(VALU_DEP_1) | instskip(NEXT) | instid1(VALU_DEP_1)
	v_fma_f32 v31, v14, v29, v30
	v_fmac_f32_e32 v29, v31, v15
	s_delay_alu instid0(VALU_DEP_1) | instskip(SKIP_1) | instid1(VALU_DEP_1)
	v_fmac_f32_e32 v30, v14, v29
	s_wait_alu 0xfffd
	v_div_fmas_f32 v14, v30, v15, v29
	s_delay_alu instid0(VALU_DEP_1) | instskip(NEXT) | instid1(VALU_DEP_1)
	v_div_fixup_f32 v14, v14, v2, v3
	v_fmac_f32_e32 v2, v3, v14
	s_delay_alu instid0(VALU_DEP_1) | instskip(SKIP_1) | instid1(VALU_DEP_2)
	v_div_scale_f32 v3, null, v2, v2, 1.0
	v_div_scale_f32 v30, vcc_lo, 1.0, v2, 1.0
	v_rcp_f32_e32 v15, v3
	v_xor_b32_e32 v3, 0x80000000, v3
	s_delay_alu instid0(TRANS32_DEP_1) | instid1(VALU_DEP_1)
	v_fma_f32 v29, v3, v15, 1.0
	s_delay_alu instid0(VALU_DEP_1) | instskip(NEXT) | instid1(VALU_DEP_1)
	v_fmac_f32_e32 v15, v29, v15
	v_mul_f32_e32 v29, v30, v15
	s_delay_alu instid0(VALU_DEP_1) | instskip(NEXT) | instid1(VALU_DEP_1)
	v_fma_f32 v31, v3, v29, v30
	v_fmac_f32_e32 v29, v31, v15
	s_delay_alu instid0(VALU_DEP_1) | instskip(SKIP_1) | instid1(VALU_DEP_1)
	v_fmac_f32_e32 v30, v3, v29
	s_wait_alu 0xfffd
	v_div_fmas_f32 v3, v30, v15, v29
	v_fma_f32 v15, v14, v1, v0
	v_fma_f32 v0, -v14, v0, v1
	s_delay_alu instid0(VALU_DEP_3) | instskip(NEXT) | instid1(VALU_DEP_1)
	v_div_fixup_f32 v2, v3, v2, 1.0
	v_mul_f32_e32 v14, v15, v2
	s_delay_alu instid0(VALU_DEP_3)
	v_mul_f32_e32 v15, v0, v2
.LBB142_30:                             ;   in Loop: Header=BB142_20 Depth=2
	s_add_co_i32 s38, s36, 0x48
	s_mov_b32 s39, -1
	s_wait_alu 0xfffe
	s_sub_co_i32 s37, s38, s37
	ds_store_b64 v28, v[14:15]
	s_wait_alu 0xfffe
	s_add_co_i32 s37, s37, s34
	s_wait_alu 0xfffe
	v_dual_mov_b32 v0, s36 :: v_dual_mov_b32 v29, s37
	ds_load_2addr_b64 v[0:3], v0 offset0:2 offset1:18
	ds_load_b64 v[29:30], v29 offset:16
	s_wait_dscnt 0x1
	v_dual_mul_f32 v31, v13, v1 :: v_dual_and_b32 v32, 0x7fffffff, v2
	v_mul_f32_e32 v1, v12, v1
	s_delay_alu instid0(VALU_DEP_2) | instskip(SKIP_1) | instid1(VALU_DEP_2)
	v_fma_f32 v31, v12, v0, -v31
	s_wait_dscnt 0x0
	v_dual_fmac_f32 v1, v13, v0 :: v_dual_mul_f32 v0, v15, v30
	v_dual_mul_f32 v30, v14, v30 :: v_dual_and_b32 v33, 0x7fffffff, v3
	s_delay_alu instid0(VALU_DEP_2) | instskip(NEXT) | instid1(VALU_DEP_3)
	v_dual_sub_f32 v10, v10, v31 :: v_dual_sub_f32 v1, v11, v1
	v_fma_f32 v0, v14, v29, -v0
	s_delay_alu instid0(VALU_DEP_3) | instskip(NEXT) | instid1(VALU_DEP_4)
	v_fmac_f32_e32 v30, v15, v29
	v_cmp_ngt_f32_e32 vcc_lo, v32, v33
	s_delay_alu instid0(VALU_DEP_2)
	v_dual_sub_f32 v0, v10, v0 :: v_dual_sub_f32 v1, v1, v30
                                        ; implicit-def: $vgpr11
	s_cbranch_vccz .LBB142_32
; %bb.31:                               ;   in Loop: Header=BB142_20 Depth=2
	v_div_scale_f32 v10, null, v3, v3, v2
	v_div_scale_f32 v29, vcc_lo, v2, v3, v2
	s_mov_b32 s39, 0
	v_rcp_f32_e32 v11, v10
	v_xor_b32_e32 v10, 0x80000000, v10
	s_delay_alu instid0(TRANS32_DEP_1) | instid1(VALU_DEP_1)
	v_fma_f32 v28, v10, v11, 1.0
	s_delay_alu instid0(VALU_DEP_1) | instskip(NEXT) | instid1(VALU_DEP_1)
	v_fmac_f32_e32 v11, v28, v11
	v_mul_f32_e32 v28, v29, v11
	s_delay_alu instid0(VALU_DEP_1) | instskip(NEXT) | instid1(VALU_DEP_1)
	v_fma_f32 v30, v10, v28, v29
	v_fmac_f32_e32 v28, v30, v11
	s_delay_alu instid0(VALU_DEP_1) | instskip(SKIP_1) | instid1(VALU_DEP_1)
	v_fmac_f32_e32 v29, v10, v28
	s_wait_alu 0xfffd
	v_div_fmas_f32 v10, v29, v11, v28
	s_delay_alu instid0(VALU_DEP_1) | instskip(NEXT) | instid1(VALU_DEP_1)
	v_div_fixup_f32 v10, v10, v3, v2
	v_fma_f32 v11, v2, v10, v3
	s_delay_alu instid0(VALU_DEP_1) | instskip(SKIP_1) | instid1(VALU_DEP_2)
	v_div_scale_f32 v28, null, v11, v11, 1.0
	v_div_scale_f32 v31, vcc_lo, 1.0, v11, 1.0
	v_rcp_f32_e32 v29, v28
	v_xor_b32_e32 v28, 0x80000000, v28
	s_delay_alu instid0(TRANS32_DEP_1) | instid1(VALU_DEP_1)
	v_fma_f32 v30, v28, v29, 1.0
	s_delay_alu instid0(VALU_DEP_1) | instskip(NEXT) | instid1(VALU_DEP_1)
	v_fmac_f32_e32 v29, v30, v29
	v_mul_f32_e32 v30, v31, v29
	s_delay_alu instid0(VALU_DEP_1) | instskip(NEXT) | instid1(VALU_DEP_1)
	v_fma_f32 v32, v28, v30, v31
	v_fmac_f32_e32 v30, v32, v29
	s_delay_alu instid0(VALU_DEP_1) | instskip(SKIP_1) | instid1(VALU_DEP_1)
	v_fmac_f32_e32 v31, v28, v30
	s_wait_alu 0xfffd
	v_div_fmas_f32 v28, v31, v29, v30
	v_fma_f32 v29, v10, v0, v1
	s_delay_alu instid0(VALU_DEP_2) | instskip(SKIP_1) | instid1(VALU_DEP_2)
	v_div_fixup_f32 v11, v28, v11, 1.0
	v_fma_f32 v28, v10, v1, -v0
	v_mul_f32_e32 v10, v29, v11
	s_delay_alu instid0(VALU_DEP_2)
	v_mul_f32_e32 v11, v28, v11
.LBB142_32:                             ;   in Loop: Header=BB142_20 Depth=2
	s_wait_alu 0xfffe
	s_and_not1_b32 vcc_lo, exec_lo, s39
	s_wait_alu 0xfffe
	s_cbranch_vccnz .LBB142_34
; %bb.33:                               ;   in Loop: Header=BB142_20 Depth=2
	v_div_scale_f32 v10, null, v2, v2, v3
	v_div_scale_f32 v29, vcc_lo, v3, v2, v3
	s_delay_alu instid0(VALU_DEP_2)
	v_rcp_f32_e32 v11, v10
	v_xor_b32_e32 v10, 0x80000000, v10
	s_delay_alu instid0(TRANS32_DEP_1) | instid1(VALU_DEP_1)
	v_fma_f32 v28, v10, v11, 1.0
	s_delay_alu instid0(VALU_DEP_1) | instskip(NEXT) | instid1(VALU_DEP_1)
	v_fmac_f32_e32 v11, v28, v11
	v_mul_f32_e32 v28, v29, v11
	s_delay_alu instid0(VALU_DEP_1) | instskip(NEXT) | instid1(VALU_DEP_1)
	v_fma_f32 v30, v10, v28, v29
	v_fmac_f32_e32 v28, v30, v11
	s_delay_alu instid0(VALU_DEP_1) | instskip(SKIP_1) | instid1(VALU_DEP_1)
	v_fmac_f32_e32 v29, v10, v28
	s_wait_alu 0xfffd
	v_div_fmas_f32 v10, v29, v11, v28
	s_delay_alu instid0(VALU_DEP_1) | instskip(NEXT) | instid1(VALU_DEP_1)
	v_div_fixup_f32 v10, v10, v2, v3
	v_fmac_f32_e32 v2, v3, v10
	s_delay_alu instid0(VALU_DEP_1) | instskip(SKIP_1) | instid1(VALU_DEP_2)
	v_div_scale_f32 v3, null, v2, v2, 1.0
	v_div_scale_f32 v29, vcc_lo, 1.0, v2, 1.0
	v_rcp_f32_e32 v11, v3
	v_xor_b32_e32 v3, 0x80000000, v3
	s_delay_alu instid0(TRANS32_DEP_1) | instid1(VALU_DEP_1)
	v_fma_f32 v28, v3, v11, 1.0
	s_delay_alu instid0(VALU_DEP_1) | instskip(NEXT) | instid1(VALU_DEP_1)
	v_fmac_f32_e32 v11, v28, v11
	v_mul_f32_e32 v28, v29, v11
	s_delay_alu instid0(VALU_DEP_1) | instskip(NEXT) | instid1(VALU_DEP_1)
	v_fma_f32 v30, v3, v28, v29
	v_fmac_f32_e32 v28, v30, v11
	s_delay_alu instid0(VALU_DEP_1) | instskip(SKIP_1) | instid1(VALU_DEP_1)
	v_fmac_f32_e32 v29, v3, v28
	s_wait_alu 0xfffd
	v_div_fmas_f32 v3, v29, v11, v28
	v_fma_f32 v11, v10, v1, v0
	v_fma_f32 v0, -v10, v0, v1
	s_delay_alu instid0(VALU_DEP_3) | instskip(NEXT) | instid1(VALU_DEP_1)
	v_div_fixup_f32 v2, v3, v2, 1.0
	v_mul_f32_e32 v10, v11, v2
	s_delay_alu instid0(VALU_DEP_3)
	v_mul_f32_e32 v11, v0, v2
.LBB142_34:                             ;   in Loop: Header=BB142_20 Depth=2
	s_sub_co_i32 s35, s38, s35
	v_mov_b32_e32 v0, s36
	s_wait_alu 0xfffe
	s_add_co_i32 s34, s35, s34
	v_mov_b32_e32 v28, s37
	s_wait_alu 0xfffe
	v_mov_b32_e32 v30, s34
	s_mov_b32 s34, -1
	ds_load_2addr_b64 v[0:3], v0 offset0:3 offset1:27
	ds_load_b64 v[28:29], v28 offset:24
	ds_load_b64 v[30:31], v30 offset:96
	ds_store_b64 v27, v[10:11]
	s_wait_dscnt 0x3
	v_mul_f32_e32 v32, v13, v1
	v_mul_f32_e32 v1, v12, v1
	s_wait_dscnt 0x2
	v_mul_f32_e32 v33, v15, v29
	v_dual_mul_f32 v29, v14, v29 :: v_dual_and_b32 v34, 0x7fffffff, v2
	s_wait_dscnt 0x1
	v_mul_f32_e32 v35, v11, v31
	v_fma_f32 v12, v12, v0, -v32
	v_dual_fmac_f32 v1, v13, v0 :: v_dual_mul_f32 v0, v10, v31
	v_fmac_f32_e32 v29, v15, v28
	v_fma_f32 v13, v14, v28, -v33
	s_delay_alu instid0(VALU_DEP_3) | instskip(NEXT) | instid1(VALU_DEP_4)
	v_dual_sub_f32 v8, v8, v12 :: v_dual_sub_f32 v1, v9, v1
	v_dual_fmac_f32 v0, v11, v30 :: v_dual_and_b32 v9, 0x7fffffff, v3
	v_fma_f32 v12, v10, v30, -v35
	s_delay_alu instid0(VALU_DEP_3) | instskip(NEXT) | instid1(VALU_DEP_4)
	v_sub_f32_e32 v1, v1, v29
	v_sub_f32_e32 v8, v8, v13
	s_delay_alu instid0(VALU_DEP_4) | instskip(NEXT) | instid1(VALU_DEP_3)
	v_cmp_ngt_f32_e32 vcc_lo, v34, v9
	v_sub_f32_e32 v9, v1, v0
	s_delay_alu instid0(VALU_DEP_3)
	v_sub_f32_e32 v8, v8, v12
                                        ; implicit-def: $vgpr1
	s_cbranch_vccz .LBB142_36
; %bb.35:                               ;   in Loop: Header=BB142_20 Depth=2
	v_div_scale_f32 v0, null, v3, v3, v2
	v_div_scale_f32 v11, vcc_lo, v2, v3, v2
	s_mov_b32 s34, 0
	v_rcp_f32_e32 v1, v0
	v_xor_b32_e32 v0, 0x80000000, v0
	s_delay_alu instid0(TRANS32_DEP_1) | instid1(VALU_DEP_1)
	v_fma_f32 v10, v0, v1, 1.0
	s_delay_alu instid0(VALU_DEP_1) | instskip(NEXT) | instid1(VALU_DEP_1)
	v_fmac_f32_e32 v1, v10, v1
	v_mul_f32_e32 v10, v11, v1
	s_delay_alu instid0(VALU_DEP_1) | instskip(NEXT) | instid1(VALU_DEP_1)
	v_fma_f32 v12, v0, v10, v11
	v_fmac_f32_e32 v10, v12, v1
	s_delay_alu instid0(VALU_DEP_1) | instskip(SKIP_1) | instid1(VALU_DEP_1)
	v_fmac_f32_e32 v11, v0, v10
	s_wait_alu 0xfffd
	v_div_fmas_f32 v0, v11, v1, v10
	s_delay_alu instid0(VALU_DEP_1) | instskip(NEXT) | instid1(VALU_DEP_1)
	v_div_fixup_f32 v0, v0, v3, v2
	v_fma_f32 v1, v2, v0, v3
	s_delay_alu instid0(VALU_DEP_1) | instskip(SKIP_1) | instid1(VALU_DEP_2)
	v_div_scale_f32 v10, null, v1, v1, 1.0
	v_div_scale_f32 v13, vcc_lo, 1.0, v1, 1.0
	v_rcp_f32_e32 v11, v10
	v_xor_b32_e32 v10, 0x80000000, v10
	s_delay_alu instid0(TRANS32_DEP_1) | instid1(VALU_DEP_1)
	v_fma_f32 v12, v10, v11, 1.0
	s_delay_alu instid0(VALU_DEP_1) | instskip(NEXT) | instid1(VALU_DEP_1)
	v_fmac_f32_e32 v11, v12, v11
	v_mul_f32_e32 v12, v13, v11
	s_delay_alu instid0(VALU_DEP_1) | instskip(NEXT) | instid1(VALU_DEP_1)
	v_fma_f32 v14, v10, v12, v13
	v_fmac_f32_e32 v12, v14, v11
	s_delay_alu instid0(VALU_DEP_1) | instskip(SKIP_1) | instid1(VALU_DEP_1)
	v_fmac_f32_e32 v13, v10, v12
	s_wait_alu 0xfffd
	v_div_fmas_f32 v10, v13, v11, v12
	v_fma_f32 v11, v0, v8, v9
	s_delay_alu instid0(VALU_DEP_2) | instskip(SKIP_1) | instid1(VALU_DEP_2)
	v_div_fixup_f32 v1, v10, v1, 1.0
	v_fma_f32 v10, v0, v9, -v8
	v_mul_f32_e32 v0, v11, v1
	s_delay_alu instid0(VALU_DEP_2)
	v_mul_f32_e32 v1, v10, v1
.LBB142_36:                             ;   in Loop: Header=BB142_20 Depth=2
	s_wait_alu 0xfffe
	s_and_not1_b32 vcc_lo, exec_lo, s34
	s_wait_alu 0xfffe
	s_cbranch_vccnz .LBB142_38
; %bb.37:                               ;   in Loop: Header=BB142_20 Depth=2
	v_div_scale_f32 v0, null, v2, v2, v3
	v_div_scale_f32 v11, vcc_lo, v3, v2, v3
	s_delay_alu instid0(VALU_DEP_2)
	v_rcp_f32_e32 v1, v0
	v_xor_b32_e32 v0, 0x80000000, v0
	s_delay_alu instid0(TRANS32_DEP_1) | instid1(VALU_DEP_1)
	v_fma_f32 v10, v0, v1, 1.0
	s_delay_alu instid0(VALU_DEP_1) | instskip(NEXT) | instid1(VALU_DEP_1)
	v_fmac_f32_e32 v1, v10, v1
	v_mul_f32_e32 v10, v11, v1
	s_delay_alu instid0(VALU_DEP_1) | instskip(NEXT) | instid1(VALU_DEP_1)
	v_fma_f32 v12, v0, v10, v11
	v_fmac_f32_e32 v10, v12, v1
	s_delay_alu instid0(VALU_DEP_1) | instskip(SKIP_1) | instid1(VALU_DEP_1)
	v_fmac_f32_e32 v11, v0, v10
	s_wait_alu 0xfffd
	v_div_fmas_f32 v0, v11, v1, v10
	s_delay_alu instid0(VALU_DEP_1) | instskip(NEXT) | instid1(VALU_DEP_1)
	v_div_fixup_f32 v0, v0, v2, v3
	v_fmac_f32_e32 v2, v3, v0
	s_delay_alu instid0(VALU_DEP_1) | instskip(SKIP_1) | instid1(VALU_DEP_2)
	v_div_scale_f32 v1, null, v2, v2, 1.0
	v_div_scale_f32 v11, vcc_lo, 1.0, v2, 1.0
	v_rcp_f32_e32 v3, v1
	v_xor_b32_e32 v1, 0x80000000, v1
	s_delay_alu instid0(TRANS32_DEP_1) | instid1(VALU_DEP_1)
	v_fma_f32 v10, v1, v3, 1.0
	s_delay_alu instid0(VALU_DEP_1) | instskip(NEXT) | instid1(VALU_DEP_1)
	v_fmac_f32_e32 v3, v10, v3
	v_mul_f32_e32 v10, v11, v3
	s_delay_alu instid0(VALU_DEP_1) | instskip(NEXT) | instid1(VALU_DEP_1)
	v_fma_f32 v12, v1, v10, v11
	v_fmac_f32_e32 v10, v12, v3
	s_delay_alu instid0(VALU_DEP_1) | instskip(SKIP_1) | instid1(VALU_DEP_1)
	v_fmac_f32_e32 v11, v1, v10
	s_wait_alu 0xfffd
	v_div_fmas_f32 v1, v11, v3, v10
	v_fma_f32 v3, v0, v9, v8
	s_delay_alu instid0(VALU_DEP_2) | instskip(SKIP_1) | instid1(VALU_DEP_2)
	v_div_fixup_f32 v1, v1, v2, 1.0
	v_fma_f32 v2, -v0, v8, v9
	v_mul_f32_e32 v0, v3, v1
	s_delay_alu instid0(VALU_DEP_2)
	v_mul_f32_e32 v1, v2, v1
.LBB142_38:                             ;   in Loop: Header=BB142_20 Depth=2
	s_add_co_i32 s34, s15, 4
	s_add_co_i32 s15, s15, 7
	;; [unrolled: 1-line block ×3, first 2 shown]
	s_wait_alu 0xfffe
	s_cmp_ge_i32 s15, s26
	ds_store_b64 v26, v[0:1]
	s_cbranch_scc1 .LBB142_40
; %bb.39:                               ;   in Loop: Header=BB142_20 Depth=2
	s_mov_b32 s15, s34
	s_branch .LBB142_20
.LBB142_40:                             ;   in Loop: Header=BB142_3 Depth=1
	s_cmp_ge_i32 s34, s26
	s_cbranch_scc1 .LBB142_49
; %bb.41:                               ;   in Loop: Header=BB142_3 Depth=1
	s_lshl_b32 s14, s34, 3
	s_branch .LBB142_43
.LBB142_42:                             ;   in Loop: Header=BB142_43 Depth=2
	s_add_co_i32 s34, s34, 1
	s_add_co_i32 s14, s14, 8
	s_wait_alu 0xfffe
	s_cmp_ge_i32 s34, s26
	ds_store_b64 v10, v[8:9]
	s_cbranch_scc1 .LBB142_49
.LBB142_43:                             ;   Parent Loop BB142_3 Depth=1
                                        ; =>  This Loop Header: Depth=2
                                        ;       Child Loop BB142_44 Depth 3
	s_lshl_b32 s15, s34, 6
	v_mov_b32_e32 v2, v17
	s_wait_alu 0xfffe
	v_add_nc_u32_e32 v10, s15, v17
	s_cmp_eq_u32 s34, 0
	s_mov_b32 s35, s14
	s_mov_b32 s36, s34
	ds_load_b64 v[0:1], v10
	s_cbranch_scc1 .LBB142_45
.LBB142_44:                             ;   Parent Loop BB142_3 Depth=1
                                        ;     Parent Loop BB142_43 Depth=2
                                        ; =>    This Inner Loop Header: Depth=3
	s_wait_alu 0xfffe
	v_mov_b32_e32 v3, s35
	s_add_co_i32 s36, s36, -1
	s_add_co_i32 s35, s35, 64
	s_wait_alu 0xfffe
	s_cmp_eq_u32 s36, 0
	ds_load_b64 v[8:9], v2
	ds_load_b64 v[11:12], v3
	s_wait_dscnt 0x0
	v_dual_mul_f32 v3, v12, v9 :: v_dual_add_nc_u32 v2, 64, v2
	s_delay_alu instid0(VALU_DEP_1) | instskip(NEXT) | instid1(VALU_DEP_1)
	v_fma_f32 v3, v11, v8, -v3
	v_dual_mul_f32 v9, v11, v9 :: v_dual_sub_f32 v0, v0, v3
	s_delay_alu instid0(VALU_DEP_1) | instskip(NEXT) | instid1(VALU_DEP_1)
	v_fmac_f32_e32 v9, v12, v8
	v_sub_f32_e32 v1, v1, v9
	s_cbranch_scc0 .LBB142_44
.LBB142_45:                             ;   in Loop: Header=BB142_43 Depth=2
	s_lshl_b32 s35, s34, 3
	s_wait_alu 0xfffe
	s_add_co_i32 s15, s35, s15
	s_wait_alu 0xfffe
	v_mov_b32_e32 v2, s15
	s_mov_b32 s15, -1
	ds_load_b64 v[2:3], v2
	s_wait_dscnt 0x0
	v_and_b32_e32 v8, 0x7fffffff, v2
	v_and_b32_e32 v9, 0x7fffffff, v3
	s_delay_alu instid0(VALU_DEP_1)
	v_cmp_ngt_f32_e32 vcc_lo, v8, v9
                                        ; implicit-def: $vgpr8
	s_cbranch_vccz .LBB142_47
; %bb.46:                               ;   in Loop: Header=BB142_43 Depth=2
	v_div_scale_f32 v8, null, v3, v3, v2
	v_div_scale_f32 v12, vcc_lo, v2, v3, v2
	s_mov_b32 s15, 0
	v_rcp_f32_e32 v9, v8
	v_xor_b32_e32 v8, 0x80000000, v8
	s_delay_alu instid0(TRANS32_DEP_1) | instid1(VALU_DEP_1)
	v_fma_f32 v11, v8, v9, 1.0
	s_delay_alu instid0(VALU_DEP_1) | instskip(NEXT) | instid1(VALU_DEP_1)
	v_fmac_f32_e32 v9, v11, v9
	v_mul_f32_e32 v11, v12, v9
	s_delay_alu instid0(VALU_DEP_1) | instskip(NEXT) | instid1(VALU_DEP_1)
	v_fma_f32 v13, v8, v11, v12
	v_fmac_f32_e32 v11, v13, v9
	s_delay_alu instid0(VALU_DEP_1) | instskip(SKIP_1) | instid1(VALU_DEP_1)
	v_fmac_f32_e32 v12, v8, v11
	s_wait_alu 0xfffd
	v_div_fmas_f32 v8, v12, v9, v11
	s_delay_alu instid0(VALU_DEP_1) | instskip(NEXT) | instid1(VALU_DEP_1)
	v_div_fixup_f32 v8, v8, v3, v2
	v_fma_f32 v9, v2, v8, v3
	s_delay_alu instid0(VALU_DEP_1) | instskip(SKIP_1) | instid1(VALU_DEP_2)
	v_div_scale_f32 v11, null, v9, v9, 1.0
	v_div_scale_f32 v14, vcc_lo, 1.0, v9, 1.0
	v_rcp_f32_e32 v12, v11
	v_xor_b32_e32 v11, 0x80000000, v11
	s_delay_alu instid0(TRANS32_DEP_1) | instid1(VALU_DEP_1)
	v_fma_f32 v13, v11, v12, 1.0
	s_delay_alu instid0(VALU_DEP_1) | instskip(NEXT) | instid1(VALU_DEP_1)
	v_fmac_f32_e32 v12, v13, v12
	v_mul_f32_e32 v13, v14, v12
	s_delay_alu instid0(VALU_DEP_1) | instskip(NEXT) | instid1(VALU_DEP_1)
	v_fma_f32 v15, v11, v13, v14
	v_fmac_f32_e32 v13, v15, v12
	s_delay_alu instid0(VALU_DEP_1) | instskip(SKIP_1) | instid1(VALU_DEP_1)
	v_fmac_f32_e32 v14, v11, v13
	s_wait_alu 0xfffd
	v_div_fmas_f32 v11, v14, v12, v13
	v_fma_f32 v12, v0, v8, v1
	s_delay_alu instid0(VALU_DEP_2) | instskip(SKIP_1) | instid1(VALU_DEP_2)
	v_div_fixup_f32 v9, v11, v9, 1.0
	v_fma_f32 v11, v1, v8, -v0
	v_mul_f32_e32 v8, v12, v9
	s_delay_alu instid0(VALU_DEP_2)
	v_mul_f32_e32 v9, v11, v9
.LBB142_47:                             ;   in Loop: Header=BB142_43 Depth=2
	s_wait_alu 0xfffe
	s_and_not1_b32 vcc_lo, exec_lo, s15
	s_wait_alu 0xfffe
	s_cbranch_vccnz .LBB142_42
; %bb.48:                               ;   in Loop: Header=BB142_43 Depth=2
	v_div_scale_f32 v8, null, v2, v2, v3
	v_div_scale_f32 v12, vcc_lo, v3, v2, v3
	s_delay_alu instid0(VALU_DEP_2)
	v_rcp_f32_e32 v9, v8
	v_xor_b32_e32 v8, 0x80000000, v8
	s_delay_alu instid0(TRANS32_DEP_1) | instid1(VALU_DEP_1)
	v_fma_f32 v11, v8, v9, 1.0
	s_delay_alu instid0(VALU_DEP_1) | instskip(NEXT) | instid1(VALU_DEP_1)
	v_fmac_f32_e32 v9, v11, v9
	v_mul_f32_e32 v11, v12, v9
	s_delay_alu instid0(VALU_DEP_1) | instskip(NEXT) | instid1(VALU_DEP_1)
	v_fma_f32 v13, v8, v11, v12
	v_fmac_f32_e32 v11, v13, v9
	s_delay_alu instid0(VALU_DEP_1) | instskip(SKIP_1) | instid1(VALU_DEP_1)
	v_fmac_f32_e32 v12, v8, v11
	s_wait_alu 0xfffd
	v_div_fmas_f32 v8, v12, v9, v11
	s_delay_alu instid0(VALU_DEP_1) | instskip(NEXT) | instid1(VALU_DEP_1)
	v_div_fixup_f32 v8, v8, v2, v3
	v_fmac_f32_e32 v2, v3, v8
	s_delay_alu instid0(VALU_DEP_1) | instskip(SKIP_1) | instid1(VALU_DEP_2)
	v_div_scale_f32 v3, null, v2, v2, 1.0
	v_div_scale_f32 v12, vcc_lo, 1.0, v2, 1.0
	v_rcp_f32_e32 v9, v3
	v_xor_b32_e32 v3, 0x80000000, v3
	s_delay_alu instid0(TRANS32_DEP_1) | instid1(VALU_DEP_1)
	v_fma_f32 v11, v3, v9, 1.0
	s_delay_alu instid0(VALU_DEP_1) | instskip(NEXT) | instid1(VALU_DEP_1)
	v_fmac_f32_e32 v9, v11, v9
	v_mul_f32_e32 v11, v12, v9
	s_delay_alu instid0(VALU_DEP_1) | instskip(NEXT) | instid1(VALU_DEP_1)
	v_fma_f32 v13, v3, v11, v12
	v_fmac_f32_e32 v11, v13, v9
	s_delay_alu instid0(VALU_DEP_1) | instskip(SKIP_1) | instid1(VALU_DEP_1)
	v_fmac_f32_e32 v12, v3, v11
	s_wait_alu 0xfffd
	v_div_fmas_f32 v3, v12, v9, v11
	v_fma_f32 v9, v1, v8, v0
	v_fma_f32 v0, -v0, v8, v1
	s_delay_alu instid0(VALU_DEP_3) | instskip(NEXT) | instid1(VALU_DEP_1)
	v_div_fixup_f32 v2, v3, v2, 1.0
	v_mul_f32_e32 v8, v9, v2
	s_delay_alu instid0(VALU_DEP_3)
	v_mul_f32_e32 v9, v0, v2
	s_branch .LBB142_42
.LBB142_49:                             ;   in Loop: Header=BB142_3 Depth=1
	s_mov_b32 s14, 0
.LBB142_50:                             ;   in Loop: Header=BB142_3 Depth=1
	s_wait_alu 0xfffe
	s_and_b32 vcc_lo, exec_lo, s14
	s_wait_alu 0xfffe
	s_cbranch_vccz .LBB142_82
; %bb.51:                               ;   in Loop: Header=BB142_3 Depth=1
	s_mov_b32 s34, s27
	s_and_not1_b32 vcc_lo, exec_lo, s31
	s_mov_b32 s14, s22
	s_mov_b32 s15, s27
	s_wait_alu 0xfffe
	s_cbranch_vccnz .LBB142_73
.LBB142_52:                             ;   Parent Loop BB142_3 Depth=1
                                        ; =>  This Loop Header: Depth=2
                                        ;       Child Loop BB142_53 Depth 3
	s_wait_alu 0xfffe
	s_add_co_i32 s40, s15, -1
	s_add_co_i32 s34, s15, -3
	v_lshl_add_u32 v29, s15, 6, v17
	s_add_co_i32 s37, s15, -2
	s_wait_alu 0xfffe
	v_lshl_add_u32 v28, s40, 6, v17
	s_lshl_b32 s35, s34, 6
	v_lshl_add_u32 v27, s37, 6, v17
	s_wait_alu 0xfffe
	v_add_nc_u32_e32 v26, s35, v17
	ds_load_b64 v[12:13], v29
	ds_load_b64 v[10:11], v28
	ds_load_b64 v[2:3], v27
	ds_load_b64 v[0:1], v26
	v_mov_b32_e32 v8, v23
	s_cmp_le_i32 s27, s15
	s_mov_b32 s35, s14
	s_mov_b32 s36, s27
	s_cbranch_scc1 .LBB142_54
.LBB142_53:                             ;   Parent Loop BB142_3 Depth=1
                                        ;     Parent Loop BB142_52 Depth=2
                                        ; =>    This Inner Loop Header: Depth=3
	s_wait_alu 0xfffe
	v_mov_b32_e32 v9, s35
	s_add_co_i32 s36, s36, -1
	s_sub_co_i32 s35, s35, 64
	s_wait_alu 0xfffe
	s_cmp_le_i32 s36, s15
	ds_load_b64 v[14:15], v8
	ds_load_2addr_b64 v[30:33], v9 offset0:2 offset1:3
	ds_load_2addr_b64 v[34:37], v9 offset1:1
	v_subrev_nc_u32_e32 v8, 64, v8
	s_wait_dscnt 0x1
	v_mul_f32_e32 v9, v33, v15
	v_mul_f32_e32 v38, v32, v15
	;; [unrolled: 1-line block ×3, first 2 shown]
	s_wait_dscnt 0x0
	v_dual_mul_f32 v31, v31, v14 :: v_dual_mul_f32 v40, v37, v15
	v_fma_f32 v9, v32, v14, -v9
	v_mul_f32_e32 v37, v37, v14
	v_fmac_f32_e32 v38, v33, v14
	v_fma_f32 v32, v30, v14, -v39
	v_fmac_f32_e32 v31, v30, v15
	v_fma_f32 v30, v36, v14, -v40
	v_mul_f32_e32 v41, v35, v15
	v_dual_mul_f32 v35, v35, v14 :: v_dual_sub_f32 v12, v12, v9
	s_delay_alu instid0(VALU_DEP_3) | instskip(NEXT) | instid1(VALU_DEP_3)
	v_dual_fmac_f32 v37, v36, v15 :: v_dual_sub_f32 v2, v2, v30
	v_fma_f32 v14, v34, v14, -v41
	s_delay_alu instid0(VALU_DEP_3) | instskip(SKIP_1) | instid1(VALU_DEP_3)
	v_fmac_f32_e32 v35, v34, v15
	v_dual_sub_f32 v13, v13, v38 :: v_dual_sub_f32 v10, v10, v32
	v_dual_sub_f32 v3, v3, v37 :: v_dual_sub_f32 v0, v0, v14
	v_sub_f32_e32 v11, v11, v31
	s_delay_alu instid0(VALU_DEP_4)
	v_sub_f32_e32 v1, v1, v35
	s_cbranch_scc0 .LBB142_53
.LBB142_54:                             ;   in Loop: Header=BB142_52 Depth=2
	s_lshl_b32 s38, s40, 3
	s_lshl_b32 s35, s37, 3
; %bb.55:                               ;   in Loop: Header=BB142_52 Depth=2
	s_lshl_b32 s39, s15, 3
	s_lshl_b32 s36, s15, 6
	s_mov_b32 s41, -1
	s_wait_alu 0xfffe
	s_add_co_i32 s36, s39, s36
	s_wait_alu 0xfffe
	v_mov_b32_e32 v8, s36
	ds_load_b64 v[14:15], v8
	s_wait_dscnt 0x0
	v_and_b32_e32 v8, 0x7fffffff, v14
	v_and_b32_e32 v9, 0x7fffffff, v15
	s_delay_alu instid0(VALU_DEP_1)
	v_cmp_ngt_f32_e32 vcc_lo, v8, v9
                                        ; implicit-def: $vgpr9
	s_cbranch_vccz .LBB142_57
; %bb.56:                               ;   in Loop: Header=BB142_52 Depth=2
	v_div_scale_f32 v8, null, v15, v15, v14
	v_div_scale_f32 v31, vcc_lo, v14, v15, v14
	s_mov_b32 s41, 0
	v_rcp_f32_e32 v9, v8
	v_xor_b32_e32 v8, 0x80000000, v8
	s_delay_alu instid0(TRANS32_DEP_1) | instid1(VALU_DEP_1)
	v_fma_f32 v30, v8, v9, 1.0
	s_delay_alu instid0(VALU_DEP_1) | instskip(NEXT) | instid1(VALU_DEP_1)
	v_fmac_f32_e32 v9, v30, v9
	v_mul_f32_e32 v30, v31, v9
	s_delay_alu instid0(VALU_DEP_1) | instskip(NEXT) | instid1(VALU_DEP_1)
	v_fma_f32 v32, v8, v30, v31
	v_fmac_f32_e32 v30, v32, v9
	s_delay_alu instid0(VALU_DEP_1) | instskip(SKIP_1) | instid1(VALU_DEP_1)
	v_fmac_f32_e32 v31, v8, v30
	s_wait_alu 0xfffd
	v_div_fmas_f32 v8, v31, v9, v30
	s_delay_alu instid0(VALU_DEP_1) | instskip(NEXT) | instid1(VALU_DEP_1)
	v_div_fixup_f32 v8, v8, v15, v14
	v_fma_f32 v9, v14, v8, v15
	s_delay_alu instid0(VALU_DEP_1) | instskip(SKIP_1) | instid1(VALU_DEP_2)
	v_div_scale_f32 v30, null, v9, v9, 1.0
	v_div_scale_f32 v33, vcc_lo, 1.0, v9, 1.0
	v_rcp_f32_e32 v31, v30
	v_xor_b32_e32 v30, 0x80000000, v30
	s_delay_alu instid0(TRANS32_DEP_1) | instid1(VALU_DEP_1)
	v_fma_f32 v32, v30, v31, 1.0
	s_delay_alu instid0(VALU_DEP_1) | instskip(NEXT) | instid1(VALU_DEP_1)
	v_fmac_f32_e32 v31, v32, v31
	v_mul_f32_e32 v32, v33, v31
	s_delay_alu instid0(VALU_DEP_1) | instskip(NEXT) | instid1(VALU_DEP_1)
	v_fma_f32 v34, v30, v32, v33
	v_fmac_f32_e32 v32, v34, v31
	s_delay_alu instid0(VALU_DEP_1) | instskip(SKIP_1) | instid1(VALU_DEP_1)
	v_fmac_f32_e32 v33, v30, v32
	s_wait_alu 0xfffd
	v_div_fmas_f32 v30, v33, v31, v32
	v_fma_f32 v31, v12, v8, v13
	s_delay_alu instid0(VALU_DEP_2) | instskip(SKIP_1) | instid1(VALU_DEP_2)
	v_div_fixup_f32 v9, v30, v9, 1.0
	v_fma_f32 v30, v13, v8, -v12
	v_mul_f32_e32 v8, v31, v9
	s_delay_alu instid0(VALU_DEP_2)
	v_mul_f32_e32 v9, v30, v9
.LBB142_57:                             ;   in Loop: Header=BB142_52 Depth=2
	s_wait_alu 0xfffe
	s_and_not1_b32 vcc_lo, exec_lo, s41
	s_wait_alu 0xfffe
	s_cbranch_vccnz .LBB142_59
; %bb.58:                               ;   in Loop: Header=BB142_52 Depth=2
	v_div_scale_f32 v8, null, v14, v14, v15
	v_div_scale_f32 v31, vcc_lo, v15, v14, v15
	s_delay_alu instid0(VALU_DEP_2)
	v_rcp_f32_e32 v9, v8
	v_xor_b32_e32 v8, 0x80000000, v8
	s_delay_alu instid0(TRANS32_DEP_1) | instid1(VALU_DEP_1)
	v_fma_f32 v30, v8, v9, 1.0
	s_delay_alu instid0(VALU_DEP_1) | instskip(NEXT) | instid1(VALU_DEP_1)
	v_fmac_f32_e32 v9, v30, v9
	v_mul_f32_e32 v30, v31, v9
	s_delay_alu instid0(VALU_DEP_1) | instskip(NEXT) | instid1(VALU_DEP_1)
	v_fma_f32 v32, v8, v30, v31
	v_fmac_f32_e32 v30, v32, v9
	s_delay_alu instid0(VALU_DEP_1) | instskip(SKIP_1) | instid1(VALU_DEP_1)
	v_fmac_f32_e32 v31, v8, v30
	s_wait_alu 0xfffd
	v_div_fmas_f32 v8, v31, v9, v30
	s_delay_alu instid0(VALU_DEP_1) | instskip(NEXT) | instid1(VALU_DEP_1)
	v_div_fixup_f32 v8, v8, v14, v15
	v_fmac_f32_e32 v14, v15, v8
	s_delay_alu instid0(VALU_DEP_1) | instskip(SKIP_1) | instid1(VALU_DEP_2)
	v_div_scale_f32 v9, null, v14, v14, 1.0
	v_div_scale_f32 v31, vcc_lo, 1.0, v14, 1.0
	v_rcp_f32_e32 v15, v9
	v_xor_b32_e32 v9, 0x80000000, v9
	s_delay_alu instid0(TRANS32_DEP_1) | instid1(VALU_DEP_1)
	v_fma_f32 v30, v9, v15, 1.0
	s_delay_alu instid0(VALU_DEP_1) | instskip(NEXT) | instid1(VALU_DEP_1)
	v_fmac_f32_e32 v15, v30, v15
	v_mul_f32_e32 v30, v31, v15
	s_delay_alu instid0(VALU_DEP_1) | instskip(NEXT) | instid1(VALU_DEP_1)
	v_fma_f32 v32, v9, v30, v31
	v_fmac_f32_e32 v30, v32, v15
	s_delay_alu instid0(VALU_DEP_1) | instskip(SKIP_1) | instid1(VALU_DEP_1)
	v_fmac_f32_e32 v31, v9, v30
	s_wait_alu 0xfffd
	v_div_fmas_f32 v9, v31, v15, v30
	v_fma_f32 v15, v13, v8, v12
	v_fma_f32 v12, -v12, v8, v13
	s_delay_alu instid0(VALU_DEP_3) | instskip(NEXT) | instid1(VALU_DEP_1)
	v_div_fixup_f32 v9, v9, v14, 1.0
	v_mul_f32_e32 v8, v15, v9
	s_delay_alu instid0(VALU_DEP_3)
	v_mul_f32_e32 v9, v12, v9
.LBB142_59:                             ;   in Loop: Header=BB142_52 Depth=2
	s_lshl_b32 s40, s40, 6
	s_add_co_i32 s41, s36, -8
	s_wait_alu 0xfffe
	s_add_co_i32 s40, s39, s40
	s_wait_alu 0xfffe
	s_add_co_i32 s40, s40, -8
	s_wait_alu 0xfffe
	v_dual_mov_b32 v12, s41 :: v_dual_mov_b32 v13, s40
	s_mov_b32 s41, -1
	ds_load_b64 v[14:15], v12
	ds_load_b64 v[12:13], v13
	ds_store_b64 v29, v[8:9]
	s_wait_dscnt 0x1
	v_dual_mul_f32 v30, v9, v15 :: v_dual_and_b32 v31, 0x7fffffff, v12
	v_dual_mul_f32 v15, v8, v15 :: v_dual_and_b32 v32, 0x7fffffff, v13
	s_delay_alu instid0(VALU_DEP_2) | instskip(NEXT) | instid1(VALU_DEP_2)
	v_fma_f32 v30, v8, v14, -v30
	v_fmac_f32_e32 v15, v9, v14
	s_delay_alu instid0(VALU_DEP_3) | instskip(NEXT) | instid1(VALU_DEP_2)
	v_cmp_ngt_f32_e32 vcc_lo, v31, v32
	v_dual_sub_f32 v14, v10, v30 :: v_dual_sub_f32 v15, v11, v15
                                        ; implicit-def: $vgpr11
	s_cbranch_vccz .LBB142_61
; %bb.60:                               ;   in Loop: Header=BB142_52 Depth=2
	v_div_scale_f32 v10, null, v13, v13, v12
	v_div_scale_f32 v30, vcc_lo, v12, v13, v12
	s_mov_b32 s41, 0
	v_rcp_f32_e32 v11, v10
	v_xor_b32_e32 v10, 0x80000000, v10
	s_delay_alu instid0(TRANS32_DEP_1) | instid1(VALU_DEP_1)
	v_fma_f32 v29, v10, v11, 1.0
	s_delay_alu instid0(VALU_DEP_1) | instskip(NEXT) | instid1(VALU_DEP_1)
	v_fmac_f32_e32 v11, v29, v11
	v_mul_f32_e32 v29, v30, v11
	s_delay_alu instid0(VALU_DEP_1) | instskip(NEXT) | instid1(VALU_DEP_1)
	v_fma_f32 v31, v10, v29, v30
	v_fmac_f32_e32 v29, v31, v11
	s_delay_alu instid0(VALU_DEP_1) | instskip(SKIP_1) | instid1(VALU_DEP_1)
	v_fmac_f32_e32 v30, v10, v29
	s_wait_alu 0xfffd
	v_div_fmas_f32 v10, v30, v11, v29
	s_delay_alu instid0(VALU_DEP_1) | instskip(NEXT) | instid1(VALU_DEP_1)
	v_div_fixup_f32 v10, v10, v13, v12
	v_fma_f32 v11, v12, v10, v13
	s_delay_alu instid0(VALU_DEP_1) | instskip(SKIP_1) | instid1(VALU_DEP_2)
	v_div_scale_f32 v29, null, v11, v11, 1.0
	v_div_scale_f32 v32, vcc_lo, 1.0, v11, 1.0
	v_rcp_f32_e32 v30, v29
	v_xor_b32_e32 v29, 0x80000000, v29
	s_delay_alu instid0(TRANS32_DEP_1) | instid1(VALU_DEP_1)
	v_fma_f32 v31, v29, v30, 1.0
	s_delay_alu instid0(VALU_DEP_1) | instskip(NEXT) | instid1(VALU_DEP_1)
	v_fmac_f32_e32 v30, v31, v30
	v_mul_f32_e32 v31, v32, v30
	s_delay_alu instid0(VALU_DEP_1) | instskip(NEXT) | instid1(VALU_DEP_1)
	v_fma_f32 v33, v29, v31, v32
	v_fmac_f32_e32 v31, v33, v30
	s_delay_alu instid0(VALU_DEP_1) | instskip(SKIP_1) | instid1(VALU_DEP_1)
	v_fmac_f32_e32 v32, v29, v31
	s_wait_alu 0xfffd
	v_div_fmas_f32 v29, v32, v30, v31
	v_fma_f32 v30, v10, v14, v15
	s_delay_alu instid0(VALU_DEP_2) | instskip(SKIP_1) | instid1(VALU_DEP_2)
	v_div_fixup_f32 v11, v29, v11, 1.0
	v_fma_f32 v29, v10, v15, -v14
	v_mul_f32_e32 v10, v30, v11
	s_delay_alu instid0(VALU_DEP_2)
	v_mul_f32_e32 v11, v29, v11
.LBB142_61:                             ;   in Loop: Header=BB142_52 Depth=2
	s_wait_alu 0xfffe
	s_and_not1_b32 vcc_lo, exec_lo, s41
	s_wait_alu 0xfffe
	s_cbranch_vccnz .LBB142_63
; %bb.62:                               ;   in Loop: Header=BB142_52 Depth=2
	v_div_scale_f32 v10, null, v12, v12, v13
	v_div_scale_f32 v30, vcc_lo, v13, v12, v13
	s_delay_alu instid0(VALU_DEP_2)
	v_rcp_f32_e32 v11, v10
	v_xor_b32_e32 v10, 0x80000000, v10
	s_delay_alu instid0(TRANS32_DEP_1) | instid1(VALU_DEP_1)
	v_fma_f32 v29, v10, v11, 1.0
	s_delay_alu instid0(VALU_DEP_1) | instskip(NEXT) | instid1(VALU_DEP_1)
	v_fmac_f32_e32 v11, v29, v11
	v_mul_f32_e32 v29, v30, v11
	s_delay_alu instid0(VALU_DEP_1) | instskip(NEXT) | instid1(VALU_DEP_1)
	v_fma_f32 v31, v10, v29, v30
	v_fmac_f32_e32 v29, v31, v11
	s_delay_alu instid0(VALU_DEP_1) | instskip(SKIP_1) | instid1(VALU_DEP_1)
	v_fmac_f32_e32 v30, v10, v29
	s_wait_alu 0xfffd
	v_div_fmas_f32 v10, v30, v11, v29
	s_delay_alu instid0(VALU_DEP_1) | instskip(NEXT) | instid1(VALU_DEP_1)
	v_div_fixup_f32 v10, v10, v12, v13
	v_fmac_f32_e32 v12, v13, v10
	s_delay_alu instid0(VALU_DEP_1) | instskip(SKIP_1) | instid1(VALU_DEP_2)
	v_div_scale_f32 v11, null, v12, v12, 1.0
	v_div_scale_f32 v30, vcc_lo, 1.0, v12, 1.0
	v_rcp_f32_e32 v13, v11
	v_xor_b32_e32 v11, 0x80000000, v11
	s_delay_alu instid0(TRANS32_DEP_1) | instid1(VALU_DEP_1)
	v_fma_f32 v29, v11, v13, 1.0
	s_delay_alu instid0(VALU_DEP_1) | instskip(NEXT) | instid1(VALU_DEP_1)
	v_fmac_f32_e32 v13, v29, v13
	v_mul_f32_e32 v29, v30, v13
	s_delay_alu instid0(VALU_DEP_1) | instskip(NEXT) | instid1(VALU_DEP_1)
	v_fma_f32 v31, v11, v29, v30
	v_fmac_f32_e32 v29, v31, v13
	s_delay_alu instid0(VALU_DEP_1) | instskip(SKIP_1) | instid1(VALU_DEP_1)
	v_fmac_f32_e32 v30, v11, v29
	s_wait_alu 0xfffd
	v_div_fmas_f32 v11, v30, v13, v29
	v_fma_f32 v13, v10, v15, v14
	s_delay_alu instid0(VALU_DEP_2) | instskip(SKIP_1) | instid1(VALU_DEP_2)
	v_div_fixup_f32 v11, v11, v12, 1.0
	v_fma_f32 v12, -v10, v14, v15
	v_mul_f32_e32 v10, v13, v11
	s_delay_alu instid0(VALU_DEP_2)
	v_mul_f32_e32 v11, v12, v11
.LBB142_63:                             ;   in Loop: Header=BB142_52 Depth=2
	s_lshl_b32 s37, s37, 6
	s_sub_co_i32 s38, s40, s38
	s_wait_alu 0xfffe
	s_add_co_i32 s37, s39, s37
	s_add_co_i32 s39, s36, -16
	s_add_co_i32 s40, s38, s35
	s_wait_alu 0xfffe
	v_dual_mov_b32 v12, s39 :: v_dual_mov_b32 v13, s40
	s_add_co_i32 s37, s37, -16
	s_mov_b32 s39, -1
	s_wait_alu 0xfffe
	v_mov_b32_e32 v31, s37
	ds_load_b64 v[14:15], v12
	ds_load_b64 v[29:30], v13
	;; [unrolled: 1-line block ×3, first 2 shown]
	ds_store_b64 v28, v[10:11]
	s_wait_dscnt 0x3
	v_mul_f32_e32 v31, v9, v15
	s_wait_dscnt 0x2
	v_dual_mul_f32 v15, v8, v15 :: v_dual_mul_f32 v32, v11, v30
	s_wait_dscnt 0x1
	v_dual_mul_f32 v30, v10, v30 :: v_dual_and_b32 v33, 0x7fffffff, v12
	v_fma_f32 v31, v8, v14, -v31
	s_delay_alu instid0(VALU_DEP_3) | instskip(SKIP_1) | instid1(VALU_DEP_4)
	v_dual_fmac_f32 v15, v9, v14 :: v_dual_and_b32 v14, 0x7fffffff, v13
	v_fma_f32 v32, v10, v29, -v32
	v_fmac_f32_e32 v30, v11, v29
	s_delay_alu instid0(VALU_DEP_4) | instskip(NEXT) | instid1(VALU_DEP_4)
	v_sub_f32_e32 v2, v2, v31
	v_sub_f32_e32 v3, v3, v15
	v_cmp_ngt_f32_e32 vcc_lo, v33, v14
                                        ; implicit-def: $vgpr15
	s_delay_alu instid0(VALU_DEP_2)
	v_dual_sub_f32 v2, v2, v32 :: v_dual_sub_f32 v3, v3, v30
	s_cbranch_vccz .LBB142_65
; %bb.64:                               ;   in Loop: Header=BB142_52 Depth=2
	v_div_scale_f32 v14, null, v13, v13, v12
	v_div_scale_f32 v29, vcc_lo, v12, v13, v12
	s_mov_b32 s39, 0
	v_rcp_f32_e32 v15, v14
	v_xor_b32_e32 v14, 0x80000000, v14
	s_delay_alu instid0(TRANS32_DEP_1) | instid1(VALU_DEP_1)
	v_fma_f32 v28, v14, v15, 1.0
	s_delay_alu instid0(VALU_DEP_1) | instskip(NEXT) | instid1(VALU_DEP_1)
	v_fmac_f32_e32 v15, v28, v15
	v_mul_f32_e32 v28, v29, v15
	s_delay_alu instid0(VALU_DEP_1) | instskip(NEXT) | instid1(VALU_DEP_1)
	v_fma_f32 v30, v14, v28, v29
	v_fmac_f32_e32 v28, v30, v15
	s_delay_alu instid0(VALU_DEP_1) | instskip(SKIP_1) | instid1(VALU_DEP_1)
	v_fmac_f32_e32 v29, v14, v28
	s_wait_alu 0xfffd
	v_div_fmas_f32 v14, v29, v15, v28
	s_delay_alu instid0(VALU_DEP_1) | instskip(NEXT) | instid1(VALU_DEP_1)
	v_div_fixup_f32 v14, v14, v13, v12
	v_fma_f32 v15, v12, v14, v13
	s_delay_alu instid0(VALU_DEP_1) | instskip(SKIP_1) | instid1(VALU_DEP_2)
	v_div_scale_f32 v28, null, v15, v15, 1.0
	v_div_scale_f32 v31, vcc_lo, 1.0, v15, 1.0
	v_rcp_f32_e32 v29, v28
	v_xor_b32_e32 v28, 0x80000000, v28
	s_delay_alu instid0(TRANS32_DEP_1) | instid1(VALU_DEP_1)
	v_fma_f32 v30, v28, v29, 1.0
	s_delay_alu instid0(VALU_DEP_1) | instskip(NEXT) | instid1(VALU_DEP_1)
	v_fmac_f32_e32 v29, v30, v29
	v_mul_f32_e32 v30, v31, v29
	s_delay_alu instid0(VALU_DEP_1) | instskip(NEXT) | instid1(VALU_DEP_1)
	v_fma_f32 v32, v28, v30, v31
	v_fmac_f32_e32 v30, v32, v29
	s_delay_alu instid0(VALU_DEP_1) | instskip(SKIP_1) | instid1(VALU_DEP_1)
	v_fmac_f32_e32 v31, v28, v30
	s_wait_alu 0xfffd
	v_div_fmas_f32 v28, v31, v29, v30
	v_fma_f32 v29, v14, v2, v3
	s_delay_alu instid0(VALU_DEP_2) | instskip(SKIP_1) | instid1(VALU_DEP_2)
	v_div_fixup_f32 v15, v28, v15, 1.0
	v_fma_f32 v28, v14, v3, -v2
	v_mul_f32_e32 v14, v29, v15
	s_delay_alu instid0(VALU_DEP_2)
	v_mul_f32_e32 v15, v28, v15
.LBB142_65:                             ;   in Loop: Header=BB142_52 Depth=2
	s_wait_alu 0xfffe
	s_and_not1_b32 vcc_lo, exec_lo, s39
	s_wait_alu 0xfffe
	s_cbranch_vccnz .LBB142_67
; %bb.66:                               ;   in Loop: Header=BB142_52 Depth=2
	v_div_scale_f32 v14, null, v12, v12, v13
	v_div_scale_f32 v29, vcc_lo, v13, v12, v13
	s_delay_alu instid0(VALU_DEP_2)
	v_rcp_f32_e32 v15, v14
	v_xor_b32_e32 v14, 0x80000000, v14
	s_delay_alu instid0(TRANS32_DEP_1) | instid1(VALU_DEP_1)
	v_fma_f32 v28, v14, v15, 1.0
	s_delay_alu instid0(VALU_DEP_1) | instskip(NEXT) | instid1(VALU_DEP_1)
	v_fmac_f32_e32 v15, v28, v15
	v_mul_f32_e32 v28, v29, v15
	s_delay_alu instid0(VALU_DEP_1) | instskip(NEXT) | instid1(VALU_DEP_1)
	v_fma_f32 v30, v14, v28, v29
	v_fmac_f32_e32 v28, v30, v15
	s_delay_alu instid0(VALU_DEP_1) | instskip(SKIP_1) | instid1(VALU_DEP_1)
	v_fmac_f32_e32 v29, v14, v28
	s_wait_alu 0xfffd
	v_div_fmas_f32 v14, v29, v15, v28
	s_delay_alu instid0(VALU_DEP_1) | instskip(NEXT) | instid1(VALU_DEP_1)
	v_div_fixup_f32 v14, v14, v12, v13
	v_fmac_f32_e32 v12, v13, v14
	s_delay_alu instid0(VALU_DEP_1) | instskip(SKIP_1) | instid1(VALU_DEP_2)
	v_div_scale_f32 v13, null, v12, v12, 1.0
	v_div_scale_f32 v29, vcc_lo, 1.0, v12, 1.0
	v_rcp_f32_e32 v15, v13
	v_xor_b32_e32 v13, 0x80000000, v13
	s_delay_alu instid0(TRANS32_DEP_1) | instid1(VALU_DEP_1)
	v_fma_f32 v28, v13, v15, 1.0
	s_delay_alu instid0(VALU_DEP_1) | instskip(NEXT) | instid1(VALU_DEP_1)
	v_fmac_f32_e32 v15, v28, v15
	v_mul_f32_e32 v28, v29, v15
	s_delay_alu instid0(VALU_DEP_1) | instskip(NEXT) | instid1(VALU_DEP_1)
	v_fma_f32 v30, v13, v28, v29
	v_fmac_f32_e32 v28, v30, v15
	s_delay_alu instid0(VALU_DEP_1) | instskip(SKIP_1) | instid1(VALU_DEP_1)
	v_fmac_f32_e32 v29, v13, v28
	s_wait_alu 0xfffd
	v_div_fmas_f32 v13, v29, v15, v28
	v_fma_f32 v15, v14, v3, v2
	v_fma_f32 v2, -v14, v2, v3
	s_delay_alu instid0(VALU_DEP_3) | instskip(NEXT) | instid1(VALU_DEP_1)
	v_div_fixup_f32 v12, v13, v12, 1.0
	v_mul_f32_e32 v14, v15, v12
	s_delay_alu instid0(VALU_DEP_3)
	v_mul_f32_e32 v15, v2, v12
.LBB142_67:                             ;   in Loop: Header=BB142_52 Depth=2
	s_sub_co_i32 s36, s36, 24
	s_lshl_b32 s34, s34, 3
	s_wait_alu 0xfffe
	v_mov_b32_e32 v2, s36
	s_add_co_i32 s36, s38, s34
	s_sub_co_i32 s35, s37, s35
	s_wait_alu 0xfffe
	v_mov_b32_e32 v3, s36
	s_add_co_i32 s34, s35, s34
	ds_load_b64 v[12:13], v2
	ds_load_b64 v[28:29], v3
	s_wait_alu 0xfffe
	v_mov_b32_e32 v30, s34
	s_add_co_i32 s34, s37, 0xffffffb8
	s_wait_alu 0xfffe
	v_mov_b32_e32 v2, s34
	s_mov_b32 s34, -1
	s_wait_dscnt 0x1
	v_mul_f32_e32 v32, v9, v13
	v_mul_f32_e32 v13, v8, v13
	s_wait_dscnt 0x0
	v_mul_f32_e32 v33, v11, v29
	ds_load_b64 v[30:31], v30
	ds_load_b64 v[2:3], v2
	v_mul_f32_e32 v29, v10, v29
	v_fmac_f32_e32 v13, v9, v12
	ds_store_b64 v27, v[14:15]
	v_fma_f32 v10, v10, v28, -v33
	s_wait_dscnt 0x2
	v_mul_f32_e32 v34, v15, v31
	v_mul_f32_e32 v31, v14, v31
	v_fma_f32 v8, v8, v12, -v32
	s_wait_dscnt 0x1
	v_and_b32_e32 v9, 0x7fffffff, v2
	s_delay_alu instid0(VALU_DEP_2) | instskip(SKIP_2) | instid1(VALU_DEP_3)
	v_dual_fmac_f32 v31, v15, v30 :: v_dual_sub_f32 v0, v0, v8
	v_dual_fmac_f32 v29, v11, v28 :: v_dual_and_b32 v8, 0x7fffffff, v3
	v_fma_f32 v11, v14, v30, -v34
	v_dual_sub_f32 v0, v0, v10 :: v_dual_sub_f32 v1, v1, v13
	s_delay_alu instid0(VALU_DEP_3) | instskip(NEXT) | instid1(VALU_DEP_2)
	v_cmp_ngt_f32_e32 vcc_lo, v9, v8
	v_dual_sub_f32 v8, v0, v11 :: v_dual_sub_f32 v1, v1, v29
	s_delay_alu instid0(VALU_DEP_1)
	v_sub_f32_e32 v9, v1, v31
                                        ; implicit-def: $vgpr1
	s_cbranch_vccz .LBB142_69
; %bb.68:                               ;   in Loop: Header=BB142_52 Depth=2
	v_div_scale_f32 v0, null, v3, v3, v2
	v_div_scale_f32 v11, vcc_lo, v2, v3, v2
	s_mov_b32 s34, 0
	v_rcp_f32_e32 v1, v0
	v_xor_b32_e32 v0, 0x80000000, v0
	s_delay_alu instid0(TRANS32_DEP_1) | instid1(VALU_DEP_1)
	v_fma_f32 v10, v0, v1, 1.0
	s_delay_alu instid0(VALU_DEP_1) | instskip(NEXT) | instid1(VALU_DEP_1)
	v_fmac_f32_e32 v1, v10, v1
	v_mul_f32_e32 v10, v11, v1
	s_delay_alu instid0(VALU_DEP_1) | instskip(NEXT) | instid1(VALU_DEP_1)
	v_fma_f32 v12, v0, v10, v11
	v_fmac_f32_e32 v10, v12, v1
	s_delay_alu instid0(VALU_DEP_1) | instskip(SKIP_1) | instid1(VALU_DEP_1)
	v_fmac_f32_e32 v11, v0, v10
	s_wait_alu 0xfffd
	v_div_fmas_f32 v0, v11, v1, v10
	s_delay_alu instid0(VALU_DEP_1) | instskip(NEXT) | instid1(VALU_DEP_1)
	v_div_fixup_f32 v0, v0, v3, v2
	v_fma_f32 v1, v2, v0, v3
	s_delay_alu instid0(VALU_DEP_1) | instskip(SKIP_1) | instid1(VALU_DEP_2)
	v_div_scale_f32 v10, null, v1, v1, 1.0
	v_div_scale_f32 v13, vcc_lo, 1.0, v1, 1.0
	v_rcp_f32_e32 v11, v10
	v_xor_b32_e32 v10, 0x80000000, v10
	s_delay_alu instid0(TRANS32_DEP_1) | instid1(VALU_DEP_1)
	v_fma_f32 v12, v10, v11, 1.0
	s_delay_alu instid0(VALU_DEP_1) | instskip(NEXT) | instid1(VALU_DEP_1)
	v_fmac_f32_e32 v11, v12, v11
	v_mul_f32_e32 v12, v13, v11
	s_delay_alu instid0(VALU_DEP_1) | instskip(NEXT) | instid1(VALU_DEP_1)
	v_fma_f32 v14, v10, v12, v13
	v_fmac_f32_e32 v12, v14, v11
	s_delay_alu instid0(VALU_DEP_1) | instskip(SKIP_1) | instid1(VALU_DEP_1)
	v_fmac_f32_e32 v13, v10, v12
	s_wait_alu 0xfffd
	v_div_fmas_f32 v10, v13, v11, v12
	v_fma_f32 v11, v0, v8, v9
	s_delay_alu instid0(VALU_DEP_2) | instskip(SKIP_1) | instid1(VALU_DEP_2)
	v_div_fixup_f32 v1, v10, v1, 1.0
	v_fma_f32 v10, v0, v9, -v8
	v_mul_f32_e32 v0, v11, v1
	s_delay_alu instid0(VALU_DEP_2)
	v_mul_f32_e32 v1, v10, v1
.LBB142_69:                             ;   in Loop: Header=BB142_52 Depth=2
	s_wait_alu 0xfffe
	s_and_not1_b32 vcc_lo, exec_lo, s34
	s_wait_alu 0xfffe
	s_cbranch_vccnz .LBB142_71
; %bb.70:                               ;   in Loop: Header=BB142_52 Depth=2
	v_div_scale_f32 v0, null, v2, v2, v3
	v_div_scale_f32 v11, vcc_lo, v3, v2, v3
	s_delay_alu instid0(VALU_DEP_2)
	v_rcp_f32_e32 v1, v0
	v_xor_b32_e32 v0, 0x80000000, v0
	s_delay_alu instid0(TRANS32_DEP_1) | instid1(VALU_DEP_1)
	v_fma_f32 v10, v0, v1, 1.0
	s_delay_alu instid0(VALU_DEP_1) | instskip(NEXT) | instid1(VALU_DEP_1)
	v_fmac_f32_e32 v1, v10, v1
	v_mul_f32_e32 v10, v11, v1
	s_delay_alu instid0(VALU_DEP_1) | instskip(NEXT) | instid1(VALU_DEP_1)
	v_fma_f32 v12, v0, v10, v11
	v_fmac_f32_e32 v10, v12, v1
	s_delay_alu instid0(VALU_DEP_1) | instskip(SKIP_1) | instid1(VALU_DEP_1)
	v_fmac_f32_e32 v11, v0, v10
	s_wait_alu 0xfffd
	v_div_fmas_f32 v0, v11, v1, v10
	s_delay_alu instid0(VALU_DEP_1) | instskip(NEXT) | instid1(VALU_DEP_1)
	v_div_fixup_f32 v0, v0, v2, v3
	v_fmac_f32_e32 v2, v3, v0
	s_delay_alu instid0(VALU_DEP_1) | instskip(SKIP_1) | instid1(VALU_DEP_2)
	v_div_scale_f32 v1, null, v2, v2, 1.0
	v_div_scale_f32 v11, vcc_lo, 1.0, v2, 1.0
	v_rcp_f32_e32 v3, v1
	v_xor_b32_e32 v1, 0x80000000, v1
	s_delay_alu instid0(TRANS32_DEP_1) | instid1(VALU_DEP_1)
	v_fma_f32 v10, v1, v3, 1.0
	s_delay_alu instid0(VALU_DEP_1) | instskip(NEXT) | instid1(VALU_DEP_1)
	v_fmac_f32_e32 v3, v10, v3
	v_mul_f32_e32 v10, v11, v3
	s_delay_alu instid0(VALU_DEP_1) | instskip(NEXT) | instid1(VALU_DEP_1)
	v_fma_f32 v12, v1, v10, v11
	v_fmac_f32_e32 v10, v12, v3
	s_delay_alu instid0(VALU_DEP_1) | instskip(SKIP_1) | instid1(VALU_DEP_1)
	v_fmac_f32_e32 v11, v1, v10
	s_wait_alu 0xfffd
	v_div_fmas_f32 v1, v11, v3, v10
	v_fma_f32 v3, v0, v9, v8
	s_delay_alu instid0(VALU_DEP_2) | instskip(SKIP_1) | instid1(VALU_DEP_2)
	v_div_fixup_f32 v1, v1, v2, 1.0
	v_fma_f32 v2, -v0, v8, v9
	v_mul_f32_e32 v0, v3, v1
	s_delay_alu instid0(VALU_DEP_2)
	v_mul_f32_e32 v1, v2, v1
.LBB142_71:                             ;   in Loop: Header=BB142_52 Depth=2
	s_add_co_i32 s34, s15, -4
	s_sub_co_i32 s14, s14, 32
	s_cmp_lt_i32 s15, 7
	ds_store_b64 v26, v[0:1]
	s_cbranch_scc1 .LBB142_73
; %bb.72:                               ;   in Loop: Header=BB142_52 Depth=2
	s_wait_alu 0xfffe
	s_mov_b32 s15, s34
	s_branch .LBB142_52
.LBB142_73:                             ;   in Loop: Header=BB142_3 Depth=1
	s_wait_alu 0xfffe
	s_cmp_lt_i32 s34, 0
	s_cbranch_scc1 .LBB142_82
; %bb.74:                               ;   in Loop: Header=BB142_3 Depth=1
	s_lshl_b32 s14, s34, 3
	s_wait_alu 0xfffe
	s_add_co_i32 s14, s23, s14
	s_branch .LBB142_76
.LBB142_75:                             ;   in Loop: Header=BB142_76 Depth=2
	s_add_co_i32 s15, s34, -1
	s_add_co_i32 s14, s14, -8
	s_cmp_lt_i32 s34, 1
	s_wait_alu 0xfffe
	s_mov_b32 s34, s15
	ds_store_b64 v10, v[8:9]
	s_cbranch_scc1 .LBB142_82
.LBB142_76:                             ;   Parent Loop BB142_3 Depth=1
                                        ; =>  This Loop Header: Depth=2
                                        ;       Child Loop BB142_77 Depth 3
	s_wait_alu 0xfffe
	s_lshl_b32 s15, s34, 6
	v_mov_b32_e32 v2, v23
	s_wait_alu 0xfffe
	v_add_nc_u32_e32 v10, s15, v17
	s_cmp_le_i32 s27, s34
	s_mov_b32 s35, s14
	s_mov_b32 s36, s27
	ds_load_b64 v[0:1], v10
	s_cbranch_scc1 .LBB142_78
.LBB142_77:                             ;   Parent Loop BB142_3 Depth=1
                                        ;     Parent Loop BB142_76 Depth=2
                                        ; =>    This Inner Loop Header: Depth=3
	s_wait_alu 0xfffe
	v_mov_b32_e32 v3, s35
	s_add_co_i32 s36, s36, -1
	s_sub_co_i32 s35, s35, 64
	s_wait_alu 0xfffe
	s_cmp_le_i32 s36, s34
	ds_load_b64 v[8:9], v2
	ds_load_b64 v[11:12], v3
	v_subrev_nc_u32_e32 v2, 64, v2
	s_wait_dscnt 0x0
	v_mul_f32_e32 v3, v12, v9
	s_delay_alu instid0(VALU_DEP_1) | instskip(NEXT) | instid1(VALU_DEP_1)
	v_fma_f32 v3, v11, v8, -v3
	v_dual_mul_f32 v9, v11, v9 :: v_dual_sub_f32 v0, v0, v3
	s_delay_alu instid0(VALU_DEP_1) | instskip(NEXT) | instid1(VALU_DEP_1)
	v_fmac_f32_e32 v9, v12, v8
	v_sub_f32_e32 v1, v1, v9
	s_cbranch_scc0 .LBB142_77
.LBB142_78:                             ;   in Loop: Header=BB142_76 Depth=2
	s_lshl_b32 s35, s34, 3
	s_wait_alu 0xfffe
	s_add_co_i32 s15, s35, s15
	s_wait_alu 0xfffe
	v_mov_b32_e32 v2, s15
	s_mov_b32 s15, -1
	ds_load_b64 v[2:3], v2
	s_wait_dscnt 0x0
	v_and_b32_e32 v8, 0x7fffffff, v2
	v_and_b32_e32 v9, 0x7fffffff, v3
	s_delay_alu instid0(VALU_DEP_1)
	v_cmp_ngt_f32_e32 vcc_lo, v8, v9
                                        ; implicit-def: $vgpr8
	s_cbranch_vccz .LBB142_80
; %bb.79:                               ;   in Loop: Header=BB142_76 Depth=2
	v_div_scale_f32 v8, null, v3, v3, v2
	v_div_scale_f32 v12, vcc_lo, v2, v3, v2
	s_mov_b32 s15, 0
	v_rcp_f32_e32 v9, v8
	v_xor_b32_e32 v8, 0x80000000, v8
	s_delay_alu instid0(TRANS32_DEP_1) | instid1(VALU_DEP_1)
	v_fma_f32 v11, v8, v9, 1.0
	s_delay_alu instid0(VALU_DEP_1) | instskip(NEXT) | instid1(VALU_DEP_1)
	v_fmac_f32_e32 v9, v11, v9
	v_mul_f32_e32 v11, v12, v9
	s_delay_alu instid0(VALU_DEP_1) | instskip(NEXT) | instid1(VALU_DEP_1)
	v_fma_f32 v13, v8, v11, v12
	v_fmac_f32_e32 v11, v13, v9
	s_delay_alu instid0(VALU_DEP_1) | instskip(SKIP_1) | instid1(VALU_DEP_1)
	v_fmac_f32_e32 v12, v8, v11
	s_wait_alu 0xfffd
	v_div_fmas_f32 v8, v12, v9, v11
	s_delay_alu instid0(VALU_DEP_1) | instskip(NEXT) | instid1(VALU_DEP_1)
	v_div_fixup_f32 v8, v8, v3, v2
	v_fma_f32 v9, v2, v8, v3
	s_delay_alu instid0(VALU_DEP_1) | instskip(SKIP_1) | instid1(VALU_DEP_2)
	v_div_scale_f32 v11, null, v9, v9, 1.0
	v_div_scale_f32 v14, vcc_lo, 1.0, v9, 1.0
	v_rcp_f32_e32 v12, v11
	v_xor_b32_e32 v11, 0x80000000, v11
	s_delay_alu instid0(TRANS32_DEP_1) | instid1(VALU_DEP_1)
	v_fma_f32 v13, v11, v12, 1.0
	s_delay_alu instid0(VALU_DEP_1) | instskip(NEXT) | instid1(VALU_DEP_1)
	v_fmac_f32_e32 v12, v13, v12
	v_mul_f32_e32 v13, v14, v12
	s_delay_alu instid0(VALU_DEP_1) | instskip(NEXT) | instid1(VALU_DEP_1)
	v_fma_f32 v15, v11, v13, v14
	v_fmac_f32_e32 v13, v15, v12
	s_delay_alu instid0(VALU_DEP_1) | instskip(SKIP_1) | instid1(VALU_DEP_1)
	v_fmac_f32_e32 v14, v11, v13
	s_wait_alu 0xfffd
	v_div_fmas_f32 v11, v14, v12, v13
	v_fma_f32 v12, v0, v8, v1
	s_delay_alu instid0(VALU_DEP_2) | instskip(SKIP_1) | instid1(VALU_DEP_2)
	v_div_fixup_f32 v9, v11, v9, 1.0
	v_fma_f32 v11, v1, v8, -v0
	v_mul_f32_e32 v8, v12, v9
	s_delay_alu instid0(VALU_DEP_2)
	v_mul_f32_e32 v9, v11, v9
.LBB142_80:                             ;   in Loop: Header=BB142_76 Depth=2
	s_wait_alu 0xfffe
	s_and_not1_b32 vcc_lo, exec_lo, s15
	s_wait_alu 0xfffe
	s_cbranch_vccnz .LBB142_75
; %bb.81:                               ;   in Loop: Header=BB142_76 Depth=2
	v_div_scale_f32 v8, null, v2, v2, v3
	v_div_scale_f32 v12, vcc_lo, v3, v2, v3
	s_delay_alu instid0(VALU_DEP_2)
	v_rcp_f32_e32 v9, v8
	v_xor_b32_e32 v8, 0x80000000, v8
	s_delay_alu instid0(TRANS32_DEP_1) | instid1(VALU_DEP_1)
	v_fma_f32 v11, v8, v9, 1.0
	s_delay_alu instid0(VALU_DEP_1) | instskip(NEXT) | instid1(VALU_DEP_1)
	v_fmac_f32_e32 v9, v11, v9
	v_mul_f32_e32 v11, v12, v9
	s_delay_alu instid0(VALU_DEP_1) | instskip(NEXT) | instid1(VALU_DEP_1)
	v_fma_f32 v13, v8, v11, v12
	v_fmac_f32_e32 v11, v13, v9
	s_delay_alu instid0(VALU_DEP_1) | instskip(SKIP_1) | instid1(VALU_DEP_1)
	v_fmac_f32_e32 v12, v8, v11
	s_wait_alu 0xfffd
	v_div_fmas_f32 v8, v12, v9, v11
	s_delay_alu instid0(VALU_DEP_1) | instskip(NEXT) | instid1(VALU_DEP_1)
	v_div_fixup_f32 v8, v8, v2, v3
	v_fmac_f32_e32 v2, v3, v8
	s_delay_alu instid0(VALU_DEP_1) | instskip(SKIP_1) | instid1(VALU_DEP_2)
	v_div_scale_f32 v3, null, v2, v2, 1.0
	v_div_scale_f32 v12, vcc_lo, 1.0, v2, 1.0
	v_rcp_f32_e32 v9, v3
	v_xor_b32_e32 v3, 0x80000000, v3
	s_delay_alu instid0(TRANS32_DEP_1) | instid1(VALU_DEP_1)
	v_fma_f32 v11, v3, v9, 1.0
	s_delay_alu instid0(VALU_DEP_1) | instskip(NEXT) | instid1(VALU_DEP_1)
	v_fmac_f32_e32 v9, v11, v9
	v_mul_f32_e32 v11, v12, v9
	s_delay_alu instid0(VALU_DEP_1) | instskip(NEXT) | instid1(VALU_DEP_1)
	v_fma_f32 v13, v3, v11, v12
	v_fmac_f32_e32 v11, v13, v9
	s_delay_alu instid0(VALU_DEP_1) | instskip(SKIP_1) | instid1(VALU_DEP_1)
	v_fmac_f32_e32 v12, v3, v11
	s_wait_alu 0xfffd
	v_div_fmas_f32 v3, v12, v9, v11
	v_fma_f32 v9, v1, v8, v0
	v_fma_f32 v0, -v0, v8, v1
	s_delay_alu instid0(VALU_DEP_3) | instskip(NEXT) | instid1(VALU_DEP_1)
	v_div_fixup_f32 v2, v3, v2, 1.0
	v_mul_f32_e32 v8, v9, v2
	s_delay_alu instid0(VALU_DEP_3)
	v_mul_f32_e32 v9, v0, v2
	s_branch .LBB142_75
.LBB142_82:                             ;   in Loop: Header=BB142_3 Depth=1
	s_mov_b32 s14, 0
.LBB142_83:                             ;   in Loop: Header=BB142_3 Depth=1
	s_wait_alu 0xfffe
	s_and_not1_b32 vcc_lo, exec_lo, s14
	s_wait_alu 0xfffe
	s_cbranch_vccnz .LBB142_115
; %bb.84:                               ;   in Loop: Header=BB142_3 Depth=1
	s_mov_b32 s34, s27
	s_and_not1_b32 vcc_lo, exec_lo, s31
	s_mov_b32 s14, s24
	s_mov_b32 s15, s27
	s_wait_alu 0xfffe
	s_cbranch_vccnz .LBB142_106
.LBB142_85:                             ;   Parent Loop BB142_3 Depth=1
                                        ; =>  This Loop Header: Depth=2
                                        ;       Child Loop BB142_86 Depth 3
	s_wait_alu 0xfffe
	s_add_co_i32 s34, s15, -1
	v_lshl_add_u32 v29, s15, 6, v17
	s_add_co_i32 s35, s15, -2
	s_wait_alu 0xfffe
	v_lshl_add_u32 v28, s34, 6, v17
	s_add_co_i32 s36, s15, -3
	v_lshl_add_u32 v27, s35, 6, v17
	s_wait_alu 0xfffe
	v_lshl_add_u32 v26, s36, 6, v17
	ds_load_b64 v[0:1], v29
	ds_load_b64 v[14:15], v28
	;; [unrolled: 1-line block ×4, first 2 shown]
	v_mov_b32_e32 v2, v23
	s_cmp_le_i32 s27, s15
	s_mov_b32 s37, s14
	s_mov_b32 s38, s27
	s_cbranch_scc1 .LBB142_87
.LBB142_86:                             ;   Parent Loop BB142_3 Depth=1
                                        ;     Parent Loop BB142_85 Depth=2
                                        ; =>    This Inner Loop Header: Depth=3
	s_wait_alu 0xfffe
	v_mov_b32_e32 v3, s37
	s_add_co_i32 s38, s38, -1
	s_add_co_i32 s37, s37, -8
	s_wait_alu 0xfffe
	s_cmp_le_i32 s38, s15
	ds_load_b64 v[12:13], v2
	ds_load_2addr_b64 v[30:33], v3 offset0:16 offset1:24
	ds_load_2addr_b64 v[34:37], v3 offset1:8
	v_subrev_nc_u32_e32 v2, 64, v2
	s_wait_dscnt 0x1
	v_mul_f32_e32 v3, v33, v13
	v_mul_f32_e32 v38, v32, v13
	;; [unrolled: 1-line block ×3, first 2 shown]
	s_wait_dscnt 0x0
	v_dual_mul_f32 v31, v31, v12 :: v_dual_mul_f32 v40, v37, v13
	v_fma_f32 v3, v32, v12, -v3
	v_mul_f32_e32 v37, v37, v12
	v_fmac_f32_e32 v38, v33, v12
	v_fma_f32 v32, v30, v12, -v39
	v_fmac_f32_e32 v31, v30, v13
	v_fma_f32 v30, v36, v12, -v40
	v_mul_f32_e32 v41, v35, v13
	v_dual_mul_f32 v35, v35, v12 :: v_dual_sub_f32 v0, v0, v3
	s_delay_alu instid0(VALU_DEP_3) | instskip(NEXT) | instid1(VALU_DEP_3)
	v_dual_fmac_f32 v37, v36, v13 :: v_dual_sub_f32 v10, v10, v30
	v_fma_f32 v12, v34, v12, -v41
	s_delay_alu instid0(VALU_DEP_3) | instskip(SKIP_1) | instid1(VALU_DEP_3)
	v_fmac_f32_e32 v35, v34, v13
	v_dual_sub_f32 v1, v1, v38 :: v_dual_sub_f32 v14, v14, v32
	v_dual_sub_f32 v11, v11, v37 :: v_dual_sub_f32 v8, v8, v12
	v_sub_f32_e32 v15, v15, v31
	s_delay_alu instid0(VALU_DEP_4)
	v_sub_f32_e32 v9, v9, v35
	s_cbranch_scc0 .LBB142_86
.LBB142_87:                             ;   in Loop: Header=BB142_85 Depth=2
	s_lshl_b32 s37, s34, 3
	s_lshl_b32 s35, s35, 3
	;; [unrolled: 1-line block ×3, first 2 shown]
; %bb.88:                               ;   in Loop: Header=BB142_85 Depth=2
	s_mul_i32 s36, s15, 0x48
	s_wait_alu 0xfffe
	v_mov_b32_e32 v2, s36
	s_mov_b32 s36, -1
	ds_load_b64 v[2:3], v2
	s_wait_dscnt 0x0
	v_and_b32_e32 v12, 0x7fffffff, v2
	v_and_b32_e32 v13, 0x7fffffff, v3
	s_delay_alu instid0(VALU_DEP_1)
	v_cmp_ngt_f32_e32 vcc_lo, v12, v13
                                        ; implicit-def: $vgpr13
	s_cbranch_vccz .LBB142_90
; %bb.89:                               ;   in Loop: Header=BB142_85 Depth=2
	v_div_scale_f32 v12, null, v3, v3, v2
	v_div_scale_f32 v31, vcc_lo, v2, v3, v2
	s_mov_b32 s36, 0
	v_rcp_f32_e32 v13, v12
	v_xor_b32_e32 v12, 0x80000000, v12
	s_delay_alu instid0(TRANS32_DEP_1) | instid1(VALU_DEP_1)
	v_fma_f32 v30, v12, v13, 1.0
	s_delay_alu instid0(VALU_DEP_1) | instskip(NEXT) | instid1(VALU_DEP_1)
	v_fmac_f32_e32 v13, v30, v13
	v_mul_f32_e32 v30, v31, v13
	s_delay_alu instid0(VALU_DEP_1) | instskip(NEXT) | instid1(VALU_DEP_1)
	v_fma_f32 v32, v12, v30, v31
	v_fmac_f32_e32 v30, v32, v13
	s_delay_alu instid0(VALU_DEP_1) | instskip(SKIP_1) | instid1(VALU_DEP_1)
	v_fmac_f32_e32 v31, v12, v30
	s_wait_alu 0xfffd
	v_div_fmas_f32 v12, v31, v13, v30
	s_delay_alu instid0(VALU_DEP_1) | instskip(NEXT) | instid1(VALU_DEP_1)
	v_div_fixup_f32 v12, v12, v3, v2
	v_fma_f32 v13, v2, v12, v3
	s_delay_alu instid0(VALU_DEP_1) | instskip(SKIP_1) | instid1(VALU_DEP_2)
	v_div_scale_f32 v30, null, v13, v13, 1.0
	v_div_scale_f32 v33, vcc_lo, 1.0, v13, 1.0
	v_rcp_f32_e32 v31, v30
	v_xor_b32_e32 v30, 0x80000000, v30
	s_delay_alu instid0(TRANS32_DEP_1) | instid1(VALU_DEP_1)
	v_fma_f32 v32, v30, v31, 1.0
	s_delay_alu instid0(VALU_DEP_1) | instskip(NEXT) | instid1(VALU_DEP_1)
	v_fmac_f32_e32 v31, v32, v31
	v_mul_f32_e32 v32, v33, v31
	s_delay_alu instid0(VALU_DEP_1) | instskip(NEXT) | instid1(VALU_DEP_1)
	v_fma_f32 v34, v30, v32, v33
	v_fmac_f32_e32 v32, v34, v31
	s_delay_alu instid0(VALU_DEP_1) | instskip(SKIP_1) | instid1(VALU_DEP_1)
	v_fmac_f32_e32 v33, v30, v32
	s_wait_alu 0xfffd
	v_div_fmas_f32 v30, v33, v31, v32
	v_fma_f32 v31, v0, v12, v1
	s_delay_alu instid0(VALU_DEP_2) | instskip(SKIP_1) | instid1(VALU_DEP_2)
	v_div_fixup_f32 v13, v30, v13, 1.0
	v_fma_f32 v30, v1, v12, -v0
	v_mul_f32_e32 v12, v31, v13
	s_delay_alu instid0(VALU_DEP_2)
	v_mul_f32_e32 v13, v30, v13
.LBB142_90:                             ;   in Loop: Header=BB142_85 Depth=2
	s_wait_alu 0xfffe
	s_and_not1_b32 vcc_lo, exec_lo, s36
	s_wait_alu 0xfffe
	s_cbranch_vccnz .LBB142_92
; %bb.91:                               ;   in Loop: Header=BB142_85 Depth=2
	v_div_scale_f32 v12, null, v2, v2, v3
	v_div_scale_f32 v31, vcc_lo, v3, v2, v3
	s_delay_alu instid0(VALU_DEP_2)
	v_rcp_f32_e32 v13, v12
	v_xor_b32_e32 v12, 0x80000000, v12
	s_delay_alu instid0(TRANS32_DEP_1) | instid1(VALU_DEP_1)
	v_fma_f32 v30, v12, v13, 1.0
	s_delay_alu instid0(VALU_DEP_1) | instskip(NEXT) | instid1(VALU_DEP_1)
	v_fmac_f32_e32 v13, v30, v13
	v_mul_f32_e32 v30, v31, v13
	s_delay_alu instid0(VALU_DEP_1) | instskip(NEXT) | instid1(VALU_DEP_1)
	v_fma_f32 v32, v12, v30, v31
	v_fmac_f32_e32 v30, v32, v13
	s_delay_alu instid0(VALU_DEP_1) | instskip(SKIP_1) | instid1(VALU_DEP_1)
	v_fmac_f32_e32 v31, v12, v30
	s_wait_alu 0xfffd
	v_div_fmas_f32 v12, v31, v13, v30
	s_delay_alu instid0(VALU_DEP_1) | instskip(NEXT) | instid1(VALU_DEP_1)
	v_div_fixup_f32 v12, v12, v2, v3
	v_fmac_f32_e32 v2, v3, v12
	s_delay_alu instid0(VALU_DEP_1) | instskip(SKIP_1) | instid1(VALU_DEP_2)
	v_div_scale_f32 v3, null, v2, v2, 1.0
	v_div_scale_f32 v31, vcc_lo, 1.0, v2, 1.0
	v_rcp_f32_e32 v13, v3
	v_xor_b32_e32 v3, 0x80000000, v3
	s_delay_alu instid0(TRANS32_DEP_1) | instid1(VALU_DEP_1)
	v_fma_f32 v30, v3, v13, 1.0
	s_delay_alu instid0(VALU_DEP_1) | instskip(NEXT) | instid1(VALU_DEP_1)
	v_fmac_f32_e32 v13, v30, v13
	v_mul_f32_e32 v30, v31, v13
	s_delay_alu instid0(VALU_DEP_1) | instskip(NEXT) | instid1(VALU_DEP_1)
	v_fma_f32 v32, v3, v30, v31
	v_fmac_f32_e32 v30, v32, v13
	s_delay_alu instid0(VALU_DEP_1) | instskip(SKIP_1) | instid1(VALU_DEP_1)
	v_fmac_f32_e32 v31, v3, v30
	s_wait_alu 0xfffd
	v_div_fmas_f32 v3, v31, v13, v30
	v_fma_f32 v13, v1, v12, v0
	v_fma_f32 v0, -v0, v12, v1
	s_delay_alu instid0(VALU_DEP_3) | instskip(NEXT) | instid1(VALU_DEP_1)
	v_div_fixup_f32 v2, v3, v2, 1.0
	v_mul_f32_e32 v12, v13, v2
	s_delay_alu instid0(VALU_DEP_3)
	v_mul_f32_e32 v13, v0, v2
.LBB142_92:                             ;   in Loop: Header=BB142_85 Depth=2
	s_lshl_b32 s36, s37, 3
	ds_store_b64 v29, v[12:13]
	s_wait_alu 0xfffe
	s_add_co_i32 s36, s36, s37
	s_wait_alu 0xfffe
	v_mov_b32_e32 v0, s36
	s_mov_b32 s36, -1
	ds_load_2addr_b64 v[0:3], v0 offset1:1
	s_wait_dscnt 0x0
	v_dual_mul_f32 v30, v13, v3 :: v_dual_and_b32 v31, 0x7fffffff, v0
	v_dual_mul_f32 v3, v12, v3 :: v_dual_and_b32 v32, 0x7fffffff, v1
	s_delay_alu instid0(VALU_DEP_2) | instskip(NEXT) | instid1(VALU_DEP_2)
	v_fma_f32 v30, v12, v2, -v30
	v_fmac_f32_e32 v3, v13, v2
	s_delay_alu instid0(VALU_DEP_3) | instskip(NEXT) | instid1(VALU_DEP_2)
	v_cmp_ngt_f32_e32 vcc_lo, v31, v32
	v_dual_sub_f32 v2, v14, v30 :: v_dual_sub_f32 v3, v15, v3
                                        ; implicit-def: $vgpr15
	s_cbranch_vccz .LBB142_94
; %bb.93:                               ;   in Loop: Header=BB142_85 Depth=2
	v_div_scale_f32 v14, null, v1, v1, v0
	v_div_scale_f32 v30, vcc_lo, v0, v1, v0
	s_mov_b32 s36, 0
	v_rcp_f32_e32 v15, v14
	v_xor_b32_e32 v14, 0x80000000, v14
	s_delay_alu instid0(TRANS32_DEP_1) | instid1(VALU_DEP_1)
	v_fma_f32 v29, v14, v15, 1.0
	s_delay_alu instid0(VALU_DEP_1) | instskip(NEXT) | instid1(VALU_DEP_1)
	v_fmac_f32_e32 v15, v29, v15
	v_mul_f32_e32 v29, v30, v15
	s_delay_alu instid0(VALU_DEP_1) | instskip(NEXT) | instid1(VALU_DEP_1)
	v_fma_f32 v31, v14, v29, v30
	v_fmac_f32_e32 v29, v31, v15
	s_delay_alu instid0(VALU_DEP_1) | instskip(SKIP_1) | instid1(VALU_DEP_1)
	v_fmac_f32_e32 v30, v14, v29
	s_wait_alu 0xfffd
	v_div_fmas_f32 v14, v30, v15, v29
	s_delay_alu instid0(VALU_DEP_1) | instskip(NEXT) | instid1(VALU_DEP_1)
	v_div_fixup_f32 v14, v14, v1, v0
	v_fma_f32 v15, v0, v14, v1
	s_delay_alu instid0(VALU_DEP_1) | instskip(SKIP_1) | instid1(VALU_DEP_2)
	v_div_scale_f32 v29, null, v15, v15, 1.0
	v_div_scale_f32 v32, vcc_lo, 1.0, v15, 1.0
	v_rcp_f32_e32 v30, v29
	v_xor_b32_e32 v29, 0x80000000, v29
	s_delay_alu instid0(TRANS32_DEP_1) | instid1(VALU_DEP_1)
	v_fma_f32 v31, v29, v30, 1.0
	s_delay_alu instid0(VALU_DEP_1) | instskip(NEXT) | instid1(VALU_DEP_1)
	v_fmac_f32_e32 v30, v31, v30
	v_mul_f32_e32 v31, v32, v30
	s_delay_alu instid0(VALU_DEP_1) | instskip(NEXT) | instid1(VALU_DEP_1)
	v_fma_f32 v33, v29, v31, v32
	v_fmac_f32_e32 v31, v33, v30
	s_delay_alu instid0(VALU_DEP_1) | instskip(SKIP_1) | instid1(VALU_DEP_1)
	v_fmac_f32_e32 v32, v29, v31
	s_wait_alu 0xfffd
	v_div_fmas_f32 v29, v32, v30, v31
	v_fma_f32 v30, v14, v2, v3
	s_delay_alu instid0(VALU_DEP_2) | instskip(SKIP_1) | instid1(VALU_DEP_2)
	v_div_fixup_f32 v15, v29, v15, 1.0
	v_fma_f32 v29, v14, v3, -v2
	v_mul_f32_e32 v14, v30, v15
	s_delay_alu instid0(VALU_DEP_2)
	v_mul_f32_e32 v15, v29, v15
.LBB142_94:                             ;   in Loop: Header=BB142_85 Depth=2
	s_wait_alu 0xfffe
	s_and_not1_b32 vcc_lo, exec_lo, s36
	s_wait_alu 0xfffe
	s_cbranch_vccnz .LBB142_96
; %bb.95:                               ;   in Loop: Header=BB142_85 Depth=2
	v_div_scale_f32 v14, null, v0, v0, v1
	v_div_scale_f32 v30, vcc_lo, v1, v0, v1
	s_delay_alu instid0(VALU_DEP_2)
	v_rcp_f32_e32 v15, v14
	v_xor_b32_e32 v14, 0x80000000, v14
	s_delay_alu instid0(TRANS32_DEP_1) | instid1(VALU_DEP_1)
	v_fma_f32 v29, v14, v15, 1.0
	s_delay_alu instid0(VALU_DEP_1) | instskip(NEXT) | instid1(VALU_DEP_1)
	v_fmac_f32_e32 v15, v29, v15
	v_mul_f32_e32 v29, v30, v15
	s_delay_alu instid0(VALU_DEP_1) | instskip(NEXT) | instid1(VALU_DEP_1)
	v_fma_f32 v31, v14, v29, v30
	v_fmac_f32_e32 v29, v31, v15
	s_delay_alu instid0(VALU_DEP_1) | instskip(SKIP_1) | instid1(VALU_DEP_1)
	v_fmac_f32_e32 v30, v14, v29
	s_wait_alu 0xfffd
	v_div_fmas_f32 v14, v30, v15, v29
	s_delay_alu instid0(VALU_DEP_1) | instskip(NEXT) | instid1(VALU_DEP_1)
	v_div_fixup_f32 v14, v14, v0, v1
	v_fmac_f32_e32 v0, v1, v14
	s_delay_alu instid0(VALU_DEP_1) | instskip(SKIP_1) | instid1(VALU_DEP_2)
	v_div_scale_f32 v1, null, v0, v0, 1.0
	v_div_scale_f32 v30, vcc_lo, 1.0, v0, 1.0
	v_rcp_f32_e32 v15, v1
	v_xor_b32_e32 v1, 0x80000000, v1
	s_delay_alu instid0(TRANS32_DEP_1) | instid1(VALU_DEP_1)
	v_fma_f32 v29, v1, v15, 1.0
	s_delay_alu instid0(VALU_DEP_1) | instskip(NEXT) | instid1(VALU_DEP_1)
	v_fmac_f32_e32 v15, v29, v15
	v_mul_f32_e32 v29, v30, v15
	s_delay_alu instid0(VALU_DEP_1) | instskip(NEXT) | instid1(VALU_DEP_1)
	v_fma_f32 v31, v1, v29, v30
	v_fmac_f32_e32 v29, v31, v15
	s_delay_alu instid0(VALU_DEP_1) | instskip(SKIP_1) | instid1(VALU_DEP_1)
	v_fmac_f32_e32 v30, v1, v29
	s_wait_alu 0xfffd
	v_div_fmas_f32 v1, v30, v15, v29
	v_fma_f32 v15, v14, v3, v2
	s_delay_alu instid0(VALU_DEP_2) | instskip(SKIP_1) | instid1(VALU_DEP_2)
	v_div_fixup_f32 v0, v1, v0, 1.0
	v_fma_f32 v1, -v14, v2, v3
	v_mul_f32_e32 v14, v15, v0
	s_delay_alu instid0(VALU_DEP_2)
	v_mul_f32_e32 v15, v1, v0
.LBB142_96:                             ;   in Loop: Header=BB142_85 Depth=2
	s_lshl_b32 s37, s35, 3
	s_lshl_b32 s36, s15, 3
	s_wait_alu 0xfffe
	s_add_co_i32 s35, s37, s35
	s_add_co_i32 s38, s37, s36
	s_wait_alu 0xfffe
	v_dual_mov_b32 v1, s35 :: v_dual_mov_b32 v0, s38
	s_mov_b32 s35, -1
	ds_load_b64 v[29:30], v0
	ds_load_2addr_b64 v[0:3], v1 offset1:1
	ds_store_b64 v28, v[14:15]
	s_wait_dscnt 0x1
	v_dual_mul_f32 v31, v13, v30 :: v_dual_mul_f32 v32, v15, v3
	v_dual_mul_f32 v30, v12, v30 :: v_dual_mul_f32 v3, v14, v3
	v_and_b32_e32 v33, 0x7fffffff, v0
	s_delay_alu instid0(VALU_DEP_3) | instskip(NEXT) | instid1(VALU_DEP_4)
	v_fma_f32 v31, v12, v29, -v31
	v_fma_f32 v32, v14, v2, -v32
	s_delay_alu instid0(VALU_DEP_4) | instskip(SKIP_1) | instid1(VALU_DEP_4)
	v_fmac_f32_e32 v30, v13, v29
	v_and_b32_e32 v29, 0x7fffffff, v1
	v_dual_fmac_f32 v3, v15, v2 :: v_dual_sub_f32 v2, v10, v31
	s_delay_alu instid0(VALU_DEP_3) | instskip(NEXT) | instid1(VALU_DEP_3)
	v_sub_f32_e32 v10, v11, v30
	v_cmp_ngt_f32_e32 vcc_lo, v33, v29
	s_delay_alu instid0(VALU_DEP_3) | instskip(NEXT) | instid1(VALU_DEP_3)
	v_sub_f32_e32 v2, v2, v32
	v_sub_f32_e32 v3, v10, v3
                                        ; implicit-def: $vgpr11
	s_cbranch_vccz .LBB142_98
; %bb.97:                               ;   in Loop: Header=BB142_85 Depth=2
	v_div_scale_f32 v10, null, v1, v1, v0
	v_div_scale_f32 v29, vcc_lo, v0, v1, v0
	s_mov_b32 s35, 0
	v_rcp_f32_e32 v11, v10
	v_xor_b32_e32 v10, 0x80000000, v10
	s_delay_alu instid0(TRANS32_DEP_1) | instid1(VALU_DEP_1)
	v_fma_f32 v28, v10, v11, 1.0
	s_delay_alu instid0(VALU_DEP_1) | instskip(NEXT) | instid1(VALU_DEP_1)
	v_fmac_f32_e32 v11, v28, v11
	v_mul_f32_e32 v28, v29, v11
	s_delay_alu instid0(VALU_DEP_1) | instskip(NEXT) | instid1(VALU_DEP_1)
	v_fma_f32 v30, v10, v28, v29
	v_fmac_f32_e32 v28, v30, v11
	s_delay_alu instid0(VALU_DEP_1) | instskip(SKIP_1) | instid1(VALU_DEP_1)
	v_fmac_f32_e32 v29, v10, v28
	s_wait_alu 0xfffd
	v_div_fmas_f32 v10, v29, v11, v28
	s_delay_alu instid0(VALU_DEP_1) | instskip(NEXT) | instid1(VALU_DEP_1)
	v_div_fixup_f32 v10, v10, v1, v0
	v_fma_f32 v11, v0, v10, v1
	s_delay_alu instid0(VALU_DEP_1) | instskip(SKIP_1) | instid1(VALU_DEP_2)
	v_div_scale_f32 v28, null, v11, v11, 1.0
	v_div_scale_f32 v31, vcc_lo, 1.0, v11, 1.0
	v_rcp_f32_e32 v29, v28
	v_xor_b32_e32 v28, 0x80000000, v28
	s_delay_alu instid0(TRANS32_DEP_1) | instid1(VALU_DEP_1)
	v_fma_f32 v30, v28, v29, 1.0
	s_delay_alu instid0(VALU_DEP_1) | instskip(NEXT) | instid1(VALU_DEP_1)
	v_fmac_f32_e32 v29, v30, v29
	v_mul_f32_e32 v30, v31, v29
	s_delay_alu instid0(VALU_DEP_1) | instskip(NEXT) | instid1(VALU_DEP_1)
	v_fma_f32 v32, v28, v30, v31
	v_fmac_f32_e32 v30, v32, v29
	s_delay_alu instid0(VALU_DEP_1) | instskip(SKIP_1) | instid1(VALU_DEP_1)
	v_fmac_f32_e32 v31, v28, v30
	s_wait_alu 0xfffd
	v_div_fmas_f32 v28, v31, v29, v30
	v_fma_f32 v29, v10, v2, v3
	s_delay_alu instid0(VALU_DEP_2) | instskip(SKIP_1) | instid1(VALU_DEP_2)
	v_div_fixup_f32 v11, v28, v11, 1.0
	v_fma_f32 v28, v10, v3, -v2
	v_mul_f32_e32 v10, v29, v11
	s_delay_alu instid0(VALU_DEP_2)
	v_mul_f32_e32 v11, v28, v11
.LBB142_98:                             ;   in Loop: Header=BB142_85 Depth=2
	s_wait_alu 0xfffe
	s_and_not1_b32 vcc_lo, exec_lo, s35
	s_wait_alu 0xfffe
	s_cbranch_vccnz .LBB142_100
; %bb.99:                               ;   in Loop: Header=BB142_85 Depth=2
	v_div_scale_f32 v10, null, v0, v0, v1
	v_div_scale_f32 v29, vcc_lo, v1, v0, v1
	s_delay_alu instid0(VALU_DEP_2)
	v_rcp_f32_e32 v11, v10
	v_xor_b32_e32 v10, 0x80000000, v10
	s_delay_alu instid0(TRANS32_DEP_1) | instid1(VALU_DEP_1)
	v_fma_f32 v28, v10, v11, 1.0
	s_delay_alu instid0(VALU_DEP_1) | instskip(NEXT) | instid1(VALU_DEP_1)
	v_fmac_f32_e32 v11, v28, v11
	v_mul_f32_e32 v28, v29, v11
	s_delay_alu instid0(VALU_DEP_1) | instskip(NEXT) | instid1(VALU_DEP_1)
	v_fma_f32 v30, v10, v28, v29
	v_fmac_f32_e32 v28, v30, v11
	s_delay_alu instid0(VALU_DEP_1) | instskip(SKIP_1) | instid1(VALU_DEP_1)
	v_fmac_f32_e32 v29, v10, v28
	s_wait_alu 0xfffd
	v_div_fmas_f32 v10, v29, v11, v28
	s_delay_alu instid0(VALU_DEP_1) | instskip(NEXT) | instid1(VALU_DEP_1)
	v_div_fixup_f32 v10, v10, v0, v1
	v_fmac_f32_e32 v0, v1, v10
	s_delay_alu instid0(VALU_DEP_1) | instskip(SKIP_1) | instid1(VALU_DEP_2)
	v_div_scale_f32 v1, null, v0, v0, 1.0
	v_div_scale_f32 v29, vcc_lo, 1.0, v0, 1.0
	v_rcp_f32_e32 v11, v1
	v_xor_b32_e32 v1, 0x80000000, v1
	s_delay_alu instid0(TRANS32_DEP_1) | instid1(VALU_DEP_1)
	v_fma_f32 v28, v1, v11, 1.0
	s_delay_alu instid0(VALU_DEP_1) | instskip(NEXT) | instid1(VALU_DEP_1)
	v_fmac_f32_e32 v11, v28, v11
	v_mul_f32_e32 v28, v29, v11
	s_delay_alu instid0(VALU_DEP_1) | instskip(NEXT) | instid1(VALU_DEP_1)
	v_fma_f32 v30, v1, v28, v29
	v_fmac_f32_e32 v28, v30, v11
	s_delay_alu instid0(VALU_DEP_1) | instskip(SKIP_1) | instid1(VALU_DEP_1)
	v_fmac_f32_e32 v29, v1, v28
	s_wait_alu 0xfffd
	v_div_fmas_f32 v1, v29, v11, v28
	v_fma_f32 v11, v10, v3, v2
	s_delay_alu instid0(VALU_DEP_2) | instskip(SKIP_1) | instid1(VALU_DEP_2)
	v_div_fixup_f32 v0, v1, v0, 1.0
	v_fma_f32 v1, -v10, v2, v3
	v_mul_f32_e32 v10, v11, v0
	s_delay_alu instid0(VALU_DEP_2)
	v_mul_f32_e32 v11, v1, v0
.LBB142_100:                            ;   in Loop: Header=BB142_85 Depth=2
	s_lshl_b32 s35, s34, 3
	s_wait_alu 0xfffe
	s_add_co_i32 s36, s35, s36
	s_add_co_i32 s34, s35, s34
	s_wait_alu 0xfffe
	s_add_co_i32 s36, s36, -8
	s_wait_alu 0xfffe
	v_dual_mov_b32 v1, s34 :: v_dual_mov_b32 v0, s36
	s_mov_b32 s34, -1
	ds_load_2addr_b64 v[28:31], v0 offset1:1
	ds_load_2addr_b64 v[0:3], v1 offset1:1
	ds_store_b64 v27, v[10:11]
	s_wait_dscnt 0x2
	v_dual_mul_f32 v32, v13, v31 :: v_dual_mul_f32 v33, v15, v29
	v_mul_f32_e32 v31, v12, v31
	s_wait_dscnt 0x1
	v_dual_mul_f32 v29, v14, v29 :: v_dual_mul_f32 v34, v11, v3
	s_delay_alu instid0(VALU_DEP_3) | instskip(SKIP_2) | instid1(VALU_DEP_3)
	v_fma_f32 v12, v12, v30, -v32
	v_mul_f32_e32 v3, v10, v3
	v_fma_f32 v14, v14, v28, -v33
	v_sub_f32_e32 v8, v8, v12
	v_dual_fmac_f32 v29, v15, v28 :: v_dual_and_b32 v12, 0x7fffffff, v1
	v_fma_f32 v15, v10, v2, -v34
	v_fmac_f32_e32 v3, v11, v2
	s_delay_alu instid0(VALU_DEP_4) | instskip(SKIP_1) | instid1(VALU_DEP_2)
	v_sub_f32_e32 v2, v8, v14
	v_fmac_f32_e32 v31, v13, v30
	v_dual_sub_f32 v8, v2, v15 :: v_dual_and_b32 v13, 0x7fffffff, v0
	s_delay_alu instid0(VALU_DEP_2) | instskip(NEXT) | instid1(VALU_DEP_2)
	v_sub_f32_e32 v9, v9, v31
	v_cmp_ngt_f32_e32 vcc_lo, v13, v12
	s_delay_alu instid0(VALU_DEP_2) | instskip(NEXT) | instid1(VALU_DEP_1)
	v_sub_f32_e32 v9, v9, v29
	v_sub_f32_e32 v9, v9, v3
                                        ; implicit-def: $vgpr3
	s_cbranch_vccz .LBB142_102
; %bb.101:                              ;   in Loop: Header=BB142_85 Depth=2
	v_div_scale_f32 v2, null, v1, v1, v0
	v_div_scale_f32 v11, vcc_lo, v0, v1, v0
	s_mov_b32 s34, 0
	v_rcp_f32_e32 v3, v2
	v_xor_b32_e32 v2, 0x80000000, v2
	s_delay_alu instid0(TRANS32_DEP_1) | instid1(VALU_DEP_1)
	v_fma_f32 v10, v2, v3, 1.0
	s_delay_alu instid0(VALU_DEP_1) | instskip(NEXT) | instid1(VALU_DEP_1)
	v_fmac_f32_e32 v3, v10, v3
	v_mul_f32_e32 v10, v11, v3
	s_delay_alu instid0(VALU_DEP_1) | instskip(NEXT) | instid1(VALU_DEP_1)
	v_fma_f32 v12, v2, v10, v11
	v_fmac_f32_e32 v10, v12, v3
	s_delay_alu instid0(VALU_DEP_1) | instskip(SKIP_1) | instid1(VALU_DEP_1)
	v_fmac_f32_e32 v11, v2, v10
	s_wait_alu 0xfffd
	v_div_fmas_f32 v2, v11, v3, v10
	s_delay_alu instid0(VALU_DEP_1) | instskip(NEXT) | instid1(VALU_DEP_1)
	v_div_fixup_f32 v2, v2, v1, v0
	v_fma_f32 v3, v0, v2, v1
	s_delay_alu instid0(VALU_DEP_1) | instskip(SKIP_1) | instid1(VALU_DEP_2)
	v_div_scale_f32 v10, null, v3, v3, 1.0
	v_div_scale_f32 v13, vcc_lo, 1.0, v3, 1.0
	v_rcp_f32_e32 v11, v10
	v_xor_b32_e32 v10, 0x80000000, v10
	s_delay_alu instid0(TRANS32_DEP_1) | instid1(VALU_DEP_1)
	v_fma_f32 v12, v10, v11, 1.0
	s_delay_alu instid0(VALU_DEP_1) | instskip(NEXT) | instid1(VALU_DEP_1)
	v_fmac_f32_e32 v11, v12, v11
	v_mul_f32_e32 v12, v13, v11
	s_delay_alu instid0(VALU_DEP_1) | instskip(NEXT) | instid1(VALU_DEP_1)
	v_fma_f32 v14, v10, v12, v13
	v_fmac_f32_e32 v12, v14, v11
	s_delay_alu instid0(VALU_DEP_1) | instskip(SKIP_1) | instid1(VALU_DEP_1)
	v_fmac_f32_e32 v13, v10, v12
	s_wait_alu 0xfffd
	v_div_fmas_f32 v10, v13, v11, v12
	v_fma_f32 v11, v2, v8, v9
	s_delay_alu instid0(VALU_DEP_2) | instskip(SKIP_1) | instid1(VALU_DEP_2)
	v_div_fixup_f32 v3, v10, v3, 1.0
	v_fma_f32 v10, v2, v9, -v8
	v_mul_f32_e32 v2, v11, v3
	s_delay_alu instid0(VALU_DEP_2)
	v_mul_f32_e32 v3, v10, v3
.LBB142_102:                            ;   in Loop: Header=BB142_85 Depth=2
	s_wait_alu 0xfffe
	s_and_not1_b32 vcc_lo, exec_lo, s34
	s_wait_alu 0xfffe
	s_cbranch_vccnz .LBB142_104
; %bb.103:                              ;   in Loop: Header=BB142_85 Depth=2
	v_div_scale_f32 v2, null, v0, v0, v1
	v_div_scale_f32 v11, vcc_lo, v1, v0, v1
	s_delay_alu instid0(VALU_DEP_2)
	v_rcp_f32_e32 v3, v2
	v_xor_b32_e32 v2, 0x80000000, v2
	s_delay_alu instid0(TRANS32_DEP_1) | instid1(VALU_DEP_1)
	v_fma_f32 v10, v2, v3, 1.0
	s_delay_alu instid0(VALU_DEP_1) | instskip(NEXT) | instid1(VALU_DEP_1)
	v_fmac_f32_e32 v3, v10, v3
	v_mul_f32_e32 v10, v11, v3
	s_delay_alu instid0(VALU_DEP_1) | instskip(NEXT) | instid1(VALU_DEP_1)
	v_fma_f32 v12, v2, v10, v11
	v_fmac_f32_e32 v10, v12, v3
	s_delay_alu instid0(VALU_DEP_1) | instskip(SKIP_1) | instid1(VALU_DEP_1)
	v_fmac_f32_e32 v11, v2, v10
	s_wait_alu 0xfffd
	v_div_fmas_f32 v2, v11, v3, v10
	s_delay_alu instid0(VALU_DEP_1) | instskip(NEXT) | instid1(VALU_DEP_1)
	v_div_fixup_f32 v2, v2, v0, v1
	v_fmac_f32_e32 v0, v1, v2
	s_delay_alu instid0(VALU_DEP_1) | instskip(SKIP_1) | instid1(VALU_DEP_2)
	v_div_scale_f32 v1, null, v0, v0, 1.0
	v_div_scale_f32 v11, vcc_lo, 1.0, v0, 1.0
	v_rcp_f32_e32 v3, v1
	v_xor_b32_e32 v1, 0x80000000, v1
	s_delay_alu instid0(TRANS32_DEP_1) | instid1(VALU_DEP_1)
	v_fma_f32 v10, v1, v3, 1.0
	s_delay_alu instid0(VALU_DEP_1) | instskip(NEXT) | instid1(VALU_DEP_1)
	v_fmac_f32_e32 v3, v10, v3
	v_mul_f32_e32 v10, v11, v3
	s_delay_alu instid0(VALU_DEP_1) | instskip(NEXT) | instid1(VALU_DEP_1)
	v_fma_f32 v12, v1, v10, v11
	v_fmac_f32_e32 v10, v12, v3
	s_delay_alu instid0(VALU_DEP_1) | instskip(SKIP_1) | instid1(VALU_DEP_1)
	v_fmac_f32_e32 v11, v1, v10
	s_wait_alu 0xfffd
	v_div_fmas_f32 v1, v11, v3, v10
	v_fma_f32 v3, v2, v9, v8
	s_delay_alu instid0(VALU_DEP_2) | instskip(SKIP_1) | instid1(VALU_DEP_2)
	v_div_fixup_f32 v0, v1, v0, 1.0
	v_fma_f32 v1, -v2, v8, v9
	v_mul_f32_e32 v2, v3, v0
	s_delay_alu instid0(VALU_DEP_2)
	v_mul_f32_e32 v3, v1, v0
.LBB142_104:                            ;   in Loop: Header=BB142_85 Depth=2
	s_add_co_i32 s34, s15, -4
	s_addk_co_i32 s14, 0xff00
	s_cmp_lt_i32 s15, 7
	ds_store_b64 v26, v[2:3]
	s_cbranch_scc1 .LBB142_106
; %bb.105:                              ;   in Loop: Header=BB142_85 Depth=2
	s_wait_alu 0xfffe
	s_mov_b32 s15, s34
	s_branch .LBB142_85
.LBB142_106:                            ;   in Loop: Header=BB142_3 Depth=1
	s_wait_alu 0xfffe
	s_cmp_lt_i32 s34, 0
	s_cbranch_scc1 .LBB142_115
; %bb.107:                              ;   in Loop: Header=BB142_3 Depth=1
	s_lshl_b32 s14, s34, 6
	s_wait_alu 0xfffe
	s_add_co_i32 s14, s25, s14
	s_branch .LBB142_109
.LBB142_108:                            ;   in Loop: Header=BB142_109 Depth=2
	v_sub_co_u32 v0, s15, s34, 1
	s_and_b32 vcc_lo, exec_lo, s15
	s_sub_co_i32 s14, s14, 64
	ds_store_b64 v10, v[8:9]
	v_readfirstlane_b32 s34, v0
	s_wait_alu 0xfffe
	s_cbranch_vccnz .LBB142_115
.LBB142_109:                            ;   Parent Loop BB142_3 Depth=1
                                        ; =>  This Loop Header: Depth=2
                                        ;       Child Loop BB142_110 Depth 3
	s_wait_alu 0xf1ff
	v_lshl_add_u32 v10, s34, 6, v17
	v_mov_b32_e32 v2, v23
	s_cmp_le_i32 s27, s34
	s_wait_alu 0xfffe
	s_mov_b32 s15, s14
	s_mov_b32 s35, s27
	ds_load_b64 v[0:1], v10
	s_cbranch_scc1 .LBB142_111
.LBB142_110:                            ;   Parent Loop BB142_3 Depth=1
                                        ;     Parent Loop BB142_109 Depth=2
                                        ; =>    This Inner Loop Header: Depth=3
	s_wait_alu 0xfffe
	v_mov_b32_e32 v3, s15
	s_add_co_i32 s35, s35, -1
	s_add_co_i32 s15, s15, -8
	s_wait_alu 0xfffe
	s_cmp_le_u32 s35, s34
	ds_load_b64 v[8:9], v2
	ds_load_b64 v[11:12], v3
	v_subrev_nc_u32_e32 v2, 64, v2
	s_wait_dscnt 0x0
	v_mul_f32_e32 v3, v12, v9
	s_delay_alu instid0(VALU_DEP_1) | instskip(NEXT) | instid1(VALU_DEP_1)
	v_fma_f32 v3, v11, v8, -v3
	v_dual_mul_f32 v9, v11, v9 :: v_dual_sub_f32 v0, v0, v3
	s_delay_alu instid0(VALU_DEP_1) | instskip(NEXT) | instid1(VALU_DEP_1)
	v_fmac_f32_e32 v9, v12, v8
	v_sub_f32_e32 v1, v1, v9
	s_cbranch_scc0 .LBB142_110
.LBB142_111:                            ;   in Loop: Header=BB142_109 Depth=2
	s_mul_i32 s15, s34, 0x48
	s_wait_alu 0xfffe
	v_mov_b32_e32 v2, s15
	s_mov_b32 s15, -1
	ds_load_b64 v[2:3], v2
	s_wait_dscnt 0x0
	v_and_b32_e32 v8, 0x7fffffff, v2
	v_and_b32_e32 v9, 0x7fffffff, v3
	s_delay_alu instid0(VALU_DEP_1)
	v_cmp_ngt_f32_e32 vcc_lo, v8, v9
                                        ; implicit-def: $vgpr8
	s_cbranch_vccz .LBB142_113
; %bb.112:                              ;   in Loop: Header=BB142_109 Depth=2
	v_div_scale_f32 v8, null, v3, v3, v2
	v_div_scale_f32 v12, vcc_lo, v2, v3, v2
	s_mov_b32 s15, 0
	v_rcp_f32_e32 v9, v8
	v_xor_b32_e32 v8, 0x80000000, v8
	s_delay_alu instid0(TRANS32_DEP_1) | instid1(VALU_DEP_1)
	v_fma_f32 v11, v8, v9, 1.0
	s_delay_alu instid0(VALU_DEP_1) | instskip(NEXT) | instid1(VALU_DEP_1)
	v_fmac_f32_e32 v9, v11, v9
	v_mul_f32_e32 v11, v12, v9
	s_delay_alu instid0(VALU_DEP_1) | instskip(NEXT) | instid1(VALU_DEP_1)
	v_fma_f32 v13, v8, v11, v12
	v_fmac_f32_e32 v11, v13, v9
	s_delay_alu instid0(VALU_DEP_1) | instskip(SKIP_1) | instid1(VALU_DEP_1)
	v_fmac_f32_e32 v12, v8, v11
	s_wait_alu 0xfffd
	v_div_fmas_f32 v8, v12, v9, v11
	s_delay_alu instid0(VALU_DEP_1) | instskip(NEXT) | instid1(VALU_DEP_1)
	v_div_fixup_f32 v8, v8, v3, v2
	v_fma_f32 v9, v2, v8, v3
	s_delay_alu instid0(VALU_DEP_1) | instskip(SKIP_1) | instid1(VALU_DEP_2)
	v_div_scale_f32 v11, null, v9, v9, 1.0
	v_div_scale_f32 v14, vcc_lo, 1.0, v9, 1.0
	v_rcp_f32_e32 v12, v11
	v_xor_b32_e32 v11, 0x80000000, v11
	s_delay_alu instid0(TRANS32_DEP_1) | instid1(VALU_DEP_1)
	v_fma_f32 v13, v11, v12, 1.0
	s_delay_alu instid0(VALU_DEP_1) | instskip(NEXT) | instid1(VALU_DEP_1)
	v_fmac_f32_e32 v12, v13, v12
	v_mul_f32_e32 v13, v14, v12
	s_delay_alu instid0(VALU_DEP_1) | instskip(NEXT) | instid1(VALU_DEP_1)
	v_fma_f32 v15, v11, v13, v14
	v_fmac_f32_e32 v13, v15, v12
	s_delay_alu instid0(VALU_DEP_1) | instskip(SKIP_1) | instid1(VALU_DEP_1)
	v_fmac_f32_e32 v14, v11, v13
	s_wait_alu 0xfffd
	v_div_fmas_f32 v11, v14, v12, v13
	v_fma_f32 v12, v0, v8, v1
	s_delay_alu instid0(VALU_DEP_2) | instskip(SKIP_1) | instid1(VALU_DEP_2)
	v_div_fixup_f32 v9, v11, v9, 1.0
	v_fma_f32 v11, v1, v8, -v0
	v_mul_f32_e32 v8, v12, v9
	s_delay_alu instid0(VALU_DEP_2)
	v_mul_f32_e32 v9, v11, v9
.LBB142_113:                            ;   in Loop: Header=BB142_109 Depth=2
	s_wait_alu 0xfffe
	s_and_not1_b32 vcc_lo, exec_lo, s15
	s_wait_alu 0xfffe
	s_cbranch_vccnz .LBB142_108
; %bb.114:                              ;   in Loop: Header=BB142_109 Depth=2
	v_div_scale_f32 v8, null, v2, v2, v3
	v_div_scale_f32 v12, vcc_lo, v3, v2, v3
	s_delay_alu instid0(VALU_DEP_2)
	v_rcp_f32_e32 v9, v8
	v_xor_b32_e32 v8, 0x80000000, v8
	s_delay_alu instid0(TRANS32_DEP_1) | instid1(VALU_DEP_1)
	v_fma_f32 v11, v8, v9, 1.0
	s_delay_alu instid0(VALU_DEP_1) | instskip(NEXT) | instid1(VALU_DEP_1)
	v_fmac_f32_e32 v9, v11, v9
	v_mul_f32_e32 v11, v12, v9
	s_delay_alu instid0(VALU_DEP_1) | instskip(NEXT) | instid1(VALU_DEP_1)
	v_fma_f32 v13, v8, v11, v12
	v_fmac_f32_e32 v11, v13, v9
	s_delay_alu instid0(VALU_DEP_1) | instskip(SKIP_1) | instid1(VALU_DEP_1)
	v_fmac_f32_e32 v12, v8, v11
	s_wait_alu 0xfffd
	v_div_fmas_f32 v8, v12, v9, v11
	s_delay_alu instid0(VALU_DEP_1) | instskip(NEXT) | instid1(VALU_DEP_1)
	v_div_fixup_f32 v8, v8, v2, v3
	v_fmac_f32_e32 v2, v3, v8
	s_delay_alu instid0(VALU_DEP_1) | instskip(SKIP_1) | instid1(VALU_DEP_2)
	v_div_scale_f32 v3, null, v2, v2, 1.0
	v_div_scale_f32 v12, vcc_lo, 1.0, v2, 1.0
	v_rcp_f32_e32 v9, v3
	v_xor_b32_e32 v3, 0x80000000, v3
	s_delay_alu instid0(TRANS32_DEP_1) | instid1(VALU_DEP_1)
	v_fma_f32 v11, v3, v9, 1.0
	s_delay_alu instid0(VALU_DEP_1) | instskip(NEXT) | instid1(VALU_DEP_1)
	v_fmac_f32_e32 v9, v11, v9
	v_mul_f32_e32 v11, v12, v9
	s_delay_alu instid0(VALU_DEP_1) | instskip(NEXT) | instid1(VALU_DEP_1)
	v_fma_f32 v13, v3, v11, v12
	v_fmac_f32_e32 v11, v13, v9
	s_delay_alu instid0(VALU_DEP_1) | instskip(SKIP_1) | instid1(VALU_DEP_1)
	v_fmac_f32_e32 v12, v3, v11
	s_wait_alu 0xfffd
	v_div_fmas_f32 v3, v12, v9, v11
	v_fma_f32 v9, v1, v8, v0
	v_fma_f32 v0, -v0, v8, v1
	s_delay_alu instid0(VALU_DEP_3) | instskip(NEXT) | instid1(VALU_DEP_1)
	v_div_fixup_f32 v2, v3, v2, 1.0
	v_mul_f32_e32 v8, v9, v2
	s_delay_alu instid0(VALU_DEP_3)
	v_mul_f32_e32 v9, v0, v2
	s_branch .LBB142_108
.LBB142_115:                            ;   in Loop: Header=BB142_3 Depth=1
	s_mov_b32 s14, 0
.LBB142_116:                            ;   in Loop: Header=BB142_3 Depth=1
	s_wait_alu 0xfffe
	s_and_not1_b32 vcc_lo, exec_lo, s14
	s_wait_alu 0xfffe
	s_cbranch_vccnz .LBB142_148
; %bb.117:                              ;   in Loop: Header=BB142_3 Depth=1
	s_and_not1_b32 vcc_lo, exec_lo, s31
	s_mov_b32 s34, 0
	s_wait_alu 0xfffe
	s_cbranch_vccnz .LBB142_139
; %bb.118:                              ;   in Loop: Header=BB142_3 Depth=1
	s_mov_b32 s14, 0
	s_mov_b32 s15, 0
.LBB142_119:                            ;   Parent Loop BB142_3 Depth=1
                                        ; =>  This Loop Header: Depth=2
                                        ;       Child Loop BB142_120 Depth 3
	s_wait_alu 0xfffe
	s_or_b32 s35, s15, 1
	v_lshl_add_u32 v29, s15, 6, v17
	s_or_b32 s36, s15, 2
	s_or_b32 s34, s15, 3
	s_wait_alu 0xfffe
	v_lshl_add_u32 v28, s35, 6, v17
	v_lshl_add_u32 v27, s36, 6, v17
	;; [unrolled: 1-line block ×3, first 2 shown]
	ds_load_b64 v[0:1], v29
	ds_load_b64 v[14:15], v28
	;; [unrolled: 1-line block ×4, first 2 shown]
	v_mov_b32_e32 v2, v17
	s_cmp_eq_u32 s15, 0
	s_mov_b32 s37, s14
	s_mov_b32 s38, s15
	s_cbranch_scc1 .LBB142_121
.LBB142_120:                            ;   Parent Loop BB142_3 Depth=1
                                        ;     Parent Loop BB142_119 Depth=2
                                        ; =>    This Inner Loop Header: Depth=3
	s_wait_alu 0xfffe
	v_mov_b32_e32 v3, s37
	s_add_co_i32 s38, s38, -1
	s_add_co_i32 s37, s37, 8
	s_wait_alu 0xfffe
	s_cmp_eq_u32 s38, 0
	ds_load_b64 v[12:13], v2
	ds_load_2addr_b64 v[30:33], v3 offset1:8
	ds_load_2addr_b64 v[34:37], v3 offset0:16 offset1:24
	s_wait_dscnt 0x1
	v_dual_mul_f32 v3, v31, v13 :: v_dual_add_nc_u32 v2, 64, v2
	v_mul_f32_e32 v38, v30, v13
	s_wait_dscnt 0x0
	v_mul_f32_e32 v40, v35, v13
	v_mul_f32_e32 v39, v33, v13
	;; [unrolled: 1-line block ×5, first 2 shown]
	v_fma_f32 v3, v30, v12, -v3
	v_mul_f32_e32 v35, v35, v12
	v_fmac_f32_e32 v38, v31, v12
	v_fma_f32 v31, v34, v12, -v40
	v_fma_f32 v30, v32, v12, -v39
	v_fmac_f32_e32 v33, v32, v13
	v_fmac_f32_e32 v37, v36, v13
	v_sub_f32_e32 v0, v0, v3
	v_sub_f32_e32 v10, v10, v31
	v_fma_f32 v12, v36, v12, -v41
	v_fmac_f32_e32 v35, v34, v13
	v_sub_f32_e32 v1, v1, v38
	v_dual_sub_f32 v14, v14, v30 :: v_dual_sub_f32 v15, v15, v33
	s_delay_alu instid0(VALU_DEP_3)
	v_dual_sub_f32 v8, v8, v12 :: v_dual_sub_f32 v11, v11, v35
	v_sub_f32_e32 v9, v9, v37
	s_cbranch_scc0 .LBB142_120
.LBB142_121:                            ;   in Loop: Header=BB142_119 Depth=2
	s_mul_i32 s37, s15, 0x48
	s_lshl_b32 s35, s35, 3
	s_wait_alu 0xfffe
	v_mov_b32_e32 v2, s37
	s_lshl_b32 s36, s36, 3
	s_lshl_b32 s34, s34, 3
	s_mov_b32 s37, -1
	ds_load_b64 v[2:3], v2
	s_wait_dscnt 0x0
	v_and_b32_e32 v12, 0x7fffffff, v2
	v_and_b32_e32 v13, 0x7fffffff, v3
	s_delay_alu instid0(VALU_DEP_1)
	v_cmp_ngt_f32_e32 vcc_lo, v12, v13
                                        ; implicit-def: $vgpr13
	s_cbranch_vccz .LBB142_123
; %bb.122:                              ;   in Loop: Header=BB142_119 Depth=2
	v_div_scale_f32 v12, null, v3, v3, v2
	v_div_scale_f32 v31, vcc_lo, v2, v3, v2
	s_mov_b32 s37, 0
	v_rcp_f32_e32 v13, v12
	v_xor_b32_e32 v12, 0x80000000, v12
	s_delay_alu instid0(TRANS32_DEP_1) | instid1(VALU_DEP_1)
	v_fma_f32 v30, v12, v13, 1.0
	s_delay_alu instid0(VALU_DEP_1) | instskip(NEXT) | instid1(VALU_DEP_1)
	v_fmac_f32_e32 v13, v30, v13
	v_mul_f32_e32 v30, v31, v13
	s_delay_alu instid0(VALU_DEP_1) | instskip(NEXT) | instid1(VALU_DEP_1)
	v_fma_f32 v32, v12, v30, v31
	v_fmac_f32_e32 v30, v32, v13
	s_delay_alu instid0(VALU_DEP_1) | instskip(SKIP_1) | instid1(VALU_DEP_1)
	v_fmac_f32_e32 v31, v12, v30
	s_wait_alu 0xfffd
	v_div_fmas_f32 v12, v31, v13, v30
	s_delay_alu instid0(VALU_DEP_1) | instskip(NEXT) | instid1(VALU_DEP_1)
	v_div_fixup_f32 v12, v12, v3, v2
	v_fma_f32 v13, v2, v12, v3
	s_delay_alu instid0(VALU_DEP_1) | instskip(SKIP_1) | instid1(VALU_DEP_2)
	v_div_scale_f32 v30, null, v13, v13, 1.0
	v_div_scale_f32 v33, vcc_lo, 1.0, v13, 1.0
	v_rcp_f32_e32 v31, v30
	v_xor_b32_e32 v30, 0x80000000, v30
	s_delay_alu instid0(TRANS32_DEP_1) | instid1(VALU_DEP_1)
	v_fma_f32 v32, v30, v31, 1.0
	s_delay_alu instid0(VALU_DEP_1) | instskip(NEXT) | instid1(VALU_DEP_1)
	v_fmac_f32_e32 v31, v32, v31
	v_mul_f32_e32 v32, v33, v31
	s_delay_alu instid0(VALU_DEP_1) | instskip(NEXT) | instid1(VALU_DEP_1)
	v_fma_f32 v34, v30, v32, v33
	v_fmac_f32_e32 v32, v34, v31
	s_delay_alu instid0(VALU_DEP_1) | instskip(SKIP_1) | instid1(VALU_DEP_1)
	v_fmac_f32_e32 v33, v30, v32
	s_wait_alu 0xfffd
	v_div_fmas_f32 v30, v33, v31, v32
	v_fma_f32 v31, v0, v12, v1
	s_delay_alu instid0(VALU_DEP_2) | instskip(SKIP_1) | instid1(VALU_DEP_2)
	v_div_fixup_f32 v13, v30, v13, 1.0
	v_fma_f32 v30, v1, v12, -v0
	v_mul_f32_e32 v12, v31, v13
	s_delay_alu instid0(VALU_DEP_2)
	v_mul_f32_e32 v13, v30, v13
.LBB142_123:                            ;   in Loop: Header=BB142_119 Depth=2
	s_wait_alu 0xfffe
	s_and_not1_b32 vcc_lo, exec_lo, s37
	s_wait_alu 0xfffe
	s_cbranch_vccnz .LBB142_125
; %bb.124:                              ;   in Loop: Header=BB142_119 Depth=2
	v_div_scale_f32 v12, null, v2, v2, v3
	v_div_scale_f32 v31, vcc_lo, v3, v2, v3
	s_delay_alu instid0(VALU_DEP_2)
	v_rcp_f32_e32 v13, v12
	v_xor_b32_e32 v12, 0x80000000, v12
	s_delay_alu instid0(TRANS32_DEP_1) | instid1(VALU_DEP_1)
	v_fma_f32 v30, v12, v13, 1.0
	s_delay_alu instid0(VALU_DEP_1) | instskip(NEXT) | instid1(VALU_DEP_1)
	v_fmac_f32_e32 v13, v30, v13
	v_mul_f32_e32 v30, v31, v13
	s_delay_alu instid0(VALU_DEP_1) | instskip(NEXT) | instid1(VALU_DEP_1)
	v_fma_f32 v32, v12, v30, v31
	v_fmac_f32_e32 v30, v32, v13
	s_delay_alu instid0(VALU_DEP_1) | instskip(SKIP_1) | instid1(VALU_DEP_1)
	v_fmac_f32_e32 v31, v12, v30
	s_wait_alu 0xfffd
	v_div_fmas_f32 v12, v31, v13, v30
	s_delay_alu instid0(VALU_DEP_1) | instskip(NEXT) | instid1(VALU_DEP_1)
	v_div_fixup_f32 v12, v12, v2, v3
	v_fmac_f32_e32 v2, v3, v12
	s_delay_alu instid0(VALU_DEP_1) | instskip(SKIP_1) | instid1(VALU_DEP_2)
	v_div_scale_f32 v3, null, v2, v2, 1.0
	v_div_scale_f32 v31, vcc_lo, 1.0, v2, 1.0
	v_rcp_f32_e32 v13, v3
	v_xor_b32_e32 v3, 0x80000000, v3
	s_delay_alu instid0(TRANS32_DEP_1) | instid1(VALU_DEP_1)
	v_fma_f32 v30, v3, v13, 1.0
	s_delay_alu instid0(VALU_DEP_1) | instskip(NEXT) | instid1(VALU_DEP_1)
	v_fmac_f32_e32 v13, v30, v13
	v_mul_f32_e32 v30, v31, v13
	s_delay_alu instid0(VALU_DEP_1) | instskip(NEXT) | instid1(VALU_DEP_1)
	v_fma_f32 v32, v3, v30, v31
	v_fmac_f32_e32 v30, v32, v13
	s_delay_alu instid0(VALU_DEP_1) | instskip(SKIP_1) | instid1(VALU_DEP_1)
	v_fmac_f32_e32 v31, v3, v30
	s_wait_alu 0xfffd
	v_div_fmas_f32 v3, v31, v13, v30
	v_fma_f32 v13, v1, v12, v0
	v_fma_f32 v0, -v0, v12, v1
	s_delay_alu instid0(VALU_DEP_3) | instskip(NEXT) | instid1(VALU_DEP_1)
	v_div_fixup_f32 v2, v3, v2, 1.0
	v_mul_f32_e32 v12, v13, v2
	s_delay_alu instid0(VALU_DEP_3)
	v_mul_f32_e32 v13, v0, v2
.LBB142_125:                            ;   in Loop: Header=BB142_119 Depth=2
	s_lshl_b32 s37, s35, 3
	s_lshl_b32 s35, s15, 3
	ds_store_b64 v29, v[12:13]
	s_wait_alu 0xfffe
	s_add_co_i32 s37, s37, s35
	s_wait_alu 0xfffe
	v_mov_b32_e32 v0, s37
	s_mov_b32 s37, -1
	ds_load_b128 v[0:3], v0
	s_wait_dscnt 0x0
	v_dual_mul_f32 v30, v13, v1 :: v_dual_and_b32 v31, 0x7fffffff, v2
	v_dual_mul_f32 v1, v12, v1 :: v_dual_and_b32 v32, 0x7fffffff, v3
	s_delay_alu instid0(VALU_DEP_2) | instskip(NEXT) | instid1(VALU_DEP_2)
	v_fma_f32 v30, v12, v0, -v30
	v_fmac_f32_e32 v1, v13, v0
	s_delay_alu instid0(VALU_DEP_3) | instskip(NEXT) | instid1(VALU_DEP_2)
	v_cmp_ngt_f32_e32 vcc_lo, v31, v32
	v_dual_sub_f32 v0, v14, v30 :: v_dual_sub_f32 v1, v15, v1
                                        ; implicit-def: $vgpr15
	s_cbranch_vccz .LBB142_127
; %bb.126:                              ;   in Loop: Header=BB142_119 Depth=2
	v_div_scale_f32 v14, null, v3, v3, v2
	v_div_scale_f32 v30, vcc_lo, v2, v3, v2
	s_mov_b32 s37, 0
	v_rcp_f32_e32 v15, v14
	v_xor_b32_e32 v14, 0x80000000, v14
	s_delay_alu instid0(TRANS32_DEP_1) | instid1(VALU_DEP_1)
	v_fma_f32 v29, v14, v15, 1.0
	s_delay_alu instid0(VALU_DEP_1) | instskip(NEXT) | instid1(VALU_DEP_1)
	v_fmac_f32_e32 v15, v29, v15
	v_mul_f32_e32 v29, v30, v15
	s_delay_alu instid0(VALU_DEP_1) | instskip(NEXT) | instid1(VALU_DEP_1)
	v_fma_f32 v31, v14, v29, v30
	v_fmac_f32_e32 v29, v31, v15
	s_delay_alu instid0(VALU_DEP_1) | instskip(SKIP_1) | instid1(VALU_DEP_1)
	v_fmac_f32_e32 v30, v14, v29
	s_wait_alu 0xfffd
	v_div_fmas_f32 v14, v30, v15, v29
	s_delay_alu instid0(VALU_DEP_1) | instskip(NEXT) | instid1(VALU_DEP_1)
	v_div_fixup_f32 v14, v14, v3, v2
	v_fma_f32 v15, v2, v14, v3
	s_delay_alu instid0(VALU_DEP_1) | instskip(SKIP_1) | instid1(VALU_DEP_2)
	v_div_scale_f32 v29, null, v15, v15, 1.0
	v_div_scale_f32 v32, vcc_lo, 1.0, v15, 1.0
	v_rcp_f32_e32 v30, v29
	v_xor_b32_e32 v29, 0x80000000, v29
	s_delay_alu instid0(TRANS32_DEP_1) | instid1(VALU_DEP_1)
	v_fma_f32 v31, v29, v30, 1.0
	s_delay_alu instid0(VALU_DEP_1) | instskip(NEXT) | instid1(VALU_DEP_1)
	v_fmac_f32_e32 v30, v31, v30
	v_mul_f32_e32 v31, v32, v30
	s_delay_alu instid0(VALU_DEP_1) | instskip(NEXT) | instid1(VALU_DEP_1)
	v_fma_f32 v33, v29, v31, v32
	v_fmac_f32_e32 v31, v33, v30
	s_delay_alu instid0(VALU_DEP_1) | instskip(SKIP_1) | instid1(VALU_DEP_1)
	v_fmac_f32_e32 v32, v29, v31
	s_wait_alu 0xfffd
	v_div_fmas_f32 v29, v32, v30, v31
	v_fma_f32 v30, v14, v0, v1
	s_delay_alu instid0(VALU_DEP_2) | instskip(SKIP_1) | instid1(VALU_DEP_2)
	v_div_fixup_f32 v15, v29, v15, 1.0
	v_fma_f32 v29, v14, v1, -v0
	v_mul_f32_e32 v14, v30, v15
	s_delay_alu instid0(VALU_DEP_2)
	v_mul_f32_e32 v15, v29, v15
.LBB142_127:                            ;   in Loop: Header=BB142_119 Depth=2
	s_wait_alu 0xfffe
	s_and_not1_b32 vcc_lo, exec_lo, s37
	s_wait_alu 0xfffe
	s_cbranch_vccnz .LBB142_129
; %bb.128:                              ;   in Loop: Header=BB142_119 Depth=2
	v_div_scale_f32 v14, null, v2, v2, v3
	v_div_scale_f32 v30, vcc_lo, v3, v2, v3
	s_delay_alu instid0(VALU_DEP_2)
	v_rcp_f32_e32 v15, v14
	v_xor_b32_e32 v14, 0x80000000, v14
	s_delay_alu instid0(TRANS32_DEP_1) | instid1(VALU_DEP_1)
	v_fma_f32 v29, v14, v15, 1.0
	s_delay_alu instid0(VALU_DEP_1) | instskip(NEXT) | instid1(VALU_DEP_1)
	v_fmac_f32_e32 v15, v29, v15
	v_mul_f32_e32 v29, v30, v15
	s_delay_alu instid0(VALU_DEP_1) | instskip(NEXT) | instid1(VALU_DEP_1)
	v_fma_f32 v31, v14, v29, v30
	v_fmac_f32_e32 v29, v31, v15
	s_delay_alu instid0(VALU_DEP_1) | instskip(SKIP_1) | instid1(VALU_DEP_1)
	v_fmac_f32_e32 v30, v14, v29
	s_wait_alu 0xfffd
	v_div_fmas_f32 v14, v30, v15, v29
	s_delay_alu instid0(VALU_DEP_1) | instskip(NEXT) | instid1(VALU_DEP_1)
	v_div_fixup_f32 v14, v14, v2, v3
	v_fmac_f32_e32 v2, v3, v14
	s_delay_alu instid0(VALU_DEP_1) | instskip(SKIP_1) | instid1(VALU_DEP_2)
	v_div_scale_f32 v3, null, v2, v2, 1.0
	v_div_scale_f32 v30, vcc_lo, 1.0, v2, 1.0
	v_rcp_f32_e32 v15, v3
	v_xor_b32_e32 v3, 0x80000000, v3
	s_delay_alu instid0(TRANS32_DEP_1) | instid1(VALU_DEP_1)
	v_fma_f32 v29, v3, v15, 1.0
	s_delay_alu instid0(VALU_DEP_1) | instskip(NEXT) | instid1(VALU_DEP_1)
	v_fmac_f32_e32 v15, v29, v15
	v_mul_f32_e32 v29, v30, v15
	s_delay_alu instid0(VALU_DEP_1) | instskip(NEXT) | instid1(VALU_DEP_1)
	v_fma_f32 v31, v3, v29, v30
	v_fmac_f32_e32 v29, v31, v15
	s_delay_alu instid0(VALU_DEP_1) | instskip(SKIP_1) | instid1(VALU_DEP_1)
	v_fmac_f32_e32 v30, v3, v29
	s_wait_alu 0xfffd
	v_div_fmas_f32 v3, v30, v15, v29
	v_fma_f32 v15, v14, v1, v0
	v_fma_f32 v0, -v14, v0, v1
	s_delay_alu instid0(VALU_DEP_3) | instskip(NEXT) | instid1(VALU_DEP_1)
	v_div_fixup_f32 v2, v3, v2, 1.0
	v_mul_f32_e32 v14, v15, v2
	s_delay_alu instid0(VALU_DEP_3)
	v_mul_f32_e32 v15, v0, v2
.LBB142_129:                            ;   in Loop: Header=BB142_119 Depth=2
	s_lshl_b32 s37, s36, 3
	s_wait_alu 0xfffe
	s_add_co_i32 s38, s37, s35
	s_add_co_i32 s36, s37, s36
	s_wait_alu 0xfffe
	v_dual_mov_b32 v0, s38 :: v_dual_mov_b32 v1, s36
	s_mov_b32 s36, -1
	ds_load_b128 v[29:32], v0
	ds_load_b64 v[0:1], v1
	ds_store_b64 v28, v[14:15]
	s_wait_dscnt 0x1
	v_dual_mul_f32 v2, v13, v30 :: v_dual_and_b32 v33, 0x7fffffff, v0
	v_dual_mul_f32 v3, v12, v30 :: v_dual_mul_f32 v30, v15, v32
	v_mul_f32_e32 v32, v14, v32
	s_delay_alu instid0(VALU_DEP_3) | instskip(NEXT) | instid1(VALU_DEP_3)
	v_fma_f32 v2, v12, v29, -v2
	v_fmac_f32_e32 v3, v13, v29
	s_delay_alu instid0(VALU_DEP_3) | instskip(SKIP_1) | instid1(VALU_DEP_3)
	v_dual_fmac_f32 v32, v15, v31 :: v_dual_and_b32 v29, 0x7fffffff, v1
	v_fma_f32 v30, v14, v31, -v30
	v_dual_sub_f32 v2, v10, v2 :: v_dual_sub_f32 v3, v11, v3
	s_delay_alu instid0(VALU_DEP_3) | instskip(NEXT) | instid1(VALU_DEP_2)
	v_cmp_ngt_f32_e32 vcc_lo, v33, v29
                                        ; implicit-def: $vgpr11
	v_dual_sub_f32 v2, v2, v30 :: v_dual_sub_f32 v3, v3, v32
	s_cbranch_vccz .LBB142_131
; %bb.130:                              ;   in Loop: Header=BB142_119 Depth=2
	v_div_scale_f32 v10, null, v1, v1, v0
	v_div_scale_f32 v29, vcc_lo, v0, v1, v0
	s_mov_b32 s36, 0
	v_rcp_f32_e32 v11, v10
	v_xor_b32_e32 v10, 0x80000000, v10
	s_delay_alu instid0(TRANS32_DEP_1) | instid1(VALU_DEP_1)
	v_fma_f32 v28, v10, v11, 1.0
	s_delay_alu instid0(VALU_DEP_1) | instskip(NEXT) | instid1(VALU_DEP_1)
	v_fmac_f32_e32 v11, v28, v11
	v_mul_f32_e32 v28, v29, v11
	s_delay_alu instid0(VALU_DEP_1) | instskip(NEXT) | instid1(VALU_DEP_1)
	v_fma_f32 v30, v10, v28, v29
	v_fmac_f32_e32 v28, v30, v11
	s_delay_alu instid0(VALU_DEP_1) | instskip(SKIP_1) | instid1(VALU_DEP_1)
	v_fmac_f32_e32 v29, v10, v28
	s_wait_alu 0xfffd
	v_div_fmas_f32 v10, v29, v11, v28
	s_delay_alu instid0(VALU_DEP_1) | instskip(NEXT) | instid1(VALU_DEP_1)
	v_div_fixup_f32 v10, v10, v1, v0
	v_fma_f32 v11, v0, v10, v1
	s_delay_alu instid0(VALU_DEP_1) | instskip(SKIP_1) | instid1(VALU_DEP_2)
	v_div_scale_f32 v28, null, v11, v11, 1.0
	v_div_scale_f32 v31, vcc_lo, 1.0, v11, 1.0
	v_rcp_f32_e32 v29, v28
	v_xor_b32_e32 v28, 0x80000000, v28
	s_delay_alu instid0(TRANS32_DEP_1) | instid1(VALU_DEP_1)
	v_fma_f32 v30, v28, v29, 1.0
	s_delay_alu instid0(VALU_DEP_1) | instskip(NEXT) | instid1(VALU_DEP_1)
	v_fmac_f32_e32 v29, v30, v29
	v_mul_f32_e32 v30, v31, v29
	s_delay_alu instid0(VALU_DEP_1) | instskip(NEXT) | instid1(VALU_DEP_1)
	v_fma_f32 v32, v28, v30, v31
	v_fmac_f32_e32 v30, v32, v29
	s_delay_alu instid0(VALU_DEP_1) | instskip(SKIP_1) | instid1(VALU_DEP_1)
	v_fmac_f32_e32 v31, v28, v30
	s_wait_alu 0xfffd
	v_div_fmas_f32 v28, v31, v29, v30
	v_fma_f32 v29, v10, v2, v3
	s_delay_alu instid0(VALU_DEP_2) | instskip(SKIP_1) | instid1(VALU_DEP_2)
	v_div_fixup_f32 v11, v28, v11, 1.0
	v_fma_f32 v28, v10, v3, -v2
	v_mul_f32_e32 v10, v29, v11
	s_delay_alu instid0(VALU_DEP_2)
	v_mul_f32_e32 v11, v28, v11
.LBB142_131:                            ;   in Loop: Header=BB142_119 Depth=2
	s_wait_alu 0xfffe
	s_and_not1_b32 vcc_lo, exec_lo, s36
	s_wait_alu 0xfffe
	s_cbranch_vccnz .LBB142_133
; %bb.132:                              ;   in Loop: Header=BB142_119 Depth=2
	v_div_scale_f32 v10, null, v0, v0, v1
	v_div_scale_f32 v29, vcc_lo, v1, v0, v1
	s_delay_alu instid0(VALU_DEP_2)
	v_rcp_f32_e32 v11, v10
	v_xor_b32_e32 v10, 0x80000000, v10
	s_delay_alu instid0(TRANS32_DEP_1) | instid1(VALU_DEP_1)
	v_fma_f32 v28, v10, v11, 1.0
	s_delay_alu instid0(VALU_DEP_1) | instskip(NEXT) | instid1(VALU_DEP_1)
	v_fmac_f32_e32 v11, v28, v11
	v_mul_f32_e32 v28, v29, v11
	s_delay_alu instid0(VALU_DEP_1) | instskip(NEXT) | instid1(VALU_DEP_1)
	v_fma_f32 v30, v10, v28, v29
	v_fmac_f32_e32 v28, v30, v11
	s_delay_alu instid0(VALU_DEP_1) | instskip(SKIP_1) | instid1(VALU_DEP_1)
	v_fmac_f32_e32 v29, v10, v28
	s_wait_alu 0xfffd
	v_div_fmas_f32 v10, v29, v11, v28
	s_delay_alu instid0(VALU_DEP_1) | instskip(NEXT) | instid1(VALU_DEP_1)
	v_div_fixup_f32 v10, v10, v0, v1
	v_fmac_f32_e32 v0, v1, v10
	s_delay_alu instid0(VALU_DEP_1) | instskip(SKIP_1) | instid1(VALU_DEP_2)
	v_div_scale_f32 v1, null, v0, v0, 1.0
	v_div_scale_f32 v29, vcc_lo, 1.0, v0, 1.0
	v_rcp_f32_e32 v11, v1
	v_xor_b32_e32 v1, 0x80000000, v1
	s_delay_alu instid0(TRANS32_DEP_1) | instid1(VALU_DEP_1)
	v_fma_f32 v28, v1, v11, 1.0
	s_delay_alu instid0(VALU_DEP_1) | instskip(NEXT) | instid1(VALU_DEP_1)
	v_fmac_f32_e32 v11, v28, v11
	v_mul_f32_e32 v28, v29, v11
	s_delay_alu instid0(VALU_DEP_1) | instskip(NEXT) | instid1(VALU_DEP_1)
	v_fma_f32 v30, v1, v28, v29
	v_fmac_f32_e32 v28, v30, v11
	s_delay_alu instid0(VALU_DEP_1) | instskip(SKIP_1) | instid1(VALU_DEP_1)
	v_fmac_f32_e32 v29, v1, v28
	s_wait_alu 0xfffd
	v_div_fmas_f32 v1, v29, v11, v28
	v_fma_f32 v11, v10, v3, v2
	s_delay_alu instid0(VALU_DEP_2) | instskip(SKIP_1) | instid1(VALU_DEP_2)
	v_div_fixup_f32 v0, v1, v0, 1.0
	v_fma_f32 v1, -v10, v2, v3
	v_mul_f32_e32 v10, v11, v0
	s_delay_alu instid0(VALU_DEP_2)
	v_mul_f32_e32 v11, v1, v0
.LBB142_133:                            ;   in Loop: Header=BB142_119 Depth=2
	s_lshl_b32 s34, s34, 3
	s_wait_alu 0xfffe
	s_add_co_i32 s34, s34, s35
	s_wait_alu 0xfffe
	v_mov_b32_e32 v0, s34
	s_mov_b32 s34, -1
	ds_load_b128 v[28:31], v0
	ds_load_b128 v[0:3], v0 offset:16
	ds_store_b64 v27, v[10:11]
	s_wait_dscnt 0x2
	v_dual_mul_f32 v32, v13, v29 :: v_dual_mul_f32 v33, v15, v31
	v_mul_f32_e32 v29, v12, v29
	s_wait_dscnt 0x1
	v_dual_mul_f32 v31, v14, v31 :: v_dual_mul_f32 v34, v11, v1
	s_delay_alu instid0(VALU_DEP_3) | instskip(SKIP_3) | instid1(VALU_DEP_4)
	v_fma_f32 v12, v12, v28, -v32
	v_mul_f32_e32 v1, v10, v1
	v_fmac_f32_e32 v29, v13, v28
	v_fma_f32 v14, v14, v30, -v33
	v_dual_fmac_f32 v31, v15, v30 :: v_dual_sub_f32 v8, v8, v12
	s_delay_alu instid0(VALU_DEP_3) | instskip(SKIP_1) | instid1(VALU_DEP_3)
	v_dual_sub_f32 v9, v9, v29 :: v_dual_and_b32 v12, 0x7fffffff, v3
	v_fma_f32 v15, v10, v0, -v34
	v_dual_fmac_f32 v1, v11, v0 :: v_dual_sub_f32 v0, v8, v14
	v_and_b32_e32 v13, 0x7fffffff, v2
	s_delay_alu instid0(VALU_DEP_4) | instskip(NEXT) | instid1(VALU_DEP_3)
	v_sub_f32_e32 v9, v9, v31
	v_sub_f32_e32 v8, v0, v15
	s_delay_alu instid0(VALU_DEP_3) | instskip(NEXT) | instid1(VALU_DEP_3)
	v_cmp_ngt_f32_e32 vcc_lo, v13, v12
	v_sub_f32_e32 v9, v9, v1
                                        ; implicit-def: $vgpr1
	s_cbranch_vccz .LBB142_135
; %bb.134:                              ;   in Loop: Header=BB142_119 Depth=2
	v_div_scale_f32 v0, null, v3, v3, v2
	v_div_scale_f32 v11, vcc_lo, v2, v3, v2
	s_mov_b32 s34, 0
	v_rcp_f32_e32 v1, v0
	v_xor_b32_e32 v0, 0x80000000, v0
	s_delay_alu instid0(TRANS32_DEP_1) | instid1(VALU_DEP_1)
	v_fma_f32 v10, v0, v1, 1.0
	s_delay_alu instid0(VALU_DEP_1) | instskip(NEXT) | instid1(VALU_DEP_1)
	v_fmac_f32_e32 v1, v10, v1
	v_mul_f32_e32 v10, v11, v1
	s_delay_alu instid0(VALU_DEP_1) | instskip(NEXT) | instid1(VALU_DEP_1)
	v_fma_f32 v12, v0, v10, v11
	v_fmac_f32_e32 v10, v12, v1
	s_delay_alu instid0(VALU_DEP_1) | instskip(SKIP_1) | instid1(VALU_DEP_1)
	v_fmac_f32_e32 v11, v0, v10
	s_wait_alu 0xfffd
	v_div_fmas_f32 v0, v11, v1, v10
	s_delay_alu instid0(VALU_DEP_1) | instskip(NEXT) | instid1(VALU_DEP_1)
	v_div_fixup_f32 v0, v0, v3, v2
	v_fma_f32 v1, v2, v0, v3
	s_delay_alu instid0(VALU_DEP_1) | instskip(SKIP_1) | instid1(VALU_DEP_2)
	v_div_scale_f32 v10, null, v1, v1, 1.0
	v_div_scale_f32 v13, vcc_lo, 1.0, v1, 1.0
	v_rcp_f32_e32 v11, v10
	v_xor_b32_e32 v10, 0x80000000, v10
	s_delay_alu instid0(TRANS32_DEP_1) | instid1(VALU_DEP_1)
	v_fma_f32 v12, v10, v11, 1.0
	s_delay_alu instid0(VALU_DEP_1) | instskip(NEXT) | instid1(VALU_DEP_1)
	v_fmac_f32_e32 v11, v12, v11
	v_mul_f32_e32 v12, v13, v11
	s_delay_alu instid0(VALU_DEP_1) | instskip(NEXT) | instid1(VALU_DEP_1)
	v_fma_f32 v14, v10, v12, v13
	v_fmac_f32_e32 v12, v14, v11
	s_delay_alu instid0(VALU_DEP_1) | instskip(SKIP_1) | instid1(VALU_DEP_1)
	v_fmac_f32_e32 v13, v10, v12
	s_wait_alu 0xfffd
	v_div_fmas_f32 v10, v13, v11, v12
	v_fma_f32 v11, v0, v8, v9
	s_delay_alu instid0(VALU_DEP_2) | instskip(SKIP_1) | instid1(VALU_DEP_2)
	v_div_fixup_f32 v1, v10, v1, 1.0
	v_fma_f32 v10, v0, v9, -v8
	v_mul_f32_e32 v0, v11, v1
	s_delay_alu instid0(VALU_DEP_2)
	v_mul_f32_e32 v1, v10, v1
.LBB142_135:                            ;   in Loop: Header=BB142_119 Depth=2
	s_wait_alu 0xfffe
	s_and_not1_b32 vcc_lo, exec_lo, s34
	s_wait_alu 0xfffe
	s_cbranch_vccnz .LBB142_137
; %bb.136:                              ;   in Loop: Header=BB142_119 Depth=2
	v_div_scale_f32 v0, null, v2, v2, v3
	v_div_scale_f32 v11, vcc_lo, v3, v2, v3
	s_delay_alu instid0(VALU_DEP_2)
	v_rcp_f32_e32 v1, v0
	v_xor_b32_e32 v0, 0x80000000, v0
	s_delay_alu instid0(TRANS32_DEP_1) | instid1(VALU_DEP_1)
	v_fma_f32 v10, v0, v1, 1.0
	s_delay_alu instid0(VALU_DEP_1) | instskip(NEXT) | instid1(VALU_DEP_1)
	v_fmac_f32_e32 v1, v10, v1
	v_mul_f32_e32 v10, v11, v1
	s_delay_alu instid0(VALU_DEP_1) | instskip(NEXT) | instid1(VALU_DEP_1)
	v_fma_f32 v12, v0, v10, v11
	v_fmac_f32_e32 v10, v12, v1
	s_delay_alu instid0(VALU_DEP_1) | instskip(SKIP_1) | instid1(VALU_DEP_1)
	v_fmac_f32_e32 v11, v0, v10
	s_wait_alu 0xfffd
	v_div_fmas_f32 v0, v11, v1, v10
	s_delay_alu instid0(VALU_DEP_1) | instskip(NEXT) | instid1(VALU_DEP_1)
	v_div_fixup_f32 v0, v0, v2, v3
	v_fmac_f32_e32 v2, v3, v0
	s_delay_alu instid0(VALU_DEP_1) | instskip(SKIP_1) | instid1(VALU_DEP_2)
	v_div_scale_f32 v1, null, v2, v2, 1.0
	v_div_scale_f32 v11, vcc_lo, 1.0, v2, 1.0
	v_rcp_f32_e32 v3, v1
	v_xor_b32_e32 v1, 0x80000000, v1
	s_delay_alu instid0(TRANS32_DEP_1) | instid1(VALU_DEP_1)
	v_fma_f32 v10, v1, v3, 1.0
	s_delay_alu instid0(VALU_DEP_1) | instskip(NEXT) | instid1(VALU_DEP_1)
	v_fmac_f32_e32 v3, v10, v3
	v_mul_f32_e32 v10, v11, v3
	s_delay_alu instid0(VALU_DEP_1) | instskip(NEXT) | instid1(VALU_DEP_1)
	v_fma_f32 v12, v1, v10, v11
	v_fmac_f32_e32 v10, v12, v3
	s_delay_alu instid0(VALU_DEP_1) | instskip(SKIP_1) | instid1(VALU_DEP_1)
	v_fmac_f32_e32 v11, v1, v10
	s_wait_alu 0xfffd
	v_div_fmas_f32 v1, v11, v3, v10
	v_fma_f32 v3, v0, v9, v8
	s_delay_alu instid0(VALU_DEP_2) | instskip(SKIP_1) | instid1(VALU_DEP_2)
	v_div_fixup_f32 v1, v1, v2, 1.0
	v_fma_f32 v2, -v0, v8, v9
	v_mul_f32_e32 v0, v3, v1
	s_delay_alu instid0(VALU_DEP_2)
	v_mul_f32_e32 v1, v2, v1
.LBB142_137:                            ;   in Loop: Header=BB142_119 Depth=2
	s_add_co_i32 s34, s15, 4
	s_add_co_i32 s15, s15, 7
	s_addk_co_i32 s14, 0x100
	s_wait_alu 0xfffe
	s_cmp_ge_i32 s15, s26
	ds_store_b64 v26, v[0:1]
	s_cbranch_scc1 .LBB142_139
; %bb.138:                              ;   in Loop: Header=BB142_119 Depth=2
	s_mov_b32 s15, s34
	s_branch .LBB142_119
.LBB142_139:                            ;   in Loop: Header=BB142_3 Depth=1
	s_cmp_ge_i32 s34, s26
	s_cbranch_scc1 .LBB142_148
; %bb.140:                              ;   in Loop: Header=BB142_3 Depth=1
	s_lshl_b32 s14, s34, 6
	s_branch .LBB142_142
.LBB142_141:                            ;   in Loop: Header=BB142_142 Depth=2
	s_add_co_i32 s34, s34, 1
	s_add_co_i32 s14, s14, 64
	s_wait_alu 0xfffe
	s_cmp_ge_i32 s34, s26
	ds_store_b64 v10, v[8:9]
	s_cbranch_scc1 .LBB142_148
.LBB142_142:                            ;   Parent Loop BB142_3 Depth=1
                                        ; =>  This Loop Header: Depth=2
                                        ;       Child Loop BB142_143 Depth 3
	v_lshl_add_u32 v10, s34, 6, v17
	v_mov_b32_e32 v2, v17
	s_cmp_eq_u32 s34, 0
	s_wait_alu 0xfffe
	s_mov_b32 s15, s14
	s_mov_b32 s35, s34
	ds_load_b64 v[0:1], v10
	s_cbranch_scc1 .LBB142_144
.LBB142_143:                            ;   Parent Loop BB142_3 Depth=1
                                        ;     Parent Loop BB142_142 Depth=2
                                        ; =>    This Inner Loop Header: Depth=3
	s_wait_alu 0xfffe
	v_mov_b32_e32 v3, s15
	s_add_co_i32 s35, s35, -1
	s_add_co_i32 s15, s15, 8
	s_wait_alu 0xfffe
	s_cmp_eq_u32 s35, 0
	ds_load_b64 v[8:9], v2
	ds_load_b64 v[11:12], v3
	s_wait_dscnt 0x0
	v_dual_mul_f32 v3, v12, v9 :: v_dual_add_nc_u32 v2, 64, v2
	s_delay_alu instid0(VALU_DEP_1) | instskip(NEXT) | instid1(VALU_DEP_1)
	v_fma_f32 v3, v11, v8, -v3
	v_dual_mul_f32 v9, v11, v9 :: v_dual_sub_f32 v0, v0, v3
	s_delay_alu instid0(VALU_DEP_1) | instskip(NEXT) | instid1(VALU_DEP_1)
	v_fmac_f32_e32 v9, v12, v8
	v_sub_f32_e32 v1, v1, v9
	s_cbranch_scc0 .LBB142_143
.LBB142_144:                            ;   in Loop: Header=BB142_142 Depth=2
	s_mul_i32 s15, s34, 0x48
	s_wait_alu 0xfffe
	v_mov_b32_e32 v2, s15
	s_mov_b32 s15, -1
	ds_load_b64 v[2:3], v2
	s_wait_dscnt 0x0
	v_and_b32_e32 v8, 0x7fffffff, v2
	v_and_b32_e32 v9, 0x7fffffff, v3
	s_delay_alu instid0(VALU_DEP_1)
	v_cmp_ngt_f32_e32 vcc_lo, v8, v9
                                        ; implicit-def: $vgpr8
	s_cbranch_vccz .LBB142_146
; %bb.145:                              ;   in Loop: Header=BB142_142 Depth=2
	v_div_scale_f32 v8, null, v3, v3, v2
	v_div_scale_f32 v12, vcc_lo, v2, v3, v2
	s_mov_b32 s15, 0
	v_rcp_f32_e32 v9, v8
	v_xor_b32_e32 v8, 0x80000000, v8
	s_delay_alu instid0(TRANS32_DEP_1) | instid1(VALU_DEP_1)
	v_fma_f32 v11, v8, v9, 1.0
	s_delay_alu instid0(VALU_DEP_1) | instskip(NEXT) | instid1(VALU_DEP_1)
	v_fmac_f32_e32 v9, v11, v9
	v_mul_f32_e32 v11, v12, v9
	s_delay_alu instid0(VALU_DEP_1) | instskip(NEXT) | instid1(VALU_DEP_1)
	v_fma_f32 v13, v8, v11, v12
	v_fmac_f32_e32 v11, v13, v9
	s_delay_alu instid0(VALU_DEP_1) | instskip(SKIP_1) | instid1(VALU_DEP_1)
	v_fmac_f32_e32 v12, v8, v11
	s_wait_alu 0xfffd
	v_div_fmas_f32 v8, v12, v9, v11
	s_delay_alu instid0(VALU_DEP_1) | instskip(NEXT) | instid1(VALU_DEP_1)
	v_div_fixup_f32 v8, v8, v3, v2
	v_fma_f32 v9, v2, v8, v3
	s_delay_alu instid0(VALU_DEP_1) | instskip(SKIP_1) | instid1(VALU_DEP_2)
	v_div_scale_f32 v11, null, v9, v9, 1.0
	v_div_scale_f32 v14, vcc_lo, 1.0, v9, 1.0
	v_rcp_f32_e32 v12, v11
	v_xor_b32_e32 v11, 0x80000000, v11
	s_delay_alu instid0(TRANS32_DEP_1) | instid1(VALU_DEP_1)
	v_fma_f32 v13, v11, v12, 1.0
	s_delay_alu instid0(VALU_DEP_1) | instskip(NEXT) | instid1(VALU_DEP_1)
	v_fmac_f32_e32 v12, v13, v12
	v_mul_f32_e32 v13, v14, v12
	s_delay_alu instid0(VALU_DEP_1) | instskip(NEXT) | instid1(VALU_DEP_1)
	v_fma_f32 v15, v11, v13, v14
	v_fmac_f32_e32 v13, v15, v12
	s_delay_alu instid0(VALU_DEP_1) | instskip(SKIP_1) | instid1(VALU_DEP_1)
	v_fmac_f32_e32 v14, v11, v13
	s_wait_alu 0xfffd
	v_div_fmas_f32 v11, v14, v12, v13
	v_fma_f32 v12, v0, v8, v1
	s_delay_alu instid0(VALU_DEP_2) | instskip(SKIP_1) | instid1(VALU_DEP_2)
	v_div_fixup_f32 v9, v11, v9, 1.0
	v_fma_f32 v11, v1, v8, -v0
	v_mul_f32_e32 v8, v12, v9
	s_delay_alu instid0(VALU_DEP_2)
	v_mul_f32_e32 v9, v11, v9
.LBB142_146:                            ;   in Loop: Header=BB142_142 Depth=2
	s_wait_alu 0xfffe
	s_and_not1_b32 vcc_lo, exec_lo, s15
	s_wait_alu 0xfffe
	s_cbranch_vccnz .LBB142_141
; %bb.147:                              ;   in Loop: Header=BB142_142 Depth=2
	v_div_scale_f32 v8, null, v2, v2, v3
	v_div_scale_f32 v12, vcc_lo, v3, v2, v3
	s_delay_alu instid0(VALU_DEP_2)
	v_rcp_f32_e32 v9, v8
	v_xor_b32_e32 v8, 0x80000000, v8
	s_delay_alu instid0(TRANS32_DEP_1) | instid1(VALU_DEP_1)
	v_fma_f32 v11, v8, v9, 1.0
	s_delay_alu instid0(VALU_DEP_1) | instskip(NEXT) | instid1(VALU_DEP_1)
	v_fmac_f32_e32 v9, v11, v9
	v_mul_f32_e32 v11, v12, v9
	s_delay_alu instid0(VALU_DEP_1) | instskip(NEXT) | instid1(VALU_DEP_1)
	v_fma_f32 v13, v8, v11, v12
	v_fmac_f32_e32 v11, v13, v9
	s_delay_alu instid0(VALU_DEP_1) | instskip(SKIP_1) | instid1(VALU_DEP_1)
	v_fmac_f32_e32 v12, v8, v11
	s_wait_alu 0xfffd
	v_div_fmas_f32 v8, v12, v9, v11
	s_delay_alu instid0(VALU_DEP_1) | instskip(NEXT) | instid1(VALU_DEP_1)
	v_div_fixup_f32 v8, v8, v2, v3
	v_fmac_f32_e32 v2, v3, v8
	s_delay_alu instid0(VALU_DEP_1) | instskip(SKIP_1) | instid1(VALU_DEP_2)
	v_div_scale_f32 v3, null, v2, v2, 1.0
	v_div_scale_f32 v12, vcc_lo, 1.0, v2, 1.0
	v_rcp_f32_e32 v9, v3
	v_xor_b32_e32 v3, 0x80000000, v3
	s_delay_alu instid0(TRANS32_DEP_1) | instid1(VALU_DEP_1)
	v_fma_f32 v11, v3, v9, 1.0
	s_delay_alu instid0(VALU_DEP_1) | instskip(NEXT) | instid1(VALU_DEP_1)
	v_fmac_f32_e32 v9, v11, v9
	v_mul_f32_e32 v11, v12, v9
	s_delay_alu instid0(VALU_DEP_1) | instskip(NEXT) | instid1(VALU_DEP_1)
	v_fma_f32 v13, v3, v11, v12
	v_fmac_f32_e32 v11, v13, v9
	s_delay_alu instid0(VALU_DEP_1) | instskip(SKIP_1) | instid1(VALU_DEP_1)
	v_fmac_f32_e32 v12, v3, v11
	s_wait_alu 0xfffd
	v_div_fmas_f32 v3, v12, v9, v11
	v_fma_f32 v9, v1, v8, v0
	v_fma_f32 v0, -v0, v8, v1
	s_delay_alu instid0(VALU_DEP_3) | instskip(NEXT) | instid1(VALU_DEP_1)
	v_div_fixup_f32 v2, v3, v2, 1.0
	v_mul_f32_e32 v8, v9, v2
	s_delay_alu instid0(VALU_DEP_3)
	v_mul_f32_e32 v9, v0, v2
	s_branch .LBB142_141
.LBB142_148:                            ;   in Loop: Header=BB142_3 Depth=1
	s_and_saveexec_b32 s14, s33
	s_cbranch_execz .LBB142_2
; %bb.149:                              ;   in Loop: Header=BB142_3 Depth=1
	v_add_co_u32 v0, vcc_lo, v6, s10
	s_wait_alu 0xfffd
	v_add_co_ci_u32_e64 v1, null, s11, v7, vcc_lo
	v_mov_b32_e32 v2, v17
	s_delay_alu instid0(VALU_DEP_3) | instskip(SKIP_1) | instid1(VALU_DEP_3)
	v_add_co_u32 v0, vcc_lo, v0, s20
	s_wait_alu 0xfffd
	v_add_co_ci_u32_e64 v1, null, s21, v1, vcc_lo
	s_mov_b32 s15, s16
	v_add_co_u32 v0, vcc_lo, v0, v25
	s_wait_alu 0xfffd
	v_add_co_ci_u32_e64 v1, null, 0, v1, vcc_lo
.LBB142_150:                            ;   Parent Loop BB142_3 Depth=1
                                        ; =>  This Inner Loop Header: Depth=2
	ds_load_b64 v[6:7], v2
	v_add_nc_u32_e32 v2, 64, v2
	s_wait_alu 0xfffe
	s_add_co_i32 s15, s15, -1
	s_wait_alu 0xfffe
	s_cmp_lg_u32 s15, 0
	s_wait_dscnt 0x0
	flat_store_b64 v[0:1], v[6:7]
	v_add_co_u32 v0, vcc_lo, v0, s12
	s_wait_alu 0xfffd
	v_add_co_ci_u32_e64 v1, null, s13, v1, vcc_lo
	s_cbranch_scc1 .LBB142_150
	s_branch .LBB142_2
.LBB142_151:
	s_endpgm
	.section	.rodata,"a",@progbits
	.p2align	6, 0x0
	.amdhsa_kernel _ZL31rocblas_trsm_small_right_deviceI19rocblas_complex_numIfES1_PKPKS1_PKPS1_Li8EEv13rocblas_fill_18rocblas_operation_17rocblas_diagonal_iiT0_T1_lilT2_lili
		.amdhsa_group_segment_fixed_size 1024
		.amdhsa_private_segment_fixed_size 0
		.amdhsa_kernarg_size 360
		.amdhsa_user_sgpr_count 2
		.amdhsa_user_sgpr_dispatch_ptr 0
		.amdhsa_user_sgpr_queue_ptr 0
		.amdhsa_user_sgpr_kernarg_segment_ptr 1
		.amdhsa_user_sgpr_dispatch_id 0
		.amdhsa_user_sgpr_private_segment_size 0
		.amdhsa_wavefront_size32 1
		.amdhsa_uses_dynamic_stack 0
		.amdhsa_enable_private_segment 0
		.amdhsa_system_sgpr_workgroup_id_x 1
		.amdhsa_system_sgpr_workgroup_id_y 0
		.amdhsa_system_sgpr_workgroup_id_z 1
		.amdhsa_system_sgpr_workgroup_info 0
		.amdhsa_system_vgpr_workitem_id 0
		.amdhsa_next_free_vgpr 42
		.amdhsa_next_free_sgpr 42
		.amdhsa_reserve_vcc 1
		.amdhsa_float_round_mode_32 0
		.amdhsa_float_round_mode_16_64 0
		.amdhsa_float_denorm_mode_32 3
		.amdhsa_float_denorm_mode_16_64 3
		.amdhsa_fp16_overflow 0
		.amdhsa_workgroup_processor_mode 1
		.amdhsa_memory_ordered 1
		.amdhsa_forward_progress 1
		.amdhsa_inst_pref_size 123
		.amdhsa_round_robin_scheduling 0
		.amdhsa_exception_fp_ieee_invalid_op 0
		.amdhsa_exception_fp_denorm_src 0
		.amdhsa_exception_fp_ieee_div_zero 0
		.amdhsa_exception_fp_ieee_overflow 0
		.amdhsa_exception_fp_ieee_underflow 0
		.amdhsa_exception_fp_ieee_inexact 0
		.amdhsa_exception_int_div_zero 0
	.end_amdhsa_kernel
	.section	.text._ZL31rocblas_trsm_small_right_deviceI19rocblas_complex_numIfES1_PKPKS1_PKPS1_Li8EEv13rocblas_fill_18rocblas_operation_17rocblas_diagonal_iiT0_T1_lilT2_lili,"axG",@progbits,_ZL31rocblas_trsm_small_right_deviceI19rocblas_complex_numIfES1_PKPKS1_PKPS1_Li8EEv13rocblas_fill_18rocblas_operation_17rocblas_diagonal_iiT0_T1_lilT2_lili,comdat
.Lfunc_end142:
	.size	_ZL31rocblas_trsm_small_right_deviceI19rocblas_complex_numIfES1_PKPKS1_PKPS1_Li8EEv13rocblas_fill_18rocblas_operation_17rocblas_diagonal_iiT0_T1_lilT2_lili, .Lfunc_end142-_ZL31rocblas_trsm_small_right_deviceI19rocblas_complex_numIfES1_PKPKS1_PKPS1_Li8EEv13rocblas_fill_18rocblas_operation_17rocblas_diagonal_iiT0_T1_lilT2_lili
                                        ; -- End function
	.set _ZL31rocblas_trsm_small_right_deviceI19rocblas_complex_numIfES1_PKPKS1_PKPS1_Li8EEv13rocblas_fill_18rocblas_operation_17rocblas_diagonal_iiT0_T1_lilT2_lili.num_vgpr, 42
	.set _ZL31rocblas_trsm_small_right_deviceI19rocblas_complex_numIfES1_PKPKS1_PKPS1_Li8EEv13rocblas_fill_18rocblas_operation_17rocblas_diagonal_iiT0_T1_lilT2_lili.num_agpr, 0
	.set _ZL31rocblas_trsm_small_right_deviceI19rocblas_complex_numIfES1_PKPKS1_PKPS1_Li8EEv13rocblas_fill_18rocblas_operation_17rocblas_diagonal_iiT0_T1_lilT2_lili.numbered_sgpr, 42
	.set _ZL31rocblas_trsm_small_right_deviceI19rocblas_complex_numIfES1_PKPKS1_PKPS1_Li8EEv13rocblas_fill_18rocblas_operation_17rocblas_diagonal_iiT0_T1_lilT2_lili.num_named_barrier, 0
	.set _ZL31rocblas_trsm_small_right_deviceI19rocblas_complex_numIfES1_PKPKS1_PKPS1_Li8EEv13rocblas_fill_18rocblas_operation_17rocblas_diagonal_iiT0_T1_lilT2_lili.private_seg_size, 0
	.set _ZL31rocblas_trsm_small_right_deviceI19rocblas_complex_numIfES1_PKPKS1_PKPS1_Li8EEv13rocblas_fill_18rocblas_operation_17rocblas_diagonal_iiT0_T1_lilT2_lili.uses_vcc, 1
	.set _ZL31rocblas_trsm_small_right_deviceI19rocblas_complex_numIfES1_PKPKS1_PKPS1_Li8EEv13rocblas_fill_18rocblas_operation_17rocblas_diagonal_iiT0_T1_lilT2_lili.uses_flat_scratch, 0
	.set _ZL31rocblas_trsm_small_right_deviceI19rocblas_complex_numIfES1_PKPKS1_PKPS1_Li8EEv13rocblas_fill_18rocblas_operation_17rocblas_diagonal_iiT0_T1_lilT2_lili.has_dyn_sized_stack, 0
	.set _ZL31rocblas_trsm_small_right_deviceI19rocblas_complex_numIfES1_PKPKS1_PKPS1_Li8EEv13rocblas_fill_18rocblas_operation_17rocblas_diagonal_iiT0_T1_lilT2_lili.has_recursion, 0
	.set _ZL31rocblas_trsm_small_right_deviceI19rocblas_complex_numIfES1_PKPKS1_PKPS1_Li8EEv13rocblas_fill_18rocblas_operation_17rocblas_diagonal_iiT0_T1_lilT2_lili.has_indirect_call, 0
	.section	.AMDGPU.csdata,"",@progbits
; Kernel info:
; codeLenInByte = 15736
; TotalNumSgprs: 44
; NumVgprs: 42
; ScratchSize: 0
; MemoryBound: 0
; FloatMode: 240
; IeeeMode: 1
; LDSByteSize: 1024 bytes/workgroup (compile time only)
; SGPRBlocks: 0
; VGPRBlocks: 5
; NumSGPRsForWavesPerEU: 44
; NumVGPRsForWavesPerEU: 42
; Occupancy: 16
; WaveLimiterHint : 0
; COMPUTE_PGM_RSRC2:SCRATCH_EN: 0
; COMPUTE_PGM_RSRC2:USER_SGPR: 2
; COMPUTE_PGM_RSRC2:TRAP_HANDLER: 0
; COMPUTE_PGM_RSRC2:TGID_X_EN: 1
; COMPUTE_PGM_RSRC2:TGID_Y_EN: 0
; COMPUTE_PGM_RSRC2:TGID_Z_EN: 1
; COMPUTE_PGM_RSRC2:TIDIG_COMP_CNT: 0
	.section	.text._ZL38rocblas_trsm_small_left_device_sharedBILi12ELi12ELb0E19rocblas_complex_numIfES1_PKPKS1_PKPS1_Ev13rocblas_fill_18rocblas_operation_17rocblas_diagonal_iiT3_T4_lilT5_lili,"axG",@progbits,_ZL38rocblas_trsm_small_left_device_sharedBILi12ELi12ELb0E19rocblas_complex_numIfES1_PKPKS1_PKPS1_Ev13rocblas_fill_18rocblas_operation_17rocblas_diagonal_iiT3_T4_lilT5_lili,comdat
	.globl	_ZL38rocblas_trsm_small_left_device_sharedBILi12ELi12ELb0E19rocblas_complex_numIfES1_PKPKS1_PKPS1_Ev13rocblas_fill_18rocblas_operation_17rocblas_diagonal_iiT3_T4_lilT5_lili ; -- Begin function _ZL38rocblas_trsm_small_left_device_sharedBILi12ELi12ELb0E19rocblas_complex_numIfES1_PKPKS1_PKPS1_Ev13rocblas_fill_18rocblas_operation_17rocblas_diagonal_iiT3_T4_lilT5_lili
	.p2align	8
	.type	_ZL38rocblas_trsm_small_left_device_sharedBILi12ELi12ELb0E19rocblas_complex_numIfES1_PKPKS1_PKPS1_Ev13rocblas_fill_18rocblas_operation_17rocblas_diagonal_iiT3_T4_lilT5_lili,@function
_ZL38rocblas_trsm_small_left_device_sharedBILi12ELi12ELb0E19rocblas_complex_numIfES1_PKPKS1_PKPS1_Ev13rocblas_fill_18rocblas_operation_17rocblas_diagonal_iiT3_T4_lilT5_lili: ; @_ZL38rocblas_trsm_small_left_device_sharedBILi12ELi12ELb0E19rocblas_complex_numIfES1_PKPKS1_PKPS1_Ev13rocblas_fill_18rocblas_operation_17rocblas_diagonal_iiT3_T4_lilT5_lili
; %bb.0:
	s_load_b32 s22, s[0:1], 0x60
	s_lshr_b32 s2, ttmp7, 16
	s_wait_kmcnt 0x0
	s_cmp_ge_u32 s2, s22
	s_cbranch_scc1 .LBB143_66
; %bb.1:
	s_clause 0x6
	s_load_b32 s20, s[0:1], 0x30
	s_load_b32 s28, s[0:1], 0x50
	s_load_b128 s[12:15], s[0:1], 0x4
	s_load_b32 s3, s[0:1], 0x68
	s_load_b128 s[4:7], s[0:1], 0x20
	s_load_b128 s[8:11], s[0:1], 0x40
	s_load_b64 s[16:17], s[0:1], 0x14
	s_mul_i32 s0, ttmp9, -12
	s_mul_i32 s30, ttmp9, 12
	v_lshlrev_b32_e32 v12, 3, v0
	v_mul_u32_u24_e32 v2, 0x60, v0
	s_mov_b32 s19, 0
	s_wait_kmcnt 0x0
	s_ashr_i32 s21, s20, 31
	s_ashr_i32 s29, s28, 31
	s_cmp_lg_u32 s12, 0x71
	v_mad_co_i64_i32 v[4:5], null, s28, v0, 0
	s_cselect_b32 s1, -1, 0
	s_min_i32 s23, s14, 12
	s_add_co_i32 s3, s3, -1
	s_add_co_i32 s0, s15, s0
	s_add_co_i32 s24, s23, -1
	s_cmp_ge_u32 ttmp9, s3
	v_lshlrev_b64_e32 v[4:5], 3, v[4:5]
	s_cselect_b32 s3, s0, 12
	s_ashr_i32 s31, s30, 31
	s_cmp_lg_u32 s13, 0x84
	v_cmp_gt_i32_e64 s0, s23, v0
	s_cselect_b32 s25, -1, 0
	s_cmp_gt_i32 s14, 0
	v_cmp_gt_i32_e32 vcc_lo, s3, v0
	s_cselect_b32 s18, -1, 0
	s_cmp_lg_u32 s12, 0x6f
	s_mul_u64 s[14:15], s[28:29], s[30:31]
	s_cselect_b32 s26, -1, 0
	s_lshl_b64 s[12:13], s[30:31], 3
	s_and_b32 s27, vcc_lo, s18
	v_add_co_u32 v0, s3, s12, v12
	s_wait_alu 0xf1ff
	v_add_co_ci_u32_e64 v3, null, s13, 0, s3
	s_lshl_b64 s[12:13], s[6:7], 3
	s_lshl_b64 s[6:7], s[10:11], 3
	v_mul_lo_u32 v8, v0, s29
	v_mul_lo_u32 v9, v3, s28
	v_mad_co_u64_u32 v[6:7], null, v0, s28, s[6:7]
	v_mov_b32_e32 v3, 0
	s_wait_alu 0xfffe
	v_add_co_u32 v10, s3, s12, v12
	v_or_b32_e32 v1, 0x480, v12
	s_wait_alu 0xf1ff
	v_add_co_ci_u32_e64 v0, null, s13, 0, s3
	s_delay_alu instid0(VALU_DEP_3)
	v_or_b32_e32 v13, 4, v10
	v_add3_u32 v14, v9, v7, v8
	v_or_b32_e32 v15, 4, v6
	v_add_nc_u32_e32 v16, v12, v2
	v_mov_b32_e32 v2, 1.0
	s_mul_i32 s3, s23, 0x60
	s_or_b32 s28, 0, 4
	s_lshl_b64 s[10:11], s[20:21], 3
	s_wait_alu 0xfffe
	s_add_co_i32 s20, s3, 0xffffffa0
	s_lshl_b64 s[12:13], s[14:15], 3
	s_branch .LBB143_3
.LBB143_2:                              ;   in Loop: Header=BB143_3 Depth=1
	s_wait_alu 0xfffe
	s_or_b32 exec_lo, exec_lo, s3
	s_add_co_i32 s2, s2, 0x10000
	s_wait_alu 0xfffe
	s_cmp_lt_u32 s2, s22
	s_cbranch_scc0 .LBB143_66
.LBB143_3:                              ; =>This Loop Header: Depth=1
                                        ;     Child Loop BB143_6 Depth 2
                                        ;     Child Loop BB143_20 Depth 2
	;; [unrolled: 1-line block ×3, first 2 shown]
                                        ;       Child Loop BB143_27 Depth 3
                                        ;         Child Loop BB143_28 Depth 4
                                        ;         Child Loop BB143_31 Depth 4
                                        ;           Child Loop BB143_32 Depth 5
                                        ;         Child Loop BB143_36 Depth 4
                                        ;           Child Loop BB143_38 Depth 5
                                        ;     Child Loop BB143_46 Depth 2
                                        ;       Child Loop BB143_49 Depth 3
                                        ;         Child Loop BB143_50 Depth 4
                                        ;         Child Loop BB143_52 Depth 4
                                        ;           Child Loop BB143_53 Depth 5
                                        ;         Child Loop BB143_57 Depth 4
                                        ;           Child Loop BB143_59 Depth 5
                                        ;     Child Loop BB143_65 Depth 2
	s_mov_b32 s3, s19
	s_wait_alu 0xfffe
	s_lshl_b64 s[14:15], s[2:3], 3
	s_delay_alu instid0(SALU_CYCLE_1)
	s_add_nc_u64 s[30:31], s[8:9], s[14:15]
	global_load_b64 v[6:7], v3, s[30:31]
	s_and_saveexec_b32 s3, s0
	s_cbranch_execz .LBB143_18
; %bb.4:                                ;   in Loop: Header=BB143_3 Depth=1
	s_add_nc_u64 s[14:15], s[4:5], s[14:15]
	v_mov_b32_e32 v17, v12
	global_load_b64 v[8:9], v3, s[14:15]
	s_mov_b32 s14, s23
	s_wait_loadcnt 0x0
	v_add_co_u32 v8, vcc_lo, v8, v13
	s_wait_alu 0xfffd
	v_add_co_ci_u32_e64 v9, null, v9, v0, vcc_lo
	s_branch .LBB143_6
.LBB143_5:                              ;   in Loop: Header=BB143_6 Depth=2
	flat_load_b32 v10, v[8:9] offset:-4
	v_add_co_u32 v8, vcc_lo, v8, s10
	s_wait_alu 0xfffd
	v_add_co_ci_u32_e64 v9, null, s11, v9, vcc_lo
	s_add_co_i32 s14, s14, -1
	s_delay_alu instid0(SALU_CYCLE_1)
	s_cmp_eq_u32 s14, 0
	s_wait_loadcnt_dscnt 0x0
	ds_store_b64 v17, v[10:11]
	v_add_nc_u32_e32 v17, 0x60, v17
	s_cbranch_scc1 .LBB143_10
.LBB143_6:                              ;   Parent Loop BB143_3 Depth=1
                                        ; =>  This Inner Loop Header: Depth=2
	s_and_b32 vcc_lo, exec_lo, s1
	s_mov_b32 s15, -1
                                        ; implicit-def: $vgpr11
	s_wait_alu 0xfffe
	s_cbranch_vccz .LBB143_8
; %bb.7:                                ;   in Loop: Header=BB143_6 Depth=2
	flat_load_b32 v11, v[8:9]
	s_mov_b32 s15, 0
.LBB143_8:                              ;   in Loop: Header=BB143_6 Depth=2
	s_delay_alu instid0(SALU_CYCLE_1)
	s_and_not1_b32 vcc_lo, exec_lo, s15
	s_wait_alu 0xfffe
	s_cbranch_vccnz .LBB143_5
; %bb.9:                                ;   in Loop: Header=BB143_6 Depth=2
	flat_load_b32 v10, v[8:9]
	s_wait_loadcnt_dscnt 0x0
	v_xor_b32_e32 v11, 0x80000000, v10
	s_branch .LBB143_5
.LBB143_10:                             ;   in Loop: Header=BB143_3 Depth=1
	s_and_b32 vcc_lo, exec_lo, s25
	s_mov_b32 s14, -1
	s_wait_alu 0xfffe
	s_cbranch_vccz .LBB143_16
; %bb.11:                               ;   in Loop: Header=BB143_3 Depth=1
	ds_load_b64 v[8:9], v16
                                        ; implicit-def: $vgpr10
	s_wait_dscnt 0x0
	v_cmp_ngt_f32_e64 s14, |v8|, |v9|
	s_and_saveexec_b32 s15, s14
	s_delay_alu instid0(SALU_CYCLE_1)
	s_xor_b32 s14, exec_lo, s15
	s_cbranch_execz .LBB143_13
; %bb.12:                               ;   in Loop: Header=BB143_3 Depth=1
	v_div_scale_f32 v10, null, v9, v9, v8
	v_div_scale_f32 v18, vcc_lo, v8, v9, v8
	s_delay_alu instid0(VALU_DEP_2) | instskip(NEXT) | instid1(TRANS32_DEP_1)
	v_rcp_f32_e32 v11, v10
	v_fma_f32 v17, -v10, v11, 1.0
	s_delay_alu instid0(VALU_DEP_1) | instskip(NEXT) | instid1(VALU_DEP_1)
	v_fmac_f32_e32 v11, v17, v11
	v_mul_f32_e32 v17, v18, v11
	s_delay_alu instid0(VALU_DEP_1) | instskip(NEXT) | instid1(VALU_DEP_1)
	v_fma_f32 v19, -v10, v17, v18
	v_fmac_f32_e32 v17, v19, v11
	s_delay_alu instid0(VALU_DEP_1) | instskip(SKIP_1) | instid1(VALU_DEP_1)
	v_fma_f32 v10, -v10, v17, v18
	s_wait_alu 0xfffd
	v_div_fmas_f32 v10, v10, v11, v17
	s_delay_alu instid0(VALU_DEP_1) | instskip(NEXT) | instid1(VALU_DEP_1)
	v_div_fixup_f32 v10, v10, v9, v8
	v_fmac_f32_e32 v9, v8, v10
	s_delay_alu instid0(VALU_DEP_1) | instskip(SKIP_1) | instid1(VALU_DEP_2)
	v_div_scale_f32 v8, null, v9, v9, 1.0
	v_div_scale_f32 v18, vcc_lo, 1.0, v9, 1.0
	v_rcp_f32_e32 v11, v8
	s_delay_alu instid0(TRANS32_DEP_1) | instskip(NEXT) | instid1(VALU_DEP_1)
	v_fma_f32 v17, -v8, v11, 1.0
	v_fmac_f32_e32 v11, v17, v11
	s_delay_alu instid0(VALU_DEP_1) | instskip(NEXT) | instid1(VALU_DEP_1)
	v_mul_f32_e32 v17, v18, v11
	v_fma_f32 v19, -v8, v17, v18
	s_delay_alu instid0(VALU_DEP_1) | instskip(NEXT) | instid1(VALU_DEP_1)
	v_fmac_f32_e32 v17, v19, v11
	v_fma_f32 v8, -v8, v17, v18
	s_wait_alu 0xfffd
	s_delay_alu instid0(VALU_DEP_1) | instskip(SKIP_1) | instid1(VALU_DEP_2)
	v_div_fmas_f32 v8, v8, v11, v17
	v_add_f32_e32 v11, 0, v10
	v_div_fixup_f32 v8, v8, v9, 1.0
	v_fma_f32 v9, v10, 0, -1.0
	s_delay_alu instid0(VALU_DEP_2) | instskip(NEXT) | instid1(VALU_DEP_2)
	v_mul_f32_e32 v10, v11, v8
	v_mul_f32_e32 v11, v9, v8
                                        ; implicit-def: $vgpr8_vgpr9
.LBB143_13:                             ;   in Loop: Header=BB143_3 Depth=1
	s_and_not1_saveexec_b32 s14, s14
	s_cbranch_execz .LBB143_15
; %bb.14:                               ;   in Loop: Header=BB143_3 Depth=1
	v_div_scale_f32 v10, null, v8, v8, v9
	v_div_scale_f32 v18, vcc_lo, v9, v8, v9
	s_delay_alu instid0(VALU_DEP_2) | instskip(NEXT) | instid1(TRANS32_DEP_1)
	v_rcp_f32_e32 v11, v10
	v_fma_f32 v17, -v10, v11, 1.0
	s_delay_alu instid0(VALU_DEP_1) | instskip(NEXT) | instid1(VALU_DEP_1)
	v_fmac_f32_e32 v11, v17, v11
	v_mul_f32_e32 v17, v18, v11
	s_delay_alu instid0(VALU_DEP_1) | instskip(NEXT) | instid1(VALU_DEP_1)
	v_fma_f32 v19, -v10, v17, v18
	v_fmac_f32_e32 v17, v19, v11
	s_delay_alu instid0(VALU_DEP_1) | instskip(SKIP_1) | instid1(VALU_DEP_1)
	v_fma_f32 v10, -v10, v17, v18
	s_wait_alu 0xfffd
	v_div_fmas_f32 v10, v10, v11, v17
	s_delay_alu instid0(VALU_DEP_1) | instskip(NEXT) | instid1(VALU_DEP_1)
	v_div_fixup_f32 v11, v10, v8, v9
	v_fmac_f32_e32 v8, v9, v11
	s_delay_alu instid0(VALU_DEP_1) | instskip(SKIP_1) | instid1(VALU_DEP_2)
	v_div_scale_f32 v9, null, v8, v8, 1.0
	v_div_scale_f32 v18, vcc_lo, 1.0, v8, 1.0
	v_rcp_f32_e32 v10, v9
	s_delay_alu instid0(TRANS32_DEP_1) | instskip(NEXT) | instid1(VALU_DEP_1)
	v_fma_f32 v17, -v9, v10, 1.0
	v_fmac_f32_e32 v10, v17, v10
	s_delay_alu instid0(VALU_DEP_1) | instskip(NEXT) | instid1(VALU_DEP_1)
	v_mul_f32_e32 v17, v18, v10
	v_fma_f32 v19, -v9, v17, v18
	s_delay_alu instid0(VALU_DEP_1) | instskip(NEXT) | instid1(VALU_DEP_1)
	v_fmac_f32_e32 v17, v19, v10
	v_fma_f32 v9, -v9, v17, v18
	s_wait_alu 0xfffd
	s_delay_alu instid0(VALU_DEP_1) | instskip(SKIP_1) | instid1(VALU_DEP_2)
	v_div_fmas_f32 v9, v9, v10, v17
	v_fma_f32 v10, v11, 0, 1.0
	v_div_fixup_f32 v8, v9, v8, 1.0
	s_delay_alu instid0(VALU_DEP_1)
	v_mul_f32_e32 v10, v10, v8
	v_mul_f32_e64 v11, -v11, v8
.LBB143_15:                             ;   in Loop: Header=BB143_3 Depth=1
	s_or_b32 exec_lo, exec_lo, s14
	s_mov_b32 s14, 0
	ds_store_b64 v16, v[10:11]
.LBB143_16:                             ;   in Loop: Header=BB143_3 Depth=1
	s_and_b32 vcc_lo, exec_lo, s14
	s_wait_alu 0xfffe
	s_cbranch_vccz .LBB143_18
; %bb.17:                               ;   in Loop: Header=BB143_3 Depth=1
	ds_store_b64 v16, v[2:3]
.LBB143_18:                             ;   in Loop: Header=BB143_3 Depth=1
	s_wait_alu 0xfffe
	s_or_b32 exec_lo, exec_lo, s3
	s_and_saveexec_b32 s3, s27
	s_cbranch_execz .LBB143_21
; %bb.19:                               ;   in Loop: Header=BB143_3 Depth=1
	s_wait_loadcnt 0x0
	v_add_co_u32 v8, vcc_lo, v6, v15
	s_wait_alu 0xfffd
	v_add_co_ci_u32_e64 v9, null, v7, v14, vcc_lo
	v_mov_b32_e32 v10, v1
	s_mov_b32 s14, s23
.LBB143_20:                             ;   Parent Loop BB143_3 Depth=1
                                        ; =>  This Inner Loop Header: Depth=2
	flat_load_b64 v[17:18], v[8:9] offset:-4
	v_add_co_u32 v8, vcc_lo, v8, 8
	s_wait_alu 0xfffd
	v_add_co_ci_u32_e64 v9, null, 0, v9, vcc_lo
	s_add_co_i32 s14, s14, -1
	s_delay_alu instid0(SALU_CYCLE_1) | instskip(SKIP_3) | instid1(VALU_DEP_2)
	s_cmp_lg_u32 s14, 0
	s_wait_loadcnt_dscnt 0x0
	v_mul_f32_e32 v11, s17, v18
	v_mul_f32_e32 v19, s16, v18
	v_fma_f32 v18, s16, v17, -v11
	s_delay_alu instid0(VALU_DEP_2)
	v_fmac_f32_e32 v19, s17, v17
	ds_store_b64 v10, v[18:19]
	v_add_nc_u32_e32 v10, 0x60, v10
	s_cbranch_scc1 .LBB143_20
.LBB143_21:                             ;   in Loop: Header=BB143_3 Depth=1
	s_wait_alu 0xfffe
	s_or_b32 exec_lo, exec_lo, s3
	s_delay_alu instid0(SALU_CYCLE_1)
	s_and_not1_b32 vcc_lo, exec_lo, s26
	s_mov_b32 s3, -1
	; wave barrier
	s_wait_loadcnt_dscnt 0x0
	global_inv scope:SCOPE_SE
	s_wait_alu 0xfffe
	s_cbranch_vccnz .LBB143_43
; %bb.22:                               ;   in Loop: Header=BB143_3 Depth=1
	s_mov_b32 s18, 0
	s_delay_alu instid0(SALU_CYCLE_1)
	s_mov_b32 s3, s18
	s_branch .LBB143_24
.LBB143_23:                             ;   in Loop: Header=BB143_24 Depth=2
	s_cmp_lt_i32 s3, s23
	s_cselect_b32 s14, -1, 0
	s_add_co_i32 s15, s18, 1
	s_cmp_lt_u32 s18, 2
	s_cselect_b32 s18, -1, 0
	s_delay_alu instid0(SALU_CYCLE_1)
	s_and_b32 s14, s14, s18
	s_mov_b32 s18, s15
	s_and_b32 vcc_lo, exec_lo, s14
	s_wait_alu 0xfffe
	s_cbranch_vccz .LBB143_42
.LBB143_24:                             ;   Parent Loop BB143_3 Depth=1
                                        ; =>  This Loop Header: Depth=2
                                        ;       Child Loop BB143_27 Depth 3
                                        ;         Child Loop BB143_28 Depth 4
                                        ;         Child Loop BB143_31 Depth 4
                                        ;           Child Loop BB143_32 Depth 5
                                        ;         Child Loop BB143_36 Depth 4
                                        ;           Child Loop BB143_38 Depth 5
	s_getpc_b64 s[14:15]
	s_sext_i32_i16 s15, s15
	s_add_co_u32 s14, s14, __const._ZL38rocblas_trsm_small_left_device_sharedBILi12ELi12ELb0E19rocblas_complex_numIfES1_PKPKS1_PKPS1_Ev13rocblas_fill_18rocblas_operation_17rocblas_diagonal_iiT3_T4_lilT5_lili.step_sizes@rel32@lo+8
	s_add_co_ci_u32 s15, s15, __const._ZL38rocblas_trsm_small_left_device_sharedBILi12ELi12ELb0E19rocblas_complex_numIfES1_PKPKS1_PKPS1_Ev13rocblas_fill_18rocblas_operation_17rocblas_diagonal_iiT3_T4_lilT5_lili.step_sizes@rel32@hi+16
	s_lshl_b64 s[30:31], s[18:19], 2
	s_wait_alu 0xfffe
	s_add_nc_u64 s[14:15], s[14:15], s[30:31]
	s_load_b32 s14, s[14:15], 0x0
	s_wait_kmcnt 0x0
	s_add_co_i32 s15, s14, -1
	s_delay_alu instid0(SALU_CYCLE_1)
	s_add_co_i32 s21, s15, s3
	s_wait_alu 0xfffe
	s_cmp_ge_i32 s21, s23
	s_cbranch_scc1 .LBB143_23
; %bb.25:                               ;   in Loop: Header=BB143_24 Depth=2
	s_mul_i32 s21, s3, 0x60
	s_max_i32 s29, s14, 1
	s_wait_alu 0xfffe
	v_add_nc_u32_e32 v10, s21, v1
	s_mul_i32 s30, s14, 0x60
	s_mul_i32 s31, s3, 0x68
	;; [unrolled: 1-line block ×3, first 2 shown]
	s_branch .LBB143_27
.LBB143_26:                             ;   in Loop: Header=BB143_27 Depth=3
	s_add_co_i32 s3, s3, s14
	v_add_nc_u32_e32 v10, s30, v10
	s_wait_alu 0xfffe
	s_add_co_i32 s34, s15, s3
	s_add_co_i32 s21, s21, s30
	;; [unrolled: 1-line block ×3, first 2 shown]
	s_wait_alu 0xfffe
	s_cmp_ge_i32 s34, s23
	s_cbranch_scc1 .LBB143_23
.LBB143_27:                             ;   Parent Loop BB143_3 Depth=1
                                        ;     Parent Loop BB143_24 Depth=2
                                        ; =>    This Loop Header: Depth=3
                                        ;         Child Loop BB143_28 Depth 4
                                        ;         Child Loop BB143_31 Depth 4
                                        ;           Child Loop BB143_32 Depth 5
                                        ;         Child Loop BB143_36 Depth 4
                                        ;           Child Loop BB143_38 Depth 5
	v_mov_b32_e32 v8, v10
	s_mov_b32 s34, 0
	s_wait_alu 0xfffe
	s_mov_b32 s35, s29
.LBB143_28:                             ;   Parent Loop BB143_3 Depth=1
                                        ;     Parent Loop BB143_24 Depth=2
                                        ;       Parent Loop BB143_27 Depth=3
                                        ; =>      This Inner Loop Header: Depth=4
	ds_load_b64 v[17:18], v8
	v_add_nc_u32_e32 v8, 0x60, v8
	s_wait_alu 0xfffe
	s_add_co_i32 s35, s35, -1
	s_wait_dscnt 0x0
	scratch_store_b64 off, v[17:18], s34
	s_add_co_i32 s34, s34, 8
	s_wait_alu 0xfffe
	s_cmp_eq_u32 s35, 0
	s_cbranch_scc0 .LBB143_28
; %bb.29:                               ;   in Loop: Header=BB143_27 Depth=3
	s_cmp_lt_i32 s3, 1
	s_cbranch_scc1 .LBB143_34
; %bb.30:                               ;   in Loop: Header=BB143_27 Depth=3
	s_mov_b32 s34, 0
	s_mov_b32 s35, s21
.LBB143_31:                             ;   Parent Loop BB143_3 Depth=1
                                        ;     Parent Loop BB143_24 Depth=2
                                        ;       Parent Loop BB143_27 Depth=3
                                        ; =>      This Loop Header: Depth=4
                                        ;           Child Loop BB143_32 Depth 5
	s_wait_alu 0xfffe
	v_mad_co_u64_u32 v[8:9], null, 0x60, s34, v[1:2]
	s_mov_b32 s36, s28
	s_mov_b32 s37, s35
	;; [unrolled: 1-line block ×3, first 2 shown]
	ds_load_b64 v[8:9], v8
.LBB143_32:                             ;   Parent Loop BB143_3 Depth=1
                                        ;     Parent Loop BB143_24 Depth=2
                                        ;       Parent Loop BB143_27 Depth=3
                                        ;         Parent Loop BB143_31 Depth=4
                                        ; =>        This Inner Loop Header: Depth=5
	scratch_load_b64 v[17:18], off, s36 offset:-4
	s_wait_alu 0xfffe
	v_mov_b32_e32 v11, s37
	s_add_co_i32 s38, s38, -1
	s_addk_co_i32 s37, 0x60
	ds_load_b64 v[19:20], v11
	s_wait_dscnt 0x0
	v_mul_f32_e32 v11, v20, v9
	v_mul_f32_e32 v20, v20, v8
	s_delay_alu instid0(VALU_DEP_1) | instskip(SKIP_1) | instid1(VALU_DEP_1)
	v_fmac_f32_e32 v20, v19, v9
	s_wait_loadcnt 0x0
	v_sub_f32_e32 v18, v18, v20
	v_fma_f32 v11, v19, v8, -v11
	s_delay_alu instid0(VALU_DEP_1)
	v_sub_f32_e32 v17, v17, v11
	scratch_store_b64 off, v[17:18], s36 offset:-4
	s_add_co_i32 s36, s36, 8
	s_wait_alu 0xfffe
	s_cmp_eq_u32 s38, 0
	s_cbranch_scc0 .LBB143_32
; %bb.33:                               ;   in Loop: Header=BB143_31 Depth=4
	s_add_co_i32 s34, s34, 1
	s_add_co_i32 s35, s35, 8
	s_wait_alu 0xfffe
	s_cmp_eq_u32 s34, s3
	s_cbranch_scc0 .LBB143_31
.LBB143_34:                             ;   in Loop: Header=BB143_27 Depth=3
	s_mul_i32 s34, s3, 0x60
	s_mov_b32 s35, 0
	s_mov_b32 s36, s31
	s_branch .LBB143_36
.LBB143_35:                             ;   in Loop: Header=BB143_36 Depth=4
	s_wait_alu 0xfffe
	s_mulk_i32 s38, 0x68
	s_addk_co_i32 s36, 0x60
	s_wait_alu 0xfffe
	v_mov_b32_e32 v11, s38
	s_lshl_b32 s38, s35, 3
	s_add_co_i32 s35, s35, 1
	s_wait_alu 0xfffe
	s_cmp_eq_u32 s35, s29
	ds_load_b64 v[17:18], v11
	s_wait_loadcnt_dscnt 0x0
	v_mul_f32_e32 v11, v18, v9
	v_mul_f32_e32 v20, v17, v9
	v_add_nc_u32_e32 v9, s37, v1
	s_delay_alu instid0(VALU_DEP_3) | instskip(NEXT) | instid1(VALU_DEP_3)
	v_fma_f32 v19, v17, v8, -v11
	v_fmac_f32_e32 v20, v18, v8
	scratch_store_b64 off, v[19:20], s38
	ds_store_b64 v9, v[19:20]
	s_cbranch_scc1 .LBB143_26
.LBB143_36:                             ;   Parent Loop BB143_3 Depth=1
                                        ;     Parent Loop BB143_24 Depth=2
                                        ;       Parent Loop BB143_27 Depth=3
                                        ; =>      This Loop Header: Depth=4
                                        ;           Child Loop BB143_38 Depth 5
	s_wait_alu 0xfffe
	s_cmp_lg_u32 s35, 0
	s_cbranch_scc0 .LBB143_40
; %bb.37:                               ;   in Loop: Header=BB143_36 Depth=4
	s_lshl_b32 s39, s35, 3
	s_add_co_i32 s38, s35, s3
	scratch_load_b64 v[8:9], off, s39
	s_wait_alu 0xfffe
	s_mul_i32 s37, s38, 0x60
	s_mov_b32 s40, 0
	s_mov_b32 s41, s36
	s_mov_b32 s42, s35
.LBB143_38:                             ;   Parent Loop BB143_3 Depth=1
                                        ;     Parent Loop BB143_24 Depth=2
                                        ;       Parent Loop BB143_27 Depth=3
                                        ;         Parent Loop BB143_36 Depth=4
                                        ; =>        This Inner Loop Header: Depth=5
	scratch_load_b64 v[17:18], off, s40
	s_wait_alu 0xfffe
	v_mov_b32_e32 v11, s41
	s_add_co_i32 s42, s42, -1
	s_add_co_i32 s40, s40, 8
	s_add_co_i32 s41, s41, 8
	s_cmp_eq_u32 s42, 0
	ds_load_b64 v[19:20], v11
	s_wait_loadcnt_dscnt 0x0
	v_mul_f32_e32 v11, v20, v18
	v_mul_f32_e32 v18, v19, v18
	s_delay_alu instid0(VALU_DEP_2) | instskip(NEXT) | instid1(VALU_DEP_2)
	v_fma_f32 v11, v19, v17, -v11
	v_fmac_f32_e32 v18, v20, v17
	s_delay_alu instid0(VALU_DEP_1)
	v_dual_sub_f32 v8, v8, v11 :: v_dual_sub_f32 v9, v9, v18
	scratch_store_b64 off, v[8:9], s39
	s_cbranch_scc0 .LBB143_38
; %bb.39:                               ;   in Loop: Header=BB143_36 Depth=4
	s_branch .LBB143_35
.LBB143_40:                             ;   in Loop: Header=BB143_36 Depth=4
                                        ; implicit-def: $vgpr8
                                        ; implicit-def: $sgpr38
                                        ; implicit-def: $sgpr37
	s_cbranch_execz .LBB143_35
; %bb.41:                               ;   in Loop: Header=BB143_36 Depth=4
	scratch_load_b64 v[8:9], off, off
	s_mov_b32 s37, s34
	s_mov_b32 s38, s3
	s_branch .LBB143_35
.LBB143_42:                             ;   in Loop: Header=BB143_3 Depth=1
	s_mov_b32 s3, 0
.LBB143_43:                             ;   in Loop: Header=BB143_3 Depth=1
	s_wait_alu 0xfffe
	s_and_b32 vcc_lo, exec_lo, s3
	s_wait_alu 0xfffe
	s_cbranch_vccz .LBB143_63
; %bb.44:                               ;   in Loop: Header=BB143_3 Depth=1
	s_mov_b32 s18, 0
	s_mov_b32 s3, s24
	s_branch .LBB143_46
.LBB143_45:                             ;   in Loop: Header=BB143_46 Depth=2
	s_cmp_gt_i32 s3, -1
	s_cselect_b32 s14, -1, 0
	s_add_co_i32 s15, s18, 1
	s_cmp_lt_u32 s18, 2
	s_cselect_b32 s18, -1, 0
	s_delay_alu instid0(SALU_CYCLE_1)
	s_and_b32 s14, s14, s18
	s_mov_b32 s18, s15
	s_and_not1_b32 vcc_lo, exec_lo, s14
	s_wait_alu 0xfffe
	s_cbranch_vccnz .LBB143_63
.LBB143_46:                             ;   Parent Loop BB143_3 Depth=1
                                        ; =>  This Loop Header: Depth=2
                                        ;       Child Loop BB143_49 Depth 3
                                        ;         Child Loop BB143_50 Depth 4
                                        ;         Child Loop BB143_52 Depth 4
                                        ;           Child Loop BB143_53 Depth 5
                                        ;         Child Loop BB143_57 Depth 4
                                        ;           Child Loop BB143_59 Depth 5
	s_getpc_b64 s[14:15]
	s_sext_i32_i16 s15, s15
	s_add_co_u32 s14, s14, __const._ZL38rocblas_trsm_small_left_device_sharedBILi12ELi12ELb0E19rocblas_complex_numIfES1_PKPKS1_PKPS1_Ev13rocblas_fill_18rocblas_operation_17rocblas_diagonal_iiT3_T4_lilT5_lili.step_sizes@rel32@lo+8
	s_add_co_ci_u32 s15, s15, __const._ZL38rocblas_trsm_small_left_device_sharedBILi12ELi12ELb0E19rocblas_complex_numIfES1_PKPKS1_PKPS1_Ev13rocblas_fill_18rocblas_operation_17rocblas_diagonal_iiT3_T4_lilT5_lili.step_sizes@rel32@hi+16
	s_lshl_b64 s[30:31], s[18:19], 2
	s_wait_alu 0xfffe
	s_add_nc_u64 s[14:15], s[14:15], s[30:31]
	s_load_b32 s14, s[14:15], 0x0
	s_wait_kmcnt 0x0
	s_add_co_i32 s15, s14, -1
	s_delay_alu instid0(SALU_CYCLE_1)
	s_cmp_lt_i32 s3, s15
	s_cbranch_scc1 .LBB143_45
; %bb.47:                               ;   in Loop: Header=BB143_46 Depth=2
	v_mad_co_u64_u32 v[8:9], null, 0x60, s3, v[1:2]
	s_lshl_b32 s30, s3, 3
	s_lshl_b32 s31, s14, 3
	s_max_i32 s21, s14, 1
	s_mul_i32 s29, s14, 0xffffffa0
	s_wait_alu 0xfffe
	s_add_co_i32 s30, s20, s30
	s_sub_co_i32 s31, 0, s31
	s_mul_i32 s33, s3, 0x68
	s_mul_i32 s34, s14, 0xffffff98
	s_branch .LBB143_49
.LBB143_48:                             ;   in Loop: Header=BB143_49 Depth=3
	v_add_nc_u32_e32 v8, s29, v8
	s_sub_co_i32 s3, s3, s14
	s_add_co_i32 s30, s30, s31
	s_add_co_i32 s33, s33, s34
	s_wait_alu 0xfffe
	s_cmp_lt_i32 s3, s15
	s_cbranch_scc1 .LBB143_45
.LBB143_49:                             ;   Parent Loop BB143_3 Depth=1
                                        ;     Parent Loop BB143_46 Depth=2
                                        ; =>    This Loop Header: Depth=3
                                        ;         Child Loop BB143_50 Depth 4
                                        ;         Child Loop BB143_52 Depth 4
                                        ;           Child Loop BB143_53 Depth 5
                                        ;         Child Loop BB143_57 Depth 4
                                        ;           Child Loop BB143_59 Depth 5
	v_mov_b32_e32 v9, v8
	s_mov_b32 s35, 0
	s_mov_b32 s36, s21
.LBB143_50:                             ;   Parent Loop BB143_3 Depth=1
                                        ;     Parent Loop BB143_46 Depth=2
                                        ;       Parent Loop BB143_49 Depth=3
                                        ; =>      This Inner Loop Header: Depth=4
	ds_load_b64 v[10:11], v9
	v_add_nc_u32_e32 v9, 0xffffffa0, v9
	s_wait_alu 0xfffe
	s_add_co_i32 s36, s36, -1
	s_wait_dscnt 0x0
	scratch_store_b64 off, v[10:11], s35
	s_add_co_i32 s35, s35, 8
	s_wait_alu 0xfffe
	s_cmp_eq_u32 s36, 0
	s_cbranch_scc0 .LBB143_50
; %bb.51:                               ;   in Loop: Header=BB143_49 Depth=3
	s_cmp_le_i32 s24, s3
	s_mov_b32 s35, s30
	s_mov_b32 s36, s24
	s_cbranch_scc1 .LBB143_55
.LBB143_52:                             ;   Parent Loop BB143_3 Depth=1
                                        ;     Parent Loop BB143_46 Depth=2
                                        ;       Parent Loop BB143_49 Depth=3
                                        ; =>      This Loop Header: Depth=4
                                        ;           Child Loop BB143_53 Depth 5
	s_wait_alu 0xfffe
	v_mad_co_u64_u32 v[9:10], null, 0x60, s36, v[1:2]
	s_mov_b32 s37, s28
	s_mov_b32 s38, s35
	;; [unrolled: 1-line block ×3, first 2 shown]
	ds_load_b64 v[9:10], v9
.LBB143_53:                             ;   Parent Loop BB143_3 Depth=1
                                        ;     Parent Loop BB143_46 Depth=2
                                        ;       Parent Loop BB143_49 Depth=3
                                        ;         Parent Loop BB143_52 Depth=4
                                        ; =>        This Inner Loop Header: Depth=5
	scratch_load_b64 v[17:18], off, s37 offset:-4
	s_wait_alu 0xfffe
	v_mov_b32_e32 v11, s38
	s_add_co_i32 s39, s39, -1
	s_add_co_i32 s38, s38, -8
	ds_load_b64 v[19:20], v11
	s_wait_dscnt 0x0
	v_mul_f32_e32 v11, v20, v10
	v_mul_f32_e32 v20, v20, v9
	s_delay_alu instid0(VALU_DEP_1) | instskip(SKIP_1) | instid1(VALU_DEP_1)
	v_fmac_f32_e32 v20, v19, v10
	s_wait_loadcnt 0x0
	v_sub_f32_e32 v18, v18, v20
	v_fma_f32 v11, v19, v9, -v11
	s_delay_alu instid0(VALU_DEP_1)
	v_sub_f32_e32 v17, v17, v11
	scratch_store_b64 off, v[17:18], s37 offset:-4
	s_add_co_i32 s37, s37, 8
	s_wait_alu 0xfffe
	s_cmp_eq_u32 s39, 0
	s_cbranch_scc0 .LBB143_53
; %bb.54:                               ;   in Loop: Header=BB143_52 Depth=4
	s_add_co_i32 s36, s36, -1
	s_addk_co_i32 s35, 0xffa0
	s_wait_alu 0xfffe
	s_cmp_le_i32 s36, s3
	s_cbranch_scc0 .LBB143_52
.LBB143_55:                             ;   in Loop: Header=BB143_49 Depth=3
	s_mov_b32 s35, 0
	s_mov_b32 s36, s33
	s_branch .LBB143_57
.LBB143_56:                             ;   in Loop: Header=BB143_57 Depth=4
	s_wait_alu 0xfffe
	s_mul_i32 s38, s37, 0x68
	v_mad_co_u64_u32 v[19:20], null, 0x60, s37, v[1:2]
	s_wait_alu 0xfffe
	v_mov_b32_e32 v11, s38
	s_lshl_b32 s38, s35, 3
	s_add_co_i32 s35, s35, 1
	s_add_co_i32 s36, s36, -8
	s_wait_alu 0xfffe
	s_cmp_eq_u32 s35, s21
	ds_load_b64 v[17:18], v11
	s_wait_loadcnt_dscnt 0x0
	v_mul_f32_e32 v21, v18, v10
	v_mul_f32_e32 v11, v17, v10
	s_delay_alu instid0(VALU_DEP_2) | instskip(NEXT) | instid1(VALU_DEP_2)
	v_fma_f32 v10, v17, v9, -v21
	v_fmac_f32_e32 v11, v18, v9
	scratch_store_b64 off, v[10:11], s38
	ds_store_b64 v19, v[10:11]
	s_cbranch_scc1 .LBB143_48
.LBB143_57:                             ;   Parent Loop BB143_3 Depth=1
                                        ;     Parent Loop BB143_46 Depth=2
                                        ;       Parent Loop BB143_49 Depth=3
                                        ; =>      This Loop Header: Depth=4
                                        ;           Child Loop BB143_59 Depth 5
	s_wait_alu 0xfffe
	s_cmp_lg_u32 s35, 0
	s_cbranch_scc0 .LBB143_61
; %bb.58:                               ;   in Loop: Header=BB143_57 Depth=4
	s_lshl_b32 s38, s35, 3
	s_sub_co_i32 s37, s3, s35
	scratch_load_b64 v[9:10], off, s38
	s_mov_b32 s39, 0
	s_mov_b32 s40, s36
	;; [unrolled: 1-line block ×3, first 2 shown]
.LBB143_59:                             ;   Parent Loop BB143_3 Depth=1
                                        ;     Parent Loop BB143_46 Depth=2
                                        ;       Parent Loop BB143_49 Depth=3
                                        ;         Parent Loop BB143_57 Depth=4
                                        ; =>        This Inner Loop Header: Depth=5
	scratch_load_b64 v[17:18], off, s39
	s_wait_alu 0xfffe
	v_mov_b32_e32 v11, s40
	s_add_co_i32 s41, s41, -1
	s_addk_co_i32 s40, 0xffa0
	s_add_co_i32 s39, s39, 8
	s_wait_alu 0xfffe
	s_cmp_eq_u32 s41, 0
	ds_load_b64 v[19:20], v11
	s_wait_loadcnt_dscnt 0x0
	v_mul_f32_e32 v11, v20, v18
	v_mul_f32_e32 v18, v19, v18
	s_delay_alu instid0(VALU_DEP_2) | instskip(NEXT) | instid1(VALU_DEP_1)
	v_fma_f32 v11, v19, v17, -v11
	v_dual_fmac_f32 v18, v20, v17 :: v_dual_sub_f32 v9, v9, v11
	s_delay_alu instid0(VALU_DEP_1)
	v_sub_f32_e32 v10, v10, v18
	scratch_store_b64 off, v[9:10], s38
	s_cbranch_scc0 .LBB143_59
; %bb.60:                               ;   in Loop: Header=BB143_57 Depth=4
	s_branch .LBB143_56
.LBB143_61:                             ;   in Loop: Header=BB143_57 Depth=4
                                        ; implicit-def: $vgpr9
                                        ; implicit-def: $sgpr37
	s_cbranch_execz .LBB143_56
; %bb.62:                               ;   in Loop: Header=BB143_57 Depth=4
	scratch_load_b64 v[9:10], off, off
	s_mov_b32 s37, s3
	s_branch .LBB143_56
.LBB143_63:                             ;   in Loop: Header=BB143_3 Depth=1
	s_wait_storecnt 0x0
	; wave barrier
	s_wait_loadcnt_dscnt 0x0
	global_inv scope:SCOPE_SE
	s_and_saveexec_b32 s3, s27
	s_cbranch_execz .LBB143_2
; %bb.64:                               ;   in Loop: Header=BB143_3 Depth=1
	v_add_co_u32 v6, vcc_lo, v6, s6
	s_wait_alu 0xfffd
	v_add_co_ci_u32_e64 v7, null, s7, v7, vcc_lo
	v_mov_b32_e32 v8, v1
	s_delay_alu instid0(VALU_DEP_3) | instskip(SKIP_1) | instid1(VALU_DEP_3)
	v_add_co_u32 v6, vcc_lo, v6, s12
	s_wait_alu 0xfffd
	v_add_co_ci_u32_e64 v7, null, s13, v7, vcc_lo
	s_mov_b32 s14, s23
	v_add_co_u32 v6, vcc_lo, v6, v4
	s_wait_alu 0xfffd
	v_add_co_ci_u32_e64 v7, null, v7, v5, vcc_lo
.LBB143_65:                             ;   Parent Loop BB143_3 Depth=1
                                        ; =>  This Inner Loop Header: Depth=2
	ds_load_b64 v[9:10], v8
	v_add_nc_u32_e32 v8, 0x60, v8
	s_add_co_i32 s14, s14, -1
	s_delay_alu instid0(SALU_CYCLE_1)
	s_cmp_lg_u32 s14, 0
	s_wait_dscnt 0x0
	flat_store_b64 v[6:7], v[9:10]
	v_add_co_u32 v6, vcc_lo, v6, 8
	s_wait_alu 0xfffd
	v_add_co_ci_u32_e64 v7, null, 0, v7, vcc_lo
	s_cbranch_scc1 .LBB143_65
	s_branch .LBB143_2
.LBB143_66:
	s_endpgm
	.section	.rodata,"a",@progbits
	.p2align	6, 0x0
	.amdhsa_kernel _ZL38rocblas_trsm_small_left_device_sharedBILi12ELi12ELb0E19rocblas_complex_numIfES1_PKPKS1_PKPS1_Ev13rocblas_fill_18rocblas_operation_17rocblas_diagonal_iiT3_T4_lilT5_lili
		.amdhsa_group_segment_fixed_size 2304
		.amdhsa_private_segment_fixed_size 112
		.amdhsa_kernarg_size 360
		.amdhsa_user_sgpr_count 2
		.amdhsa_user_sgpr_dispatch_ptr 0
		.amdhsa_user_sgpr_queue_ptr 0
		.amdhsa_user_sgpr_kernarg_segment_ptr 1
		.amdhsa_user_sgpr_dispatch_id 0
		.amdhsa_user_sgpr_private_segment_size 0
		.amdhsa_wavefront_size32 1
		.amdhsa_uses_dynamic_stack 0
		.amdhsa_enable_private_segment 1
		.amdhsa_system_sgpr_workgroup_id_x 1
		.amdhsa_system_sgpr_workgroup_id_y 0
		.amdhsa_system_sgpr_workgroup_id_z 1
		.amdhsa_system_sgpr_workgroup_info 0
		.amdhsa_system_vgpr_workitem_id 0
		.amdhsa_next_free_vgpr 22
		.amdhsa_next_free_sgpr 43
		.amdhsa_reserve_vcc 1
		.amdhsa_float_round_mode_32 0
		.amdhsa_float_round_mode_16_64 0
		.amdhsa_float_denorm_mode_32 3
		.amdhsa_float_denorm_mode_16_64 3
		.amdhsa_fp16_overflow 0
		.amdhsa_workgroup_processor_mode 1
		.amdhsa_memory_ordered 1
		.amdhsa_forward_progress 1
		.amdhsa_inst_pref_size 25
		.amdhsa_round_robin_scheduling 0
		.amdhsa_exception_fp_ieee_invalid_op 0
		.amdhsa_exception_fp_denorm_src 0
		.amdhsa_exception_fp_ieee_div_zero 0
		.amdhsa_exception_fp_ieee_overflow 0
		.amdhsa_exception_fp_ieee_underflow 0
		.amdhsa_exception_fp_ieee_inexact 0
		.amdhsa_exception_int_div_zero 0
	.end_amdhsa_kernel
	.section	.text._ZL38rocblas_trsm_small_left_device_sharedBILi12ELi12ELb0E19rocblas_complex_numIfES1_PKPKS1_PKPS1_Ev13rocblas_fill_18rocblas_operation_17rocblas_diagonal_iiT3_T4_lilT5_lili,"axG",@progbits,_ZL38rocblas_trsm_small_left_device_sharedBILi12ELi12ELb0E19rocblas_complex_numIfES1_PKPKS1_PKPS1_Ev13rocblas_fill_18rocblas_operation_17rocblas_diagonal_iiT3_T4_lilT5_lili,comdat
.Lfunc_end143:
	.size	_ZL38rocblas_trsm_small_left_device_sharedBILi12ELi12ELb0E19rocblas_complex_numIfES1_PKPKS1_PKPS1_Ev13rocblas_fill_18rocblas_operation_17rocblas_diagonal_iiT3_T4_lilT5_lili, .Lfunc_end143-_ZL38rocblas_trsm_small_left_device_sharedBILi12ELi12ELb0E19rocblas_complex_numIfES1_PKPKS1_PKPS1_Ev13rocblas_fill_18rocblas_operation_17rocblas_diagonal_iiT3_T4_lilT5_lili
                                        ; -- End function
	.set _ZL38rocblas_trsm_small_left_device_sharedBILi12ELi12ELb0E19rocblas_complex_numIfES1_PKPKS1_PKPS1_Ev13rocblas_fill_18rocblas_operation_17rocblas_diagonal_iiT3_T4_lilT5_lili.num_vgpr, 22
	.set _ZL38rocblas_trsm_small_left_device_sharedBILi12ELi12ELb0E19rocblas_complex_numIfES1_PKPKS1_PKPS1_Ev13rocblas_fill_18rocblas_operation_17rocblas_diagonal_iiT3_T4_lilT5_lili.num_agpr, 0
	.set _ZL38rocblas_trsm_small_left_device_sharedBILi12ELi12ELb0E19rocblas_complex_numIfES1_PKPKS1_PKPS1_Ev13rocblas_fill_18rocblas_operation_17rocblas_diagonal_iiT3_T4_lilT5_lili.numbered_sgpr, 43
	.set _ZL38rocblas_trsm_small_left_device_sharedBILi12ELi12ELb0E19rocblas_complex_numIfES1_PKPKS1_PKPS1_Ev13rocblas_fill_18rocblas_operation_17rocblas_diagonal_iiT3_T4_lilT5_lili.num_named_barrier, 0
	.set _ZL38rocblas_trsm_small_left_device_sharedBILi12ELi12ELb0E19rocblas_complex_numIfES1_PKPKS1_PKPS1_Ev13rocblas_fill_18rocblas_operation_17rocblas_diagonal_iiT3_T4_lilT5_lili.private_seg_size, 112
	.set _ZL38rocblas_trsm_small_left_device_sharedBILi12ELi12ELb0E19rocblas_complex_numIfES1_PKPKS1_PKPS1_Ev13rocblas_fill_18rocblas_operation_17rocblas_diagonal_iiT3_T4_lilT5_lili.uses_vcc, 1
	.set _ZL38rocblas_trsm_small_left_device_sharedBILi12ELi12ELb0E19rocblas_complex_numIfES1_PKPKS1_PKPS1_Ev13rocblas_fill_18rocblas_operation_17rocblas_diagonal_iiT3_T4_lilT5_lili.uses_flat_scratch, 0
	.set _ZL38rocblas_trsm_small_left_device_sharedBILi12ELi12ELb0E19rocblas_complex_numIfES1_PKPKS1_PKPS1_Ev13rocblas_fill_18rocblas_operation_17rocblas_diagonal_iiT3_T4_lilT5_lili.has_dyn_sized_stack, 0
	.set _ZL38rocblas_trsm_small_left_device_sharedBILi12ELi12ELb0E19rocblas_complex_numIfES1_PKPKS1_PKPS1_Ev13rocblas_fill_18rocblas_operation_17rocblas_diagonal_iiT3_T4_lilT5_lili.has_recursion, 0
	.set _ZL38rocblas_trsm_small_left_device_sharedBILi12ELi12ELb0E19rocblas_complex_numIfES1_PKPKS1_PKPS1_Ev13rocblas_fill_18rocblas_operation_17rocblas_diagonal_iiT3_T4_lilT5_lili.has_indirect_call, 0
	.section	.AMDGPU.csdata,"",@progbits
; Kernel info:
; codeLenInByte = 3096
; TotalNumSgprs: 45
; NumVgprs: 22
; ScratchSize: 112
; MemoryBound: 0
; FloatMode: 240
; IeeeMode: 1
; LDSByteSize: 2304 bytes/workgroup (compile time only)
; SGPRBlocks: 0
; VGPRBlocks: 2
; NumSGPRsForWavesPerEU: 45
; NumVGPRsForWavesPerEU: 22
; Occupancy: 14
; WaveLimiterHint : 0
; COMPUTE_PGM_RSRC2:SCRATCH_EN: 1
; COMPUTE_PGM_RSRC2:USER_SGPR: 2
; COMPUTE_PGM_RSRC2:TRAP_HANDLER: 0
; COMPUTE_PGM_RSRC2:TGID_X_EN: 1
; COMPUTE_PGM_RSRC2:TGID_Y_EN: 0
; COMPUTE_PGM_RSRC2:TGID_Z_EN: 1
; COMPUTE_PGM_RSRC2:TIDIG_COMP_CNT: 0
	.section	.text._ZL30rocblas_trsm_small_left_deviceILi12ELi12ELb0E19rocblas_complex_numIfES1_PKPKS1_PKPS1_Ev13rocblas_fill_18rocblas_operation_17rocblas_diagonal_iiT3_T4_lilT5_lili,"axG",@progbits,_ZL30rocblas_trsm_small_left_deviceILi12ELi12ELb0E19rocblas_complex_numIfES1_PKPKS1_PKPS1_Ev13rocblas_fill_18rocblas_operation_17rocblas_diagonal_iiT3_T4_lilT5_lili,comdat
	.globl	_ZL30rocblas_trsm_small_left_deviceILi12ELi12ELb0E19rocblas_complex_numIfES1_PKPKS1_PKPS1_Ev13rocblas_fill_18rocblas_operation_17rocblas_diagonal_iiT3_T4_lilT5_lili ; -- Begin function _ZL30rocblas_trsm_small_left_deviceILi12ELi12ELb0E19rocblas_complex_numIfES1_PKPKS1_PKPS1_Ev13rocblas_fill_18rocblas_operation_17rocblas_diagonal_iiT3_T4_lilT5_lili
	.p2align	8
	.type	_ZL30rocblas_trsm_small_left_deviceILi12ELi12ELb0E19rocblas_complex_numIfES1_PKPKS1_PKPS1_Ev13rocblas_fill_18rocblas_operation_17rocblas_diagonal_iiT3_T4_lilT5_lili,@function
_ZL30rocblas_trsm_small_left_deviceILi12ELi12ELb0E19rocblas_complex_numIfES1_PKPKS1_PKPS1_Ev13rocblas_fill_18rocblas_operation_17rocblas_diagonal_iiT3_T4_lilT5_lili: ; @_ZL30rocblas_trsm_small_left_deviceILi12ELi12ELb0E19rocblas_complex_numIfES1_PKPKS1_PKPS1_Ev13rocblas_fill_18rocblas_operation_17rocblas_diagonal_iiT3_T4_lilT5_lili
; %bb.0:
	s_load_b32 s26, s[0:1], 0x60
	s_lshr_b32 s2, ttmp7, 16
	s_wait_kmcnt 0x0
	s_cmp_ge_u32 s2, s26
	s_cbranch_scc1 .LBB144_63
; %bb.1:
	s_clause 0x6
	s_load_b32 s18, s[0:1], 0x30
	s_load_b128 s[12:15], s[0:1], 0x4
	s_load_b32 s3, s[0:1], 0x50
	s_load_b32 s20, s[0:1], 0x68
	s_load_b128 s[4:7], s[0:1], 0x20
	s_load_b128 s[8:11], s[0:1], 0x40
	s_load_b64 s[16:17], s[0:1], 0x14
	v_mad_co_u64_u32 v[2:3], null, ttmp9, 12, v[0:1]
	s_mul_i32 s0, ttmp9, -12
	v_dual_mov_b32 v1, 0 :: v_dual_lshlrev_b32 v10, 3, v0
	v_mul_u32_u24_e32 v4, 0x60, v0
	s_mov_b32 s35, 0
                                        ; implicit-def: $sgpr36
                                        ; implicit-def: $sgpr37
	s_delay_alu instid0(VALU_DEP_1)
	v_add_nc_u32_e32 v15, v10, v4
	s_wait_kmcnt 0x0
	s_ashr_i32 s19, s18, 31
	s_cmp_lg_u32 s12, 0x71
	v_mad_co_i64_i32 v[2:3], null, s3, v2, 0
	s_cselect_b32 s27, -1, 0
	s_min_i32 s28, s14, 12
	s_add_co_i32 s20, s20, -1
	s_wait_alu 0xfffe
	s_add_co_i32 s1, s15, s0
	s_add_co_i32 s29, s28, -1
	s_cmp_ge_u32 ttmp9, s20
	v_lshlrev_b64_e32 v[2:3], 3, v[2:3]
	s_wait_alu 0xfffe
	s_cselect_b32 s1, s1, 12
	s_cmp_lg_u32 s13, 0x84
	v_cmp_gt_i32_e64 s0, s28, v0
	s_cselect_b32 s30, -1, 0
	s_cmp_lg_u32 s12, 0x6f
	s_wait_alu 0xfffe
	v_cmp_gt_i32_e64 s1, s1, v0
	s_cselect_b32 s31, -1, 0
	s_lshl_b64 s[6:7], s[6:7], 3
	s_mul_i32 s34, s28, 0x60
	v_add_co_u32 v0, s3, s6, v10
	s_wait_alu 0xf1ff
	v_add_co_ci_u32_e64 v11, null, s7, 0, s3
	s_lshl_b64 s[6:7], s[10:11], 3
	v_or_b32_e32 v12, 4, v0
	s_wait_alu 0xfffe
	v_add_co_u32 v5, vcc_lo, v2, s6
	s_delay_alu instid0(VALU_DEP_1) | instskip(SKIP_1) | instid1(VALU_DEP_3)
	v_add_co_ci_u32_e64 v13, null, s7, v3, vcc_lo
	v_mov_b32_e32 v0, 1.0
	v_or_b32_e32 v14, 4, v5
	s_or_b32 s33, 0, 4
	s_lshl_b64 s[10:11], s[18:19], 3
	s_addk_co_i32 s34, 0xffa0
	s_mov_b32 s13, 0
	s_branch .LBB144_4
.LBB144_2:                              ;   in Loop: Header=BB144_4 Depth=1
	s_add_co_i32 s2, s2, 0x10000
	s_wait_alu 0xfffe
	s_cmp_ge_u32 s2, s26
	s_cselect_b32 s12, -1, 0
	s_and_not1_b32 s37, s37, exec_lo
	s_or_not1_b32 s12, s12, exec_lo
.LBB144_3:                              ;   in Loop: Header=BB144_4 Depth=1
	s_wait_alu 0xfffe
	s_or_b32 exec_lo, exec_lo, s3
	s_delay_alu instid0(SALU_CYCLE_1)
	s_and_b32 s3, exec_lo, s12
	s_wait_alu 0xfffe
	s_or_b32 s35, s3, s35
	s_and_not1_b32 s3, s36, exec_lo
	s_and_b32 s12, s37, exec_lo
	s_wait_alu 0xfffe
	s_or_b32 s36, s3, s12
	s_and_not1_b32 exec_lo, exec_lo, s35
	s_cbranch_execz .LBB144_62
.LBB144_4:                              ; =>This Loop Header: Depth=1
                                        ;     Child Loop BB144_7 Depth 2
                                        ;     Child Loop BB144_23 Depth 2
                                        ;       Child Loop BB144_26 Depth 3
                                        ;         Child Loop BB144_27 Depth 4
                                        ;         Child Loop BB144_30 Depth 4
                                        ;           Child Loop BB144_31 Depth 5
                                        ;         Child Loop BB144_35 Depth 4
                                        ;           Child Loop BB144_37 Depth 5
                                        ;     Child Loop BB144_45 Depth 2
                                        ;       Child Loop BB144_48 Depth 3
                                        ;         Child Loop BB144_49 Depth 4
                                        ;         Child Loop BB144_51 Depth 4
                                        ;           Child Loop BB144_52 Depth 5
                                        ;         Child Loop BB144_56 Depth 4
                                        ;           Child Loop BB144_58 Depth 5
	s_mov_b32 s3, s13
	s_wait_alu 0xfffe
	s_lshl_b64 s[14:15], s[2:3], 3
	s_delay_alu instid0(SALU_CYCLE_1)
	s_add_nc_u64 s[18:19], s[8:9], s[14:15]
	global_load_b64 v[4:5], v1, s[18:19]
	s_and_saveexec_b32 s3, s0
	s_cbranch_execz .LBB144_19
; %bb.5:                                ;   in Loop: Header=BB144_4 Depth=1
	s_add_nc_u64 s[14:15], s[4:5], s[14:15]
	v_mov_b32_e32 v16, v10
	global_load_b64 v[6:7], v1, s[14:15]
	s_mov_b32 s12, s28
	s_wait_loadcnt 0x0
	v_add_co_u32 v6, vcc_lo, v6, v12
	s_wait_alu 0xfffd
	v_add_co_ci_u32_e64 v7, null, v7, v11, vcc_lo
	s_branch .LBB144_7
.LBB144_6:                              ;   in Loop: Header=BB144_7 Depth=2
	flat_load_b32 v8, v[6:7] offset:-4
	v_add_co_u32 v6, vcc_lo, v6, s10
	s_wait_alu 0xfffd
	v_add_co_ci_u32_e64 v7, null, s11, v7, vcc_lo
	s_add_co_i32 s12, s12, -1
	s_delay_alu instid0(SALU_CYCLE_1)
	s_cmp_eq_u32 s12, 0
	s_wait_loadcnt_dscnt 0x0
	ds_store_b64 v16, v[8:9]
	v_add_nc_u32_e32 v16, 0x60, v16
	s_cbranch_scc1 .LBB144_11
.LBB144_7:                              ;   Parent Loop BB144_4 Depth=1
                                        ; =>  This Inner Loop Header: Depth=2
	s_and_b32 vcc_lo, exec_lo, s27
	s_mov_b32 s14, -1
                                        ; implicit-def: $vgpr9
	s_wait_alu 0xfffe
	s_cbranch_vccz .LBB144_9
; %bb.8:                                ;   in Loop: Header=BB144_7 Depth=2
	flat_load_b32 v9, v[6:7]
	s_mov_b32 s14, 0
.LBB144_9:                              ;   in Loop: Header=BB144_7 Depth=2
	s_delay_alu instid0(SALU_CYCLE_1)
	s_and_not1_b32 vcc_lo, exec_lo, s14
	s_wait_alu 0xfffe
	s_cbranch_vccnz .LBB144_6
; %bb.10:                               ;   in Loop: Header=BB144_7 Depth=2
	flat_load_b32 v8, v[6:7]
	s_wait_loadcnt_dscnt 0x0
	v_xor_b32_e32 v9, 0x80000000, v8
	s_branch .LBB144_6
.LBB144_11:                             ;   in Loop: Header=BB144_4 Depth=1
	s_and_b32 vcc_lo, exec_lo, s30
	s_mov_b32 s12, -1
	s_wait_alu 0xfffe
	s_cbranch_vccz .LBB144_17
; %bb.12:                               ;   in Loop: Header=BB144_4 Depth=1
	ds_load_b64 v[6:7], v15
                                        ; implicit-def: $vgpr8
	s_wait_dscnt 0x0
	v_cmp_ngt_f32_e64 s12, |v6|, |v7|
	s_and_saveexec_b32 s14, s12
	s_delay_alu instid0(SALU_CYCLE_1)
	s_xor_b32 s12, exec_lo, s14
	s_cbranch_execz .LBB144_14
; %bb.13:                               ;   in Loop: Header=BB144_4 Depth=1
	v_div_scale_f32 v8, null, v7, v7, v6
	v_div_scale_f32 v17, vcc_lo, v6, v7, v6
	s_delay_alu instid0(VALU_DEP_2) | instskip(NEXT) | instid1(TRANS32_DEP_1)
	v_rcp_f32_e32 v9, v8
	v_fma_f32 v16, -v8, v9, 1.0
	s_delay_alu instid0(VALU_DEP_1) | instskip(NEXT) | instid1(VALU_DEP_1)
	v_fmac_f32_e32 v9, v16, v9
	v_mul_f32_e32 v16, v17, v9
	s_delay_alu instid0(VALU_DEP_1) | instskip(NEXT) | instid1(VALU_DEP_1)
	v_fma_f32 v18, -v8, v16, v17
	v_fmac_f32_e32 v16, v18, v9
	s_delay_alu instid0(VALU_DEP_1) | instskip(SKIP_1) | instid1(VALU_DEP_1)
	v_fma_f32 v8, -v8, v16, v17
	s_wait_alu 0xfffd
	v_div_fmas_f32 v8, v8, v9, v16
	s_delay_alu instid0(VALU_DEP_1) | instskip(NEXT) | instid1(VALU_DEP_1)
	v_div_fixup_f32 v8, v8, v7, v6
	v_fmac_f32_e32 v7, v6, v8
	s_delay_alu instid0(VALU_DEP_1) | instskip(SKIP_1) | instid1(VALU_DEP_2)
	v_div_scale_f32 v6, null, v7, v7, 1.0
	v_div_scale_f32 v17, vcc_lo, 1.0, v7, 1.0
	v_rcp_f32_e32 v9, v6
	s_delay_alu instid0(TRANS32_DEP_1) | instskip(NEXT) | instid1(VALU_DEP_1)
	v_fma_f32 v16, -v6, v9, 1.0
	v_fmac_f32_e32 v9, v16, v9
	s_delay_alu instid0(VALU_DEP_1) | instskip(NEXT) | instid1(VALU_DEP_1)
	v_mul_f32_e32 v16, v17, v9
	v_fma_f32 v18, -v6, v16, v17
	s_delay_alu instid0(VALU_DEP_1) | instskip(NEXT) | instid1(VALU_DEP_1)
	v_fmac_f32_e32 v16, v18, v9
	v_fma_f32 v6, -v6, v16, v17
	s_wait_alu 0xfffd
	s_delay_alu instid0(VALU_DEP_1) | instskip(SKIP_1) | instid1(VALU_DEP_2)
	v_div_fmas_f32 v6, v6, v9, v16
	v_add_f32_e32 v9, 0, v8
	v_div_fixup_f32 v6, v6, v7, 1.0
	v_fma_f32 v7, v8, 0, -1.0
	s_delay_alu instid0(VALU_DEP_2) | instskip(NEXT) | instid1(VALU_DEP_2)
	v_mul_f32_e32 v8, v9, v6
	v_mul_f32_e32 v9, v7, v6
                                        ; implicit-def: $vgpr6_vgpr7
.LBB144_14:                             ;   in Loop: Header=BB144_4 Depth=1
	s_and_not1_saveexec_b32 s12, s12
	s_cbranch_execz .LBB144_16
; %bb.15:                               ;   in Loop: Header=BB144_4 Depth=1
	v_div_scale_f32 v8, null, v6, v6, v7
	v_div_scale_f32 v17, vcc_lo, v7, v6, v7
	s_delay_alu instid0(VALU_DEP_2) | instskip(NEXT) | instid1(TRANS32_DEP_1)
	v_rcp_f32_e32 v9, v8
	v_fma_f32 v16, -v8, v9, 1.0
	s_delay_alu instid0(VALU_DEP_1) | instskip(NEXT) | instid1(VALU_DEP_1)
	v_fmac_f32_e32 v9, v16, v9
	v_mul_f32_e32 v16, v17, v9
	s_delay_alu instid0(VALU_DEP_1) | instskip(NEXT) | instid1(VALU_DEP_1)
	v_fma_f32 v18, -v8, v16, v17
	v_fmac_f32_e32 v16, v18, v9
	s_delay_alu instid0(VALU_DEP_1) | instskip(SKIP_1) | instid1(VALU_DEP_1)
	v_fma_f32 v8, -v8, v16, v17
	s_wait_alu 0xfffd
	v_div_fmas_f32 v8, v8, v9, v16
	s_delay_alu instid0(VALU_DEP_1) | instskip(NEXT) | instid1(VALU_DEP_1)
	v_div_fixup_f32 v9, v8, v6, v7
	v_fmac_f32_e32 v6, v7, v9
	s_delay_alu instid0(VALU_DEP_1) | instskip(SKIP_1) | instid1(VALU_DEP_2)
	v_div_scale_f32 v7, null, v6, v6, 1.0
	v_div_scale_f32 v17, vcc_lo, 1.0, v6, 1.0
	v_rcp_f32_e32 v8, v7
	s_delay_alu instid0(TRANS32_DEP_1) | instskip(NEXT) | instid1(VALU_DEP_1)
	v_fma_f32 v16, -v7, v8, 1.0
	v_fmac_f32_e32 v8, v16, v8
	s_delay_alu instid0(VALU_DEP_1) | instskip(NEXT) | instid1(VALU_DEP_1)
	v_mul_f32_e32 v16, v17, v8
	v_fma_f32 v18, -v7, v16, v17
	s_delay_alu instid0(VALU_DEP_1) | instskip(NEXT) | instid1(VALU_DEP_1)
	v_fmac_f32_e32 v16, v18, v8
	v_fma_f32 v7, -v7, v16, v17
	s_wait_alu 0xfffd
	s_delay_alu instid0(VALU_DEP_1) | instskip(SKIP_1) | instid1(VALU_DEP_2)
	v_div_fmas_f32 v7, v7, v8, v16
	v_fma_f32 v8, v9, 0, 1.0
	v_div_fixup_f32 v6, v7, v6, 1.0
	s_delay_alu instid0(VALU_DEP_1)
	v_mul_f32_e32 v8, v8, v6
	v_mul_f32_e64 v9, -v9, v6
.LBB144_16:                             ;   in Loop: Header=BB144_4 Depth=1
	s_or_b32 exec_lo, exec_lo, s12
	s_mov_b32 s12, 0
	ds_store_b64 v15, v[8:9]
.LBB144_17:                             ;   in Loop: Header=BB144_4 Depth=1
	s_and_b32 vcc_lo, exec_lo, s12
	s_wait_alu 0xfffe
	s_cbranch_vccz .LBB144_19
; %bb.18:                               ;   in Loop: Header=BB144_4 Depth=1
	ds_store_b64 v15, v[0:1]
.LBB144_19:                             ;   in Loop: Header=BB144_4 Depth=1
	s_wait_alu 0xfffe
	s_or_b32 exec_lo, exec_lo, s3
	s_mov_b32 s12, -1
	s_or_b32 s37, s37, exec_lo
	; wave barrier
	s_wait_loadcnt_dscnt 0x0
	global_inv scope:SCOPE_SE
	s_and_saveexec_b32 s3, s1
	s_cbranch_execz .LBB144_3
; %bb.20:                               ;   in Loop: Header=BB144_4 Depth=1
	v_add_co_u32 v6, vcc_lo, v4, s6
	s_wait_alu 0xfffd
	v_add_co_ci_u32_e64 v7, null, s7, v5, vcc_lo
	s_delay_alu instid0(VALU_DEP_2) | instskip(SKIP_1) | instid1(VALU_DEP_2)
	v_add_co_u32 v16, vcc_lo, v6, v2
	s_wait_alu 0xfffd
	v_add_co_ci_u32_e64 v17, null, v7, v3, vcc_lo
	s_and_not1_b32 vcc_lo, exec_lo, s31
	s_wait_alu 0xfffe
	s_cbranch_vccnz .LBB144_42
; %bb.21:                               ;   in Loop: Header=BB144_4 Depth=1
	v_add_co_u32 v18, vcc_lo, v4, v14
	s_wait_alu 0xfffd
	v_add_co_ci_u32_e64 v19, null, v5, v13, vcc_lo
	s_mov_b32 s18, 0
	s_mov_b32 s14, 0
	s_branch .LBB144_23
.LBB144_22:                             ;   in Loop: Header=BB144_23 Depth=2
	s_cmp_lt_i32 s14, s28
	s_cselect_b32 s12, -1, 0
	s_add_co_i32 s15, s18, 1
	s_cmp_lt_u32 s18, 2
	s_cselect_b32 s18, -1, 0
	s_wait_alu 0xfffe
	s_and_b32 s12, s12, s18
	s_mov_b32 s18, s15
	s_and_b32 vcc_lo, exec_lo, s12
	s_wait_alu 0xfffe
	s_cbranch_vccz .LBB144_41
.LBB144_23:                             ;   Parent Loop BB144_4 Depth=1
                                        ; =>  This Loop Header: Depth=2
                                        ;       Child Loop BB144_26 Depth 3
                                        ;         Child Loop BB144_27 Depth 4
                                        ;         Child Loop BB144_30 Depth 4
                                        ;           Child Loop BB144_31 Depth 5
                                        ;         Child Loop BB144_35 Depth 4
                                        ;           Child Loop BB144_37 Depth 5
	s_mov_b32 s19, s13
	s_getpc_b64 s[20:21]
	s_wait_alu 0xfffe
	s_sext_i32_i16 s21, s21
	s_add_co_u32 s20, s20, __const._ZL30rocblas_trsm_small_left_deviceILi12ELi12ELb0E19rocblas_complex_numIfES1_PKPKS1_PKPS1_Ev13rocblas_fill_18rocblas_operation_17rocblas_diagonal_iiT3_T4_lilT5_lili.step_sizes@rel32@lo+12
	s_wait_alu 0xfffe
	s_add_co_ci_u32 s21, s21, __const._ZL30rocblas_trsm_small_left_deviceILi12ELi12ELb0E19rocblas_complex_numIfES1_PKPKS1_PKPS1_Ev13rocblas_fill_18rocblas_operation_17rocblas_diagonal_iiT3_T4_lilT5_lili.step_sizes@rel32@hi+24
	s_lshl_b64 s[22:23], s[18:19], 2
	s_wait_alu 0xfffe
	s_add_nc_u64 s[20:21], s[20:21], s[22:23]
	s_load_b32 s20, s[20:21], 0x0
	s_wait_kmcnt 0x0
	s_add_co_i32 s19, s20, -1
	s_wait_alu 0xfffe
	s_add_co_i32 s12, s19, s14
	s_delay_alu instid0(SALU_CYCLE_1)
	s_cmp_ge_i32 s12, s28
	s_cbranch_scc1 .LBB144_22
; %bb.24:                               ;   in Loop: Header=BB144_23 Depth=2
	s_ashr_i32 s15, s14, 31
	s_ashr_i32 s21, s20, 31
	s_lshl_b64 s[22:23], s[14:15], 3
	s_max_i32 s38, s20, 1
	s_wait_alu 0xfffe
	v_add_co_u32 v6, vcc_lo, v18, s22
	s_wait_alu 0xfffd
	v_add_co_ci_u32_e64 v7, null, s23, v19, vcc_lo
	s_lshl_b64 s[22:23], s[20:21], 3
	s_mul_i32 s15, s14, 0x60
	s_mul_i32 s21, s20, 0x60
	;; [unrolled: 1-line block ×4, first 2 shown]
	s_branch .LBB144_26
.LBB144_25:                             ;   in Loop: Header=BB144_26 Depth=3
	v_add_co_u32 v6, vcc_lo, v6, s22
	s_add_co_i32 s14, s14, s20
	s_wait_alu 0xfffd
	v_add_co_ci_u32_e64 v7, null, s23, v7, vcc_lo
	s_add_co_i32 s12, s19, s14
	s_add_co_i32 s15, s15, s21
	;; [unrolled: 1-line block ×3, first 2 shown]
	s_cmp_ge_i32 s12, s28
	s_cbranch_scc1 .LBB144_22
.LBB144_26:                             ;   Parent Loop BB144_4 Depth=1
                                        ;     Parent Loop BB144_23 Depth=2
                                        ; =>    This Loop Header: Depth=3
                                        ;         Child Loop BB144_27 Depth 4
                                        ;         Child Loop BB144_30 Depth 4
                                        ;           Child Loop BB144_31 Depth 5
                                        ;         Child Loop BB144_35 Depth 4
                                        ;           Child Loop BB144_37 Depth 5
	v_dual_mov_b32 v9, v7 :: v_dual_mov_b32 v8, v6
	s_mov_b32 s12, 4
	s_mov_b32 s24, s38
.LBB144_27:                             ;   Parent Loop BB144_4 Depth=1
                                        ;     Parent Loop BB144_23 Depth=2
                                        ;       Parent Loop BB144_26 Depth=3
                                        ; =>      This Inner Loop Header: Depth=4
	flat_load_b64 v[20:21], v[8:9] offset:-4
	v_add_co_u32 v8, vcc_lo, v8, 8
	s_wait_alu 0xfffd
	v_add_co_ci_u32_e64 v9, null, 0, v9, vcc_lo
	s_wait_alu 0xfffe
	s_add_co_i32 s24, s24, -1
	s_mov_b32 s25, s12
	s_add_co_i32 s12, s12, 8
	s_wait_alu 0xfffe
	s_cmp_eq_u32 s24, 0
	s_wait_loadcnt_dscnt 0x0
	v_mul_f32_e32 v22, s16, v21
	s_delay_alu instid0(VALU_DEP_1) | instskip(NEXT) | instid1(VALU_DEP_1)
	v_dual_mul_f32 v23, s17, v21 :: v_dual_fmac_f32 v22, s17, v20
	v_fma_f32 v21, v20, s16, -v23
	scratch_store_b64 off, v[21:22], s25 offset:-4
	s_cbranch_scc0 .LBB144_27
; %bb.28:                               ;   in Loop: Header=BB144_26 Depth=3
	s_cmp_lt_i32 s14, 1
	s_cbranch_scc1 .LBB144_33
; %bb.29:                               ;   in Loop: Header=BB144_26 Depth=3
	s_mov_b32 s12, 0
	s_mov_b32 s24, s15
.LBB144_30:                             ;   Parent Loop BB144_4 Depth=1
                                        ;     Parent Loop BB144_23 Depth=2
                                        ;       Parent Loop BB144_26 Depth=3
                                        ; =>      This Loop Header: Depth=4
                                        ;           Child Loop BB144_31 Depth 5
	s_lshl_b64 s[42:43], s[12:13], 3
	s_mov_b32 s25, s33
	s_wait_alu 0xfffe
	v_add_co_u32 v8, vcc_lo, v16, s42
	s_wait_alu 0xfffd
	v_add_co_ci_u32_e64 v9, null, s43, v17, vcc_lo
	s_mov_b32 s41, s24
	s_mov_b32 s42, s38
	flat_load_b64 v[8:9], v[8:9]
.LBB144_31:                             ;   Parent Loop BB144_4 Depth=1
                                        ;     Parent Loop BB144_23 Depth=2
                                        ;       Parent Loop BB144_26 Depth=3
                                        ;         Parent Loop BB144_30 Depth=4
                                        ; =>        This Inner Loop Header: Depth=5
	scratch_load_b64 v[20:21], off, s25 offset:-4
	s_wait_alu 0xfffe
	v_mov_b32_e32 v22, s41
	s_add_co_i32 s42, s42, -1
	s_addk_co_i32 s41, 0x60
	ds_load_b64 v[22:23], v22
	s_wait_loadcnt_dscnt 0x100
	v_mul_f32_e32 v24, v23, v9
	v_mul_f32_e32 v23, v23, v8
	s_delay_alu instid0(VALU_DEP_1) | instskip(SKIP_1) | instid1(VALU_DEP_1)
	v_fmac_f32_e32 v23, v22, v9
	s_wait_loadcnt 0x0
	v_sub_f32_e32 v21, v21, v23
	v_fma_f32 v24, v22, v8, -v24
	s_delay_alu instid0(VALU_DEP_1)
	v_sub_f32_e32 v20, v20, v24
	scratch_store_b64 off, v[20:21], s25 offset:-4
	s_add_co_i32 s25, s25, 8
	s_wait_alu 0xfffe
	s_cmp_eq_u32 s42, 0
	s_cbranch_scc0 .LBB144_31
; %bb.32:                               ;   in Loop: Header=BB144_30 Depth=4
	s_add_co_i32 s12, s12, 1
	s_add_co_i32 s24, s24, 8
	s_cmp_eq_u32 s12, s14
	s_cbranch_scc0 .LBB144_30
.LBB144_33:                             ;   in Loop: Header=BB144_26 Depth=3
	s_mov_b32 s12, 0
	s_mov_b32 s41, s39
	s_branch .LBB144_35
.LBB144_34:                             ;   in Loop: Header=BB144_35 Depth=4
	s_wait_alu 0xfffe
	s_mul_i32 s25, s24, 0x68
	s_lshl_b32 s42, s12, 3
	s_wait_alu 0xfffe
	v_mov_b32_e32 v20, s25
	s_ashr_i32 s25, s24, 31
	s_add_co_i32 s12, s12, 1
	s_wait_alu 0xfffe
	s_lshl_b64 s[24:25], s[24:25], 3
	s_addk_co_i32 s41, 0x60
	ds_load_b64 v[20:21], v20
	s_cmp_eq_u32 s12, s38
	s_wait_loadcnt_dscnt 0x0
	v_mul_f32_e32 v22, v21, v9
	v_mul_f32_e32 v23, v20, v9
	s_delay_alu instid0(VALU_DEP_2) | instskip(NEXT) | instid1(VALU_DEP_2)
	v_fma_f32 v22, v20, v8, -v22
	v_fmac_f32_e32 v23, v21, v8
	s_wait_alu 0xfffe
	v_add_co_u32 v8, vcc_lo, v16, s24
	s_wait_alu 0xfffd
	v_add_co_ci_u32_e64 v9, null, s25, v17, vcc_lo
	scratch_store_b64 off, v[22:23], s42
	flat_store_b64 v[8:9], v[22:23]
	s_cbranch_scc1 .LBB144_25
.LBB144_35:                             ;   Parent Loop BB144_4 Depth=1
                                        ;     Parent Loop BB144_23 Depth=2
                                        ;       Parent Loop BB144_26 Depth=3
                                        ; =>      This Loop Header: Depth=4
                                        ;           Child Loop BB144_37 Depth 5
	s_cmp_lg_u32 s12, 0
	s_cbranch_scc0 .LBB144_39
; %bb.36:                               ;   in Loop: Header=BB144_35 Depth=4
	s_lshl_b32 s25, s12, 3
	s_add_co_i32 s24, s12, s14
	scratch_load_b64 v[8:9], off, s25
	s_mov_b32 s42, 0
	s_wait_alu 0xfffe
	s_mov_b32 s43, s41
	s_mov_b32 s44, s12
.LBB144_37:                             ;   Parent Loop BB144_4 Depth=1
                                        ;     Parent Loop BB144_23 Depth=2
                                        ;       Parent Loop BB144_26 Depth=3
                                        ;         Parent Loop BB144_35 Depth=4
                                        ; =>        This Inner Loop Header: Depth=5
	scratch_load_b64 v[20:21], off, s42
	s_wait_alu 0xfffe
	v_mov_b32_e32 v22, s43
	s_add_co_i32 s44, s44, -1
	s_add_co_i32 s42, s42, 8
	s_add_co_i32 s43, s43, 8
	s_cmp_eq_u32 s44, 0
	ds_load_b64 v[22:23], v22
	s_wait_loadcnt_dscnt 0x0
	v_mul_f32_e32 v24, v23, v21
	v_mul_f32_e32 v21, v22, v21
	s_delay_alu instid0(VALU_DEP_2) | instskip(NEXT) | instid1(VALU_DEP_1)
	v_fma_f32 v22, v22, v20, -v24
	v_dual_sub_f32 v8, v8, v22 :: v_dual_fmac_f32 v21, v23, v20
	s_delay_alu instid0(VALU_DEP_1)
	v_sub_f32_e32 v9, v9, v21
	scratch_store_b64 off, v[8:9], s25
	s_cbranch_scc0 .LBB144_37
; %bb.38:                               ;   in Loop: Header=BB144_35 Depth=4
	s_branch .LBB144_34
.LBB144_39:                             ;   in Loop: Header=BB144_35 Depth=4
                                        ; implicit-def: $vgpr8
                                        ; implicit-def: $sgpr24
	s_cbranch_execz .LBB144_34
; %bb.40:                               ;   in Loop: Header=BB144_35 Depth=4
	scratch_load_b64 v[8:9], off, off
	s_mov_b32 s24, s14
	s_branch .LBB144_34
.LBB144_41:                             ;   in Loop: Header=BB144_4 Depth=1
	s_mov_b32 s12, 0
.LBB144_42:                             ;   in Loop: Header=BB144_4 Depth=1
	s_delay_alu instid0(SALU_CYCLE_1)
	s_and_b32 vcc_lo, exec_lo, s12
	s_wait_alu 0xfffe
	s_cbranch_vccz .LBB144_2
; %bb.43:                               ;   in Loop: Header=BB144_4 Depth=1
	v_add_co_u32 v6, vcc_lo, v4, v14
	s_wait_alu 0xfffd
	v_add_co_ci_u32_e64 v7, null, v5, v13, vcc_lo
	s_mov_b32 s12, 0
	s_mov_b32 s14, s29
	s_branch .LBB144_45
.LBB144_44:                             ;   in Loop: Header=BB144_45 Depth=2
	s_cmp_gt_i32 s14, -1
	s_cselect_b32 s15, -1, 0
	s_add_co_i32 s18, s12, 1
	s_cmp_lt_u32 s12, 2
	s_cselect_b32 s12, -1, 0
	s_delay_alu instid0(SALU_CYCLE_1) | instskip(NEXT) | instid1(SALU_CYCLE_1)
	s_and_b32 s12, s15, s12
	s_and_not1_b32 vcc_lo, exec_lo, s12
	s_wait_alu 0xfffe
	s_mov_b32 s12, s18
	s_cbranch_vccnz .LBB144_2
.LBB144_45:                             ;   Parent Loop BB144_4 Depth=1
                                        ; =>  This Loop Header: Depth=2
                                        ;       Child Loop BB144_48 Depth 3
                                        ;         Child Loop BB144_49 Depth 4
                                        ;         Child Loop BB144_51 Depth 4
                                        ;           Child Loop BB144_52 Depth 5
                                        ;         Child Loop BB144_56 Depth 4
                                        ;           Child Loop BB144_58 Depth 5
	s_getpc_b64 s[18:19]
	s_wait_alu 0xfffe
	s_sext_i32_i16 s19, s19
	s_add_co_u32 s18, s18, __const._ZL30rocblas_trsm_small_left_deviceILi12ELi12ELb0E19rocblas_complex_numIfES1_PKPKS1_PKPS1_Ev13rocblas_fill_18rocblas_operation_17rocblas_diagonal_iiT3_T4_lilT5_lili.step_sizes@rel32@lo+12
	s_wait_alu 0xfffe
	s_add_co_ci_u32 s19, s19, __const._ZL30rocblas_trsm_small_left_deviceILi12ELi12ELb0E19rocblas_complex_numIfES1_PKPKS1_PKPS1_Ev13rocblas_fill_18rocblas_operation_17rocblas_diagonal_iiT3_T4_lilT5_lili.step_sizes@rel32@hi+24
	s_lshl_b64 s[20:21], s[12:13], 2
	s_wait_alu 0xfffe
	s_add_nc_u64 s[18:19], s[18:19], s[20:21]
	s_load_b32 s22, s[18:19], 0x0
	s_wait_kmcnt 0x0
	s_add_co_i32 s23, s22, -1
	s_wait_alu 0xfffe
	s_cmp_lt_i32 s14, s23
	s_cbranch_scc1 .LBB144_44
; %bb.46:                               ;   in Loop: Header=BB144_45 Depth=2
	s_lshl_b32 s15, s14, 3
	s_lshl_b32 s18, s22, 3
	s_max_i32 s24, s22, 1
	s_add_co_i32 s25, s34, s15
	s_wait_alu 0xfffe
	s_sub_co_i32 s38, 0, s18
	s_mul_i32 s39, s14, 0x68
	s_mul_i32 s40, s22, 0xffffff98
	s_branch .LBB144_48
.LBB144_47:                             ;   in Loop: Header=BB144_48 Depth=3
	s_sub_co_i32 s14, s14, s22
	s_add_co_i32 s25, s25, s38
	s_add_co_i32 s39, s39, s40
	s_cmp_lt_i32 s14, s23
	s_cbranch_scc1 .LBB144_44
.LBB144_48:                             ;   Parent Loop BB144_4 Depth=1
                                        ;     Parent Loop BB144_45 Depth=2
                                        ; =>    This Loop Header: Depth=3
                                        ;         Child Loop BB144_49 Depth 4
                                        ;         Child Loop BB144_51 Depth 4
                                        ;           Child Loop BB144_52 Depth 5
                                        ;         Child Loop BB144_56 Depth 4
                                        ;           Child Loop BB144_58 Depth 5
	s_ashr_i32 s15, s14, 31
	s_delay_alu instid0(SALU_CYCLE_1)
	s_lshl_b64 s[18:19], s[14:15], 3
	s_wait_alu 0xfffe
	v_add_co_u32 v4, vcc_lo, v6, s18
	s_wait_alu 0xfffd
	v_add_co_ci_u32_e64 v5, null, s19, v7, vcc_lo
	s_mov_b32 s18, 4
	s_mov_b32 s19, s24
.LBB144_49:                             ;   Parent Loop BB144_4 Depth=1
                                        ;     Parent Loop BB144_45 Depth=2
                                        ;       Parent Loop BB144_48 Depth=3
                                        ; =>      This Inner Loop Header: Depth=4
	flat_load_b64 v[8:9], v[4:5] offset:-4
	v_add_co_u32 v4, vcc_lo, v4, -8
	s_wait_alu 0xfffd
	v_add_co_ci_u32_e64 v5, null, -1, v5, vcc_lo
	s_wait_alu 0xfffe
	s_add_co_i32 s19, s19, -1
	s_mov_b32 s20, s18
	s_add_co_i32 s18, s18, 8
	s_wait_alu 0xfffe
	s_cmp_eq_u32 s19, 0
	s_wait_loadcnt_dscnt 0x0
	v_mul_f32_e32 v19, s16, v9
	s_delay_alu instid0(VALU_DEP_1) | instskip(NEXT) | instid1(VALU_DEP_1)
	v_dual_mul_f32 v18, s17, v9 :: v_dual_fmac_f32 v19, s17, v8
	v_fma_f32 v18, v8, s16, -v18
	scratch_store_b64 off, v[18:19], s20 offset:-4
	s_cbranch_scc0 .LBB144_49
; %bb.50:                               ;   in Loop: Header=BB144_48 Depth=3
	s_cmp_le_i32 s29, s14
	s_mov_b32 s20, s25
	s_mov_b32 s18, s29
	s_cbranch_scc1 .LBB144_54
.LBB144_51:                             ;   Parent Loop BB144_4 Depth=1
                                        ;     Parent Loop BB144_45 Depth=2
                                        ;       Parent Loop BB144_48 Depth=3
                                        ; =>      This Loop Header: Depth=4
                                        ;           Child Loop BB144_52 Depth 5
	s_wait_alu 0xfffe
	s_ashr_i32 s19, s18, 31
	s_mov_b32 s21, s20
	s_wait_alu 0xfffe
	s_lshl_b64 s[42:43], s[18:19], 3
	s_mov_b32 s19, s33
	s_wait_alu 0xfffe
	v_add_co_u32 v4, vcc_lo, v16, s42
	s_wait_alu 0xfffd
	v_add_co_ci_u32_e64 v5, null, s43, v17, vcc_lo
	s_mov_b32 s41, s24
	flat_load_b64 v[4:5], v[4:5]
.LBB144_52:                             ;   Parent Loop BB144_4 Depth=1
                                        ;     Parent Loop BB144_45 Depth=2
                                        ;       Parent Loop BB144_48 Depth=3
                                        ;         Parent Loop BB144_51 Depth=4
                                        ; =>        This Inner Loop Header: Depth=5
	scratch_load_b64 v[8:9], off, s19 offset:-4
	v_mov_b32_e32 v18, s21
	s_wait_alu 0xfffe
	s_add_co_i32 s41, s41, -1
	s_add_co_i32 s21, s21, -8
	ds_load_b64 v[18:19], v18
	s_wait_loadcnt_dscnt 0x100
	v_mul_f32_e32 v20, v19, v5
	v_mul_f32_e32 v19, v19, v4
	s_delay_alu instid0(VALU_DEP_1) | instskip(SKIP_1) | instid1(VALU_DEP_1)
	v_fmac_f32_e32 v19, v18, v5
	s_wait_loadcnt 0x0
	v_sub_f32_e32 v9, v9, v19
	v_fma_f32 v20, v18, v4, -v20
	s_delay_alu instid0(VALU_DEP_1)
	v_sub_f32_e32 v8, v8, v20
	scratch_store_b64 off, v[8:9], s19 offset:-4
	s_add_co_i32 s19, s19, 8
	s_wait_alu 0xfffe
	s_cmp_eq_u32 s41, 0
	s_cbranch_scc0 .LBB144_52
; %bb.53:                               ;   in Loop: Header=BB144_51 Depth=4
	s_add_co_i32 s18, s18, -1
	s_addk_co_i32 s20, 0xffa0
	s_wait_alu 0xfffe
	s_cmp_le_i32 s18, s14
	s_cbranch_scc0 .LBB144_51
.LBB144_54:                             ;   in Loop: Header=BB144_48 Depth=3
	s_mov_b32 s41, 0
	s_mov_b32 s42, s39
	s_branch .LBB144_56
.LBB144_55:                             ;   in Loop: Header=BB144_56 Depth=4
	s_wait_alu 0xfffe
	s_mulk_i32 s20, 0x68
	s_lshl_b64 s[18:19], s[18:19], 3
	s_wait_alu 0xfffe
	v_mov_b32_e32 v8, s20
	s_lshl_b32 s20, s41, 3
	s_add_co_i32 s41, s41, 1
	s_add_co_i32 s42, s42, -8
	s_wait_alu 0xfffe
	s_cmp_eq_u32 s41, s24
	ds_load_b64 v[8:9], v8
	s_wait_loadcnt_dscnt 0x0
	v_mul_f32_e32 v18, v9, v5
	v_mul_f32_e32 v19, v8, v5
	s_delay_alu instid0(VALU_DEP_2) | instskip(NEXT) | instid1(VALU_DEP_2)
	v_fma_f32 v18, v8, v4, -v18
	v_fmac_f32_e32 v19, v9, v4
	v_add_co_u32 v4, vcc_lo, v16, s18
	s_wait_alu 0xfffd
	v_add_co_ci_u32_e64 v5, null, s19, v17, vcc_lo
	scratch_store_b64 off, v[18:19], s20
	flat_store_b64 v[4:5], v[18:19]
	s_cbranch_scc1 .LBB144_47
.LBB144_56:                             ;   Parent Loop BB144_4 Depth=1
                                        ;     Parent Loop BB144_45 Depth=2
                                        ;       Parent Loop BB144_48 Depth=3
                                        ; =>      This Loop Header: Depth=4
                                        ;           Child Loop BB144_58 Depth 5
	s_wait_alu 0xfffe
	s_cmp_lg_u32 s41, 0
	s_cbranch_scc0 .LBB144_60
; %bb.57:                               ;   in Loop: Header=BB144_56 Depth=4
	s_lshl_b32 s18, s41, 3
	s_mov_b32 s19, 0
	scratch_load_b64 v[4:5], off, s18
	s_mov_b32 s20, s42
	s_mov_b32 s21, s41
.LBB144_58:                             ;   Parent Loop BB144_4 Depth=1
                                        ;     Parent Loop BB144_45 Depth=2
                                        ;       Parent Loop BB144_48 Depth=3
                                        ;         Parent Loop BB144_56 Depth=4
                                        ; =>        This Inner Loop Header: Depth=5
	scratch_load_b64 v[8:9], off, s19
	s_wait_alu 0xfffe
	v_mov_b32_e32 v18, s20
	s_add_co_i32 s21, s21, -1
	s_addk_co_i32 s20, 0xffa0
	s_add_co_i32 s19, s19, 8
	s_wait_alu 0xfffe
	s_cmp_eq_u32 s21, 0
	ds_load_b64 v[18:19], v18
	s_wait_loadcnt_dscnt 0x0
	v_mul_f32_e32 v20, v19, v9
	v_mul_f32_e32 v9, v18, v9
	s_delay_alu instid0(VALU_DEP_2) | instskip(NEXT) | instid1(VALU_DEP_1)
	v_fma_f32 v18, v18, v8, -v20
	v_dual_sub_f32 v4, v4, v18 :: v_dual_fmac_f32 v9, v19, v8
	s_delay_alu instid0(VALU_DEP_1)
	v_sub_f32_e32 v5, v5, v9
	scratch_store_b64 off, v[4:5], s18
	s_cbranch_scc0 .LBB144_58
; %bb.59:                               ;   in Loop: Header=BB144_56 Depth=4
	s_sub_co_i32 s20, s14, s41
	s_wait_alu 0xfffe
	s_ashr_i32 s21, s20, 31
	s_wait_alu 0xfffe
	s_mov_b64 s[18:19], s[20:21]
	s_branch .LBB144_55
.LBB144_60:                             ;   in Loop: Header=BB144_56 Depth=4
                                        ; implicit-def: $vgpr4
                                        ; implicit-def: $sgpr20
                                        ; implicit-def: $sgpr18_sgpr19
	s_cbranch_execz .LBB144_55
; %bb.61:                               ;   in Loop: Header=BB144_56 Depth=4
	scratch_load_b64 v[4:5], off, off
	s_mov_b64 s[18:19], s[14:15]
	s_mov_b32 s20, s14
	s_branch .LBB144_55
.LBB144_62:
	s_or_b32 exec_lo, exec_lo, s35
	s_and_saveexec_b32 s0, s36
	s_wait_alu 0xfffe
	s_xor_b32 s0, exec_lo, s0
.LBB144_63:
	s_endpgm
	.section	.rodata,"a",@progbits
	.p2align	6, 0x0
	.amdhsa_kernel _ZL30rocblas_trsm_small_left_deviceILi12ELi12ELb0E19rocblas_complex_numIfES1_PKPKS1_PKPS1_Ev13rocblas_fill_18rocblas_operation_17rocblas_diagonal_iiT3_T4_lilT5_lili
		.amdhsa_group_segment_fixed_size 1152
		.amdhsa_private_segment_fixed_size 112
		.amdhsa_kernarg_size 360
		.amdhsa_user_sgpr_count 2
		.amdhsa_user_sgpr_dispatch_ptr 0
		.amdhsa_user_sgpr_queue_ptr 0
		.amdhsa_user_sgpr_kernarg_segment_ptr 1
		.amdhsa_user_sgpr_dispatch_id 0
		.amdhsa_user_sgpr_private_segment_size 0
		.amdhsa_wavefront_size32 1
		.amdhsa_uses_dynamic_stack 0
		.amdhsa_enable_private_segment 1
		.amdhsa_system_sgpr_workgroup_id_x 1
		.amdhsa_system_sgpr_workgroup_id_y 0
		.amdhsa_system_sgpr_workgroup_id_z 1
		.amdhsa_system_sgpr_workgroup_info 0
		.amdhsa_system_vgpr_workitem_id 0
		.amdhsa_next_free_vgpr 25
		.amdhsa_next_free_sgpr 45
		.amdhsa_reserve_vcc 1
		.amdhsa_float_round_mode_32 0
		.amdhsa_float_round_mode_16_64 0
		.amdhsa_float_denorm_mode_32 3
		.amdhsa_float_denorm_mode_16_64 3
		.amdhsa_fp16_overflow 0
		.amdhsa_workgroup_processor_mode 1
		.amdhsa_memory_ordered 1
		.amdhsa_forward_progress 1
		.amdhsa_inst_pref_size 25
		.amdhsa_round_robin_scheduling 0
		.amdhsa_exception_fp_ieee_invalid_op 0
		.amdhsa_exception_fp_denorm_src 0
		.amdhsa_exception_fp_ieee_div_zero 0
		.amdhsa_exception_fp_ieee_overflow 0
		.amdhsa_exception_fp_ieee_underflow 0
		.amdhsa_exception_fp_ieee_inexact 0
		.amdhsa_exception_int_div_zero 0
	.end_amdhsa_kernel
	.section	.text._ZL30rocblas_trsm_small_left_deviceILi12ELi12ELb0E19rocblas_complex_numIfES1_PKPKS1_PKPS1_Ev13rocblas_fill_18rocblas_operation_17rocblas_diagonal_iiT3_T4_lilT5_lili,"axG",@progbits,_ZL30rocblas_trsm_small_left_deviceILi12ELi12ELb0E19rocblas_complex_numIfES1_PKPKS1_PKPS1_Ev13rocblas_fill_18rocblas_operation_17rocblas_diagonal_iiT3_T4_lilT5_lili,comdat
.Lfunc_end144:
	.size	_ZL30rocblas_trsm_small_left_deviceILi12ELi12ELb0E19rocblas_complex_numIfES1_PKPKS1_PKPS1_Ev13rocblas_fill_18rocblas_operation_17rocblas_diagonal_iiT3_T4_lilT5_lili, .Lfunc_end144-_ZL30rocblas_trsm_small_left_deviceILi12ELi12ELb0E19rocblas_complex_numIfES1_PKPKS1_PKPS1_Ev13rocblas_fill_18rocblas_operation_17rocblas_diagonal_iiT3_T4_lilT5_lili
                                        ; -- End function
	.set _ZL30rocblas_trsm_small_left_deviceILi12ELi12ELb0E19rocblas_complex_numIfES1_PKPKS1_PKPS1_Ev13rocblas_fill_18rocblas_operation_17rocblas_diagonal_iiT3_T4_lilT5_lili.num_vgpr, 25
	.set _ZL30rocblas_trsm_small_left_deviceILi12ELi12ELb0E19rocblas_complex_numIfES1_PKPKS1_PKPS1_Ev13rocblas_fill_18rocblas_operation_17rocblas_diagonal_iiT3_T4_lilT5_lili.num_agpr, 0
	.set _ZL30rocblas_trsm_small_left_deviceILi12ELi12ELb0E19rocblas_complex_numIfES1_PKPKS1_PKPS1_Ev13rocblas_fill_18rocblas_operation_17rocblas_diagonal_iiT3_T4_lilT5_lili.numbered_sgpr, 45
	.set _ZL30rocblas_trsm_small_left_deviceILi12ELi12ELb0E19rocblas_complex_numIfES1_PKPKS1_PKPS1_Ev13rocblas_fill_18rocblas_operation_17rocblas_diagonal_iiT3_T4_lilT5_lili.num_named_barrier, 0
	.set _ZL30rocblas_trsm_small_left_deviceILi12ELi12ELb0E19rocblas_complex_numIfES1_PKPKS1_PKPS1_Ev13rocblas_fill_18rocblas_operation_17rocblas_diagonal_iiT3_T4_lilT5_lili.private_seg_size, 112
	.set _ZL30rocblas_trsm_small_left_deviceILi12ELi12ELb0E19rocblas_complex_numIfES1_PKPKS1_PKPS1_Ev13rocblas_fill_18rocblas_operation_17rocblas_diagonal_iiT3_T4_lilT5_lili.uses_vcc, 1
	.set _ZL30rocblas_trsm_small_left_deviceILi12ELi12ELb0E19rocblas_complex_numIfES1_PKPKS1_PKPS1_Ev13rocblas_fill_18rocblas_operation_17rocblas_diagonal_iiT3_T4_lilT5_lili.uses_flat_scratch, 0
	.set _ZL30rocblas_trsm_small_left_deviceILi12ELi12ELb0E19rocblas_complex_numIfES1_PKPKS1_PKPS1_Ev13rocblas_fill_18rocblas_operation_17rocblas_diagonal_iiT3_T4_lilT5_lili.has_dyn_sized_stack, 0
	.set _ZL30rocblas_trsm_small_left_deviceILi12ELi12ELb0E19rocblas_complex_numIfES1_PKPKS1_PKPS1_Ev13rocblas_fill_18rocblas_operation_17rocblas_diagonal_iiT3_T4_lilT5_lili.has_recursion, 0
	.set _ZL30rocblas_trsm_small_left_deviceILi12ELi12ELb0E19rocblas_complex_numIfES1_PKPKS1_PKPS1_Ev13rocblas_fill_18rocblas_operation_17rocblas_diagonal_iiT3_T4_lilT5_lili.has_indirect_call, 0
	.section	.AMDGPU.csdata,"",@progbits
; Kernel info:
; codeLenInByte = 3116
; TotalNumSgprs: 47
; NumVgprs: 25
; ScratchSize: 112
; MemoryBound: 0
; FloatMode: 240
; IeeeMode: 1
; LDSByteSize: 1152 bytes/workgroup (compile time only)
; SGPRBlocks: 0
; VGPRBlocks: 3
; NumSGPRsForWavesPerEU: 47
; NumVGPRsForWavesPerEU: 25
; Occupancy: 16
; WaveLimiterHint : 1
; COMPUTE_PGM_RSRC2:SCRATCH_EN: 1
; COMPUTE_PGM_RSRC2:USER_SGPR: 2
; COMPUTE_PGM_RSRC2:TRAP_HANDLER: 0
; COMPUTE_PGM_RSRC2:TGID_X_EN: 1
; COMPUTE_PGM_RSRC2:TGID_Y_EN: 0
; COMPUTE_PGM_RSRC2:TGID_Z_EN: 1
; COMPUTE_PGM_RSRC2:TIDIG_COMP_CNT: 0
	.section	.text._ZL38rocblas_trsm_small_left_device_sharedBILi12ELi12ELb1E19rocblas_complex_numIfES1_PKPKS1_PKPS1_Ev13rocblas_fill_18rocblas_operation_17rocblas_diagonal_iiT3_T4_lilT5_lili,"axG",@progbits,_ZL38rocblas_trsm_small_left_device_sharedBILi12ELi12ELb1E19rocblas_complex_numIfES1_PKPKS1_PKPS1_Ev13rocblas_fill_18rocblas_operation_17rocblas_diagonal_iiT3_T4_lilT5_lili,comdat
	.globl	_ZL38rocblas_trsm_small_left_device_sharedBILi12ELi12ELb1E19rocblas_complex_numIfES1_PKPKS1_PKPS1_Ev13rocblas_fill_18rocblas_operation_17rocblas_diagonal_iiT3_T4_lilT5_lili ; -- Begin function _ZL38rocblas_trsm_small_left_device_sharedBILi12ELi12ELb1E19rocblas_complex_numIfES1_PKPKS1_PKPS1_Ev13rocblas_fill_18rocblas_operation_17rocblas_diagonal_iiT3_T4_lilT5_lili
	.p2align	8
	.type	_ZL38rocblas_trsm_small_left_device_sharedBILi12ELi12ELb1E19rocblas_complex_numIfES1_PKPKS1_PKPS1_Ev13rocblas_fill_18rocblas_operation_17rocblas_diagonal_iiT3_T4_lilT5_lili,@function
_ZL38rocblas_trsm_small_left_device_sharedBILi12ELi12ELb1E19rocblas_complex_numIfES1_PKPKS1_PKPS1_Ev13rocblas_fill_18rocblas_operation_17rocblas_diagonal_iiT3_T4_lilT5_lili: ; @_ZL38rocblas_trsm_small_left_device_sharedBILi12ELi12ELb1E19rocblas_complex_numIfES1_PKPKS1_PKPS1_Ev13rocblas_fill_18rocblas_operation_17rocblas_diagonal_iiT3_T4_lilT5_lili
; %bb.0:
	s_load_b32 s22, s[0:1], 0x60
	s_lshr_b32 s2, ttmp7, 16
	s_wait_kmcnt 0x0
	s_cmp_ge_u32 s2, s22
	s_cbranch_scc1 .LBB145_66
; %bb.1:
	s_clause 0x6
	s_load_b32 s20, s[0:1], 0x30
	s_load_b32 s28, s[0:1], 0x50
	s_load_b128 s[12:15], s[0:1], 0x4
	s_load_b32 s3, s[0:1], 0x68
	s_load_b128 s[4:7], s[0:1], 0x20
	s_load_b128 s[8:11], s[0:1], 0x40
	s_load_b64 s[16:17], s[0:1], 0x14
	s_mul_i32 s0, ttmp9, -12
	s_mul_i32 s30, ttmp9, 12
	v_lshlrev_b32_e32 v12, 3, v0
	v_mul_u32_u24_e32 v2, 0x60, v0
	s_mov_b32 s19, 0
	s_wait_kmcnt 0x0
	s_ashr_i32 s21, s20, 31
	s_ashr_i32 s29, s28, 31
	s_cmp_lg_u32 s12, 0x71
	v_mad_co_i64_i32 v[4:5], null, s28, v0, 0
	s_cselect_b32 s1, -1, 0
	s_min_i32 s23, s14, 12
	s_add_co_i32 s3, s3, -1
	s_add_co_i32 s0, s15, s0
	s_add_co_i32 s24, s23, -1
	s_cmp_ge_u32 ttmp9, s3
	v_lshlrev_b64_e32 v[4:5], 3, v[4:5]
	s_cselect_b32 s3, s0, 12
	s_ashr_i32 s31, s30, 31
	s_cmp_lg_u32 s13, 0x84
	v_cmp_gt_i32_e64 s0, s23, v0
	s_cselect_b32 s25, -1, 0
	s_cmp_gt_i32 s14, 0
	v_cmp_gt_i32_e32 vcc_lo, s3, v0
	s_cselect_b32 s18, -1, 0
	s_cmp_lg_u32 s12, 0x6f
	s_mul_u64 s[14:15], s[28:29], s[30:31]
	s_cselect_b32 s26, -1, 0
	s_lshl_b64 s[12:13], s[30:31], 3
	s_and_b32 s27, vcc_lo, s18
	v_add_co_u32 v0, s3, s12, v12
	s_wait_alu 0xf1ff
	v_add_co_ci_u32_e64 v3, null, s13, 0, s3
	s_lshl_b64 s[12:13], s[6:7], 3
	s_lshl_b64 s[6:7], s[10:11], 3
	v_mul_lo_u32 v8, v0, s29
	v_mul_lo_u32 v9, v3, s28
	v_mad_co_u64_u32 v[6:7], null, v0, s28, s[6:7]
	v_mov_b32_e32 v3, 0
	s_wait_alu 0xfffe
	v_add_co_u32 v10, s3, s12, v12
	v_or_b32_e32 v1, 0x480, v12
	s_wait_alu 0xf1ff
	v_add_co_ci_u32_e64 v0, null, s13, 0, s3
	s_delay_alu instid0(VALU_DEP_3)
	v_or_b32_e32 v13, 4, v10
	v_add3_u32 v14, v9, v7, v8
	v_or_b32_e32 v15, 4, v6
	v_add_nc_u32_e32 v16, v12, v2
	v_mov_b32_e32 v2, 1.0
	s_lshl_b32 s3, s23, 3
	s_or_b32 s28, 0, 4
	s_lshl_b64 s[10:11], s[20:21], 3
	s_wait_alu 0xfffe
	s_add_co_i32 s20, s3, -8
	s_lshl_b64 s[12:13], s[14:15], 3
	s_branch .LBB145_3
.LBB145_2:                              ;   in Loop: Header=BB145_3 Depth=1
	s_wait_alu 0xfffe
	s_or_b32 exec_lo, exec_lo, s3
	s_add_co_i32 s2, s2, 0x10000
	s_wait_alu 0xfffe
	s_cmp_lt_u32 s2, s22
	s_cbranch_scc0 .LBB145_66
.LBB145_3:                              ; =>This Loop Header: Depth=1
                                        ;     Child Loop BB145_6 Depth 2
                                        ;     Child Loop BB145_20 Depth 2
	;; [unrolled: 1-line block ×3, first 2 shown]
                                        ;       Child Loop BB145_27 Depth 3
                                        ;         Child Loop BB145_28 Depth 4
                                        ;         Child Loop BB145_30 Depth 4
                                        ;           Child Loop BB145_31 Depth 5
                                        ;         Child Loop BB145_35 Depth 4
                                        ;           Child Loop BB145_37 Depth 5
                                        ;     Child Loop BB145_45 Depth 2
                                        ;       Child Loop BB145_48 Depth 3
                                        ;         Child Loop BB145_49 Depth 4
                                        ;         Child Loop BB145_52 Depth 4
                                        ;           Child Loop BB145_53 Depth 5
                                        ;         Child Loop BB145_57 Depth 4
                                        ;           Child Loop BB145_59 Depth 5
                                        ;     Child Loop BB145_65 Depth 2
	s_mov_b32 s3, s19
	s_wait_alu 0xfffe
	s_lshl_b64 s[14:15], s[2:3], 3
	s_delay_alu instid0(SALU_CYCLE_1)
	s_add_nc_u64 s[30:31], s[8:9], s[14:15]
	global_load_b64 v[6:7], v3, s[30:31]
	s_and_saveexec_b32 s3, s0
	s_cbranch_execz .LBB145_18
; %bb.4:                                ;   in Loop: Header=BB145_3 Depth=1
	s_add_nc_u64 s[14:15], s[4:5], s[14:15]
	v_mov_b32_e32 v17, v12
	global_load_b64 v[8:9], v3, s[14:15]
	s_mov_b32 s14, s23
	s_wait_loadcnt 0x0
	v_add_co_u32 v8, vcc_lo, v8, v13
	s_wait_alu 0xfffd
	v_add_co_ci_u32_e64 v9, null, v9, v0, vcc_lo
	s_branch .LBB145_6
.LBB145_5:                              ;   in Loop: Header=BB145_6 Depth=2
	flat_load_b32 v10, v[8:9] offset:-4
	v_add_co_u32 v8, vcc_lo, v8, s10
	s_wait_alu 0xfffd
	v_add_co_ci_u32_e64 v9, null, s11, v9, vcc_lo
	s_add_co_i32 s14, s14, -1
	s_delay_alu instid0(SALU_CYCLE_1)
	s_cmp_eq_u32 s14, 0
	s_wait_loadcnt_dscnt 0x0
	ds_store_b64 v17, v[10:11]
	v_add_nc_u32_e32 v17, 0x60, v17
	s_cbranch_scc1 .LBB145_10
.LBB145_6:                              ;   Parent Loop BB145_3 Depth=1
                                        ; =>  This Inner Loop Header: Depth=2
	s_and_b32 vcc_lo, exec_lo, s1
	s_mov_b32 s15, -1
                                        ; implicit-def: $vgpr11
	s_wait_alu 0xfffe
	s_cbranch_vccz .LBB145_8
; %bb.7:                                ;   in Loop: Header=BB145_6 Depth=2
	flat_load_b32 v11, v[8:9]
	s_mov_b32 s15, 0
.LBB145_8:                              ;   in Loop: Header=BB145_6 Depth=2
	s_delay_alu instid0(SALU_CYCLE_1)
	s_and_not1_b32 vcc_lo, exec_lo, s15
	s_wait_alu 0xfffe
	s_cbranch_vccnz .LBB145_5
; %bb.9:                                ;   in Loop: Header=BB145_6 Depth=2
	flat_load_b32 v10, v[8:9]
	s_wait_loadcnt_dscnt 0x0
	v_xor_b32_e32 v11, 0x80000000, v10
	s_branch .LBB145_5
.LBB145_10:                             ;   in Loop: Header=BB145_3 Depth=1
	s_and_b32 vcc_lo, exec_lo, s25
	s_mov_b32 s14, -1
	s_wait_alu 0xfffe
	s_cbranch_vccz .LBB145_16
; %bb.11:                               ;   in Loop: Header=BB145_3 Depth=1
	ds_load_b64 v[8:9], v16
                                        ; implicit-def: $vgpr10
	s_wait_dscnt 0x0
	v_cmp_ngt_f32_e64 s14, |v8|, |v9|
	s_and_saveexec_b32 s15, s14
	s_delay_alu instid0(SALU_CYCLE_1)
	s_xor_b32 s14, exec_lo, s15
	s_cbranch_execz .LBB145_13
; %bb.12:                               ;   in Loop: Header=BB145_3 Depth=1
	v_div_scale_f32 v10, null, v9, v9, v8
	v_div_scale_f32 v18, vcc_lo, v8, v9, v8
	s_delay_alu instid0(VALU_DEP_2) | instskip(NEXT) | instid1(TRANS32_DEP_1)
	v_rcp_f32_e32 v11, v10
	v_fma_f32 v17, -v10, v11, 1.0
	s_delay_alu instid0(VALU_DEP_1) | instskip(NEXT) | instid1(VALU_DEP_1)
	v_fmac_f32_e32 v11, v17, v11
	v_mul_f32_e32 v17, v18, v11
	s_delay_alu instid0(VALU_DEP_1) | instskip(NEXT) | instid1(VALU_DEP_1)
	v_fma_f32 v19, -v10, v17, v18
	v_fmac_f32_e32 v17, v19, v11
	s_delay_alu instid0(VALU_DEP_1) | instskip(SKIP_1) | instid1(VALU_DEP_1)
	v_fma_f32 v10, -v10, v17, v18
	s_wait_alu 0xfffd
	v_div_fmas_f32 v10, v10, v11, v17
	s_delay_alu instid0(VALU_DEP_1) | instskip(NEXT) | instid1(VALU_DEP_1)
	v_div_fixup_f32 v10, v10, v9, v8
	v_fmac_f32_e32 v9, v8, v10
	s_delay_alu instid0(VALU_DEP_1) | instskip(SKIP_1) | instid1(VALU_DEP_2)
	v_div_scale_f32 v8, null, v9, v9, 1.0
	v_div_scale_f32 v18, vcc_lo, 1.0, v9, 1.0
	v_rcp_f32_e32 v11, v8
	s_delay_alu instid0(TRANS32_DEP_1) | instskip(NEXT) | instid1(VALU_DEP_1)
	v_fma_f32 v17, -v8, v11, 1.0
	v_fmac_f32_e32 v11, v17, v11
	s_delay_alu instid0(VALU_DEP_1) | instskip(NEXT) | instid1(VALU_DEP_1)
	v_mul_f32_e32 v17, v18, v11
	v_fma_f32 v19, -v8, v17, v18
	s_delay_alu instid0(VALU_DEP_1) | instskip(NEXT) | instid1(VALU_DEP_1)
	v_fmac_f32_e32 v17, v19, v11
	v_fma_f32 v8, -v8, v17, v18
	s_wait_alu 0xfffd
	s_delay_alu instid0(VALU_DEP_1) | instskip(SKIP_1) | instid1(VALU_DEP_2)
	v_div_fmas_f32 v8, v8, v11, v17
	v_add_f32_e32 v11, 0, v10
	v_div_fixup_f32 v8, v8, v9, 1.0
	v_fma_f32 v9, v10, 0, -1.0
	s_delay_alu instid0(VALU_DEP_2) | instskip(NEXT) | instid1(VALU_DEP_2)
	v_mul_f32_e32 v10, v11, v8
	v_mul_f32_e32 v11, v9, v8
                                        ; implicit-def: $vgpr8_vgpr9
.LBB145_13:                             ;   in Loop: Header=BB145_3 Depth=1
	s_and_not1_saveexec_b32 s14, s14
	s_cbranch_execz .LBB145_15
; %bb.14:                               ;   in Loop: Header=BB145_3 Depth=1
	v_div_scale_f32 v10, null, v8, v8, v9
	v_div_scale_f32 v18, vcc_lo, v9, v8, v9
	s_delay_alu instid0(VALU_DEP_2) | instskip(NEXT) | instid1(TRANS32_DEP_1)
	v_rcp_f32_e32 v11, v10
	v_fma_f32 v17, -v10, v11, 1.0
	s_delay_alu instid0(VALU_DEP_1) | instskip(NEXT) | instid1(VALU_DEP_1)
	v_fmac_f32_e32 v11, v17, v11
	v_mul_f32_e32 v17, v18, v11
	s_delay_alu instid0(VALU_DEP_1) | instskip(NEXT) | instid1(VALU_DEP_1)
	v_fma_f32 v19, -v10, v17, v18
	v_fmac_f32_e32 v17, v19, v11
	s_delay_alu instid0(VALU_DEP_1) | instskip(SKIP_1) | instid1(VALU_DEP_1)
	v_fma_f32 v10, -v10, v17, v18
	s_wait_alu 0xfffd
	v_div_fmas_f32 v10, v10, v11, v17
	s_delay_alu instid0(VALU_DEP_1) | instskip(NEXT) | instid1(VALU_DEP_1)
	v_div_fixup_f32 v11, v10, v8, v9
	v_fmac_f32_e32 v8, v9, v11
	s_delay_alu instid0(VALU_DEP_1) | instskip(SKIP_1) | instid1(VALU_DEP_2)
	v_div_scale_f32 v9, null, v8, v8, 1.0
	v_div_scale_f32 v18, vcc_lo, 1.0, v8, 1.0
	v_rcp_f32_e32 v10, v9
	s_delay_alu instid0(TRANS32_DEP_1) | instskip(NEXT) | instid1(VALU_DEP_1)
	v_fma_f32 v17, -v9, v10, 1.0
	v_fmac_f32_e32 v10, v17, v10
	s_delay_alu instid0(VALU_DEP_1) | instskip(NEXT) | instid1(VALU_DEP_1)
	v_mul_f32_e32 v17, v18, v10
	v_fma_f32 v19, -v9, v17, v18
	s_delay_alu instid0(VALU_DEP_1) | instskip(NEXT) | instid1(VALU_DEP_1)
	v_fmac_f32_e32 v17, v19, v10
	v_fma_f32 v9, -v9, v17, v18
	s_wait_alu 0xfffd
	s_delay_alu instid0(VALU_DEP_1) | instskip(SKIP_1) | instid1(VALU_DEP_2)
	v_div_fmas_f32 v9, v9, v10, v17
	v_fma_f32 v10, v11, 0, 1.0
	v_div_fixup_f32 v8, v9, v8, 1.0
	s_delay_alu instid0(VALU_DEP_1)
	v_mul_f32_e32 v10, v10, v8
	v_mul_f32_e64 v11, -v11, v8
.LBB145_15:                             ;   in Loop: Header=BB145_3 Depth=1
	s_or_b32 exec_lo, exec_lo, s14
	s_mov_b32 s14, 0
	ds_store_b64 v16, v[10:11]
.LBB145_16:                             ;   in Loop: Header=BB145_3 Depth=1
	s_and_b32 vcc_lo, exec_lo, s14
	s_wait_alu 0xfffe
	s_cbranch_vccz .LBB145_18
; %bb.17:                               ;   in Loop: Header=BB145_3 Depth=1
	ds_store_b64 v16, v[2:3]
.LBB145_18:                             ;   in Loop: Header=BB145_3 Depth=1
	s_wait_alu 0xfffe
	s_or_b32 exec_lo, exec_lo, s3
	s_and_saveexec_b32 s3, s27
	s_cbranch_execz .LBB145_21
; %bb.19:                               ;   in Loop: Header=BB145_3 Depth=1
	s_wait_loadcnt 0x0
	v_add_co_u32 v8, vcc_lo, v6, v15
	s_wait_alu 0xfffd
	v_add_co_ci_u32_e64 v9, null, v7, v14, vcc_lo
	v_mov_b32_e32 v10, v1
	s_mov_b32 s14, s23
.LBB145_20:                             ;   Parent Loop BB145_3 Depth=1
                                        ; =>  This Inner Loop Header: Depth=2
	flat_load_b64 v[17:18], v[8:9] offset:-4
	v_add_co_u32 v8, vcc_lo, v8, 8
	s_wait_alu 0xfffd
	v_add_co_ci_u32_e64 v9, null, 0, v9, vcc_lo
	s_add_co_i32 s14, s14, -1
	s_delay_alu instid0(SALU_CYCLE_1) | instskip(SKIP_3) | instid1(VALU_DEP_2)
	s_cmp_lg_u32 s14, 0
	s_wait_loadcnt_dscnt 0x0
	v_mul_f32_e32 v11, s17, v18
	v_mul_f32_e32 v19, s16, v18
	v_fma_f32 v18, s16, v17, -v11
	s_delay_alu instid0(VALU_DEP_2)
	v_fmac_f32_e32 v19, s17, v17
	ds_store_b64 v10, v[18:19]
	v_add_nc_u32_e32 v10, 0x60, v10
	s_cbranch_scc1 .LBB145_20
.LBB145_21:                             ;   in Loop: Header=BB145_3 Depth=1
	s_wait_alu 0xfffe
	s_or_b32 exec_lo, exec_lo, s3
	s_delay_alu instid0(SALU_CYCLE_1)
	s_and_not1_b32 vcc_lo, exec_lo, s26
	s_mov_b32 s3, -1
	; wave barrier
	s_wait_loadcnt_dscnt 0x0
	global_inv scope:SCOPE_SE
	s_wait_alu 0xfffe
	s_cbranch_vccnz .LBB145_42
; %bb.22:                               ;   in Loop: Header=BB145_3 Depth=1
	s_mov_b32 s18, 0
	s_mov_b32 s3, s24
	s_branch .LBB145_24
.LBB145_23:                             ;   in Loop: Header=BB145_24 Depth=2
	s_cmp_gt_i32 s3, -1
	s_cselect_b32 s14, -1, 0
	s_add_co_i32 s15, s18, 1
	s_cmp_lt_u32 s18, 2
	s_cselect_b32 s18, -1, 0
	s_delay_alu instid0(SALU_CYCLE_1)
	s_and_b32 s14, s14, s18
	s_mov_b32 s18, s15
	s_and_b32 vcc_lo, exec_lo, s14
	s_wait_alu 0xfffe
	s_cbranch_vccz .LBB145_41
.LBB145_24:                             ;   Parent Loop BB145_3 Depth=1
                                        ; =>  This Loop Header: Depth=2
                                        ;       Child Loop BB145_27 Depth 3
                                        ;         Child Loop BB145_28 Depth 4
                                        ;         Child Loop BB145_30 Depth 4
                                        ;           Child Loop BB145_31 Depth 5
                                        ;         Child Loop BB145_35 Depth 4
                                        ;           Child Loop BB145_37 Depth 5
	s_getpc_b64 s[14:15]
	s_sext_i32_i16 s15, s15
	s_add_co_u32 s14, s14, __const._ZL38rocblas_trsm_small_left_device_sharedBILi12ELi12ELb1E19rocblas_complex_numIfES1_PKPKS1_PKPS1_Ev13rocblas_fill_18rocblas_operation_17rocblas_diagonal_iiT3_T4_lilT5_lili.step_sizes@rel32@lo+8
	s_add_co_ci_u32 s15, s15, __const._ZL38rocblas_trsm_small_left_device_sharedBILi12ELi12ELb1E19rocblas_complex_numIfES1_PKPKS1_PKPS1_Ev13rocblas_fill_18rocblas_operation_17rocblas_diagonal_iiT3_T4_lilT5_lili.step_sizes@rel32@hi+16
	s_lshl_b64 s[30:31], s[18:19], 2
	s_wait_alu 0xfffe
	s_add_nc_u64 s[14:15], s[14:15], s[30:31]
	s_load_b32 s14, s[14:15], 0x0
	s_wait_kmcnt 0x0
	s_add_co_i32 s15, s14, -1
	s_delay_alu instid0(SALU_CYCLE_1)
	s_cmp_lt_i32 s3, s15
	s_cbranch_scc1 .LBB145_23
; %bb.25:                               ;   in Loop: Header=BB145_24 Depth=2
	s_mul_i32 s30, s3, 0x60
	s_max_i32 s21, s14, 1
	s_wait_alu 0xfffe
	v_add_nc_u32_e32 v10, s30, v1
	s_mul_i32 s29, s14, 0xffffffa0
	s_add_co_i32 s30, s20, s30
	s_mul_i32 s31, s3, 0x68
	s_mul_i32 s33, s14, 0xffffff98
	s_branch .LBB145_27
.LBB145_26:                             ;   in Loop: Header=BB145_27 Depth=3
	v_add_nc_u32_e32 v10, s29, v10
	s_sub_co_i32 s3, s3, s14
	s_add_co_i32 s30, s30, s29
	s_add_co_i32 s31, s31, s33
	s_wait_alu 0xfffe
	s_cmp_lt_i32 s3, s15
	s_cbranch_scc1 .LBB145_23
.LBB145_27:                             ;   Parent Loop BB145_3 Depth=1
                                        ;     Parent Loop BB145_24 Depth=2
                                        ; =>    This Loop Header: Depth=3
                                        ;         Child Loop BB145_28 Depth 4
                                        ;         Child Loop BB145_30 Depth 4
                                        ;           Child Loop BB145_31 Depth 5
                                        ;         Child Loop BB145_35 Depth 4
                                        ;           Child Loop BB145_37 Depth 5
	v_mov_b32_e32 v8, v10
	s_mov_b32 s34, 0
	s_mov_b32 s35, s21
.LBB145_28:                             ;   Parent Loop BB145_3 Depth=1
                                        ;     Parent Loop BB145_24 Depth=2
                                        ;       Parent Loop BB145_27 Depth=3
                                        ; =>      This Inner Loop Header: Depth=4
	ds_load_b64 v[17:18], v8
	v_add_nc_u32_e32 v8, 0xffffffa0, v8
	s_wait_alu 0xfffe
	s_add_co_i32 s35, s35, -1
	s_wait_dscnt 0x0
	scratch_store_b64 off, v[17:18], s34
	s_add_co_i32 s34, s34, 8
	s_wait_alu 0xfffe
	s_cmp_eq_u32 s35, 0
	s_cbranch_scc0 .LBB145_28
; %bb.29:                               ;   in Loop: Header=BB145_27 Depth=3
	s_cmp_le_i32 s24, s3
	s_mov_b32 s34, s30
	s_mov_b32 s35, s24
	s_cbranch_scc1 .LBB145_33
.LBB145_30:                             ;   Parent Loop BB145_3 Depth=1
                                        ;     Parent Loop BB145_24 Depth=2
                                        ;       Parent Loop BB145_27 Depth=3
                                        ; =>      This Loop Header: Depth=4
                                        ;           Child Loop BB145_31 Depth 5
	s_wait_alu 0xfffe
	v_mad_co_u64_u32 v[8:9], null, 0x60, s35, v[1:2]
	s_mov_b32 s36, s28
	s_mov_b32 s37, s34
	s_mov_b32 s38, s21
	ds_load_b64 v[8:9], v8
.LBB145_31:                             ;   Parent Loop BB145_3 Depth=1
                                        ;     Parent Loop BB145_24 Depth=2
                                        ;       Parent Loop BB145_27 Depth=3
                                        ;         Parent Loop BB145_30 Depth=4
                                        ; =>        This Inner Loop Header: Depth=5
	scratch_load_b64 v[17:18], off, s36 offset:-4
	s_wait_alu 0xfffe
	v_mov_b32_e32 v11, s37
	s_add_co_i32 s38, s38, -1
	s_addk_co_i32 s37, 0xffa0
	ds_load_b64 v[19:20], v11
	s_wait_dscnt 0x0
	v_mul_f32_e32 v11, v20, v9
	v_mul_f32_e32 v20, v20, v8
	s_delay_alu instid0(VALU_DEP_1) | instskip(SKIP_1) | instid1(VALU_DEP_1)
	v_fmac_f32_e32 v20, v19, v9
	s_wait_loadcnt 0x0
	v_sub_f32_e32 v18, v18, v20
	v_fma_f32 v11, v19, v8, -v11
	s_delay_alu instid0(VALU_DEP_1)
	v_sub_f32_e32 v17, v17, v11
	scratch_store_b64 off, v[17:18], s36 offset:-4
	s_add_co_i32 s36, s36, 8
	s_wait_alu 0xfffe
	s_cmp_eq_u32 s38, 0
	s_cbranch_scc0 .LBB145_31
; %bb.32:                               ;   in Loop: Header=BB145_30 Depth=4
	s_add_co_i32 s35, s35, -1
	s_add_co_i32 s34, s34, -8
	s_wait_alu 0xfffe
	s_cmp_le_i32 s35, s3
	s_cbranch_scc0 .LBB145_30
.LBB145_33:                             ;   in Loop: Header=BB145_27 Depth=3
	s_mul_i32 s34, s3, 0x60
	s_mov_b32 s35, 0
	s_mov_b32 s36, s31
	s_branch .LBB145_35
.LBB145_34:                             ;   in Loop: Header=BB145_35 Depth=4
	s_wait_alu 0xfffe
	s_mulk_i32 s38, 0x68
	s_addk_co_i32 s36, 0xffa0
	s_wait_alu 0xfffe
	v_mov_b32_e32 v11, s38
	s_lshl_b32 s38, s35, 3
	s_add_co_i32 s35, s35, 1
	s_wait_alu 0xfffe
	s_cmp_eq_u32 s35, s21
	ds_load_b64 v[17:18], v11
	s_wait_loadcnt_dscnt 0x0
	v_mul_f32_e32 v11, v18, v9
	v_mul_f32_e32 v20, v17, v9
	v_add_nc_u32_e32 v9, s37, v1
	s_delay_alu instid0(VALU_DEP_3) | instskip(NEXT) | instid1(VALU_DEP_3)
	v_fma_f32 v19, v17, v8, -v11
	v_fmac_f32_e32 v20, v18, v8
	scratch_store_b64 off, v[19:20], s38
	ds_store_b64 v9, v[19:20]
	s_cbranch_scc1 .LBB145_26
.LBB145_35:                             ;   Parent Loop BB145_3 Depth=1
                                        ;     Parent Loop BB145_24 Depth=2
                                        ;       Parent Loop BB145_27 Depth=3
                                        ; =>      This Loop Header: Depth=4
                                        ;           Child Loop BB145_37 Depth 5
	s_wait_alu 0xfffe
	s_cmp_lg_u32 s35, 0
	s_cbranch_scc0 .LBB145_39
; %bb.36:                               ;   in Loop: Header=BB145_35 Depth=4
	s_lshl_b32 s39, s35, 3
	s_sub_co_i32 s38, s3, s35
	scratch_load_b64 v[8:9], off, s39
	s_wait_alu 0xfffe
	s_mul_i32 s37, s38, 0x60
	s_mov_b32 s40, 0
	s_mov_b32 s41, s36
	;; [unrolled: 1-line block ×3, first 2 shown]
.LBB145_37:                             ;   Parent Loop BB145_3 Depth=1
                                        ;     Parent Loop BB145_24 Depth=2
                                        ;       Parent Loop BB145_27 Depth=3
                                        ;         Parent Loop BB145_35 Depth=4
                                        ; =>        This Inner Loop Header: Depth=5
	scratch_load_b64 v[17:18], off, s40
	s_wait_alu 0xfffe
	v_mov_b32_e32 v11, s41
	s_add_co_i32 s42, s42, -1
	s_add_co_i32 s41, s41, -8
	s_add_co_i32 s40, s40, 8
	s_cmp_eq_u32 s42, 0
	ds_load_b64 v[19:20], v11
	s_wait_loadcnt_dscnt 0x0
	v_mul_f32_e32 v11, v20, v18
	v_mul_f32_e32 v18, v19, v18
	s_delay_alu instid0(VALU_DEP_2) | instskip(NEXT) | instid1(VALU_DEP_2)
	v_fma_f32 v11, v19, v17, -v11
	v_fmac_f32_e32 v18, v20, v17
	s_delay_alu instid0(VALU_DEP_1)
	v_dual_sub_f32 v8, v8, v11 :: v_dual_sub_f32 v9, v9, v18
	scratch_store_b64 off, v[8:9], s39
	s_cbranch_scc0 .LBB145_37
; %bb.38:                               ;   in Loop: Header=BB145_35 Depth=4
	s_branch .LBB145_34
.LBB145_39:                             ;   in Loop: Header=BB145_35 Depth=4
                                        ; implicit-def: $vgpr8
                                        ; implicit-def: $sgpr38
                                        ; implicit-def: $sgpr37
	s_cbranch_execz .LBB145_34
; %bb.40:                               ;   in Loop: Header=BB145_35 Depth=4
	scratch_load_b64 v[8:9], off, off
	s_mov_b32 s37, s34
	s_mov_b32 s38, s3
	s_branch .LBB145_34
.LBB145_41:                             ;   in Loop: Header=BB145_3 Depth=1
	s_mov_b32 s3, 0
.LBB145_42:                             ;   in Loop: Header=BB145_3 Depth=1
	s_wait_alu 0xfffe
	s_and_b32 vcc_lo, exec_lo, s3
	s_wait_alu 0xfffe
	s_cbranch_vccz .LBB145_63
; %bb.43:                               ;   in Loop: Header=BB145_3 Depth=1
	s_mov_b32 s18, 0
	s_delay_alu instid0(SALU_CYCLE_1)
	s_mov_b32 s3, s18
	s_branch .LBB145_45
.LBB145_44:                             ;   in Loop: Header=BB145_45 Depth=2
	s_cmp_lt_i32 s3, s23
	s_cselect_b32 s14, -1, 0
	s_add_co_i32 s15, s18, 1
	s_cmp_lt_u32 s18, 2
	s_cselect_b32 s18, -1, 0
	s_delay_alu instid0(SALU_CYCLE_1)
	s_and_b32 s14, s14, s18
	s_mov_b32 s18, s15
	s_and_not1_b32 vcc_lo, exec_lo, s14
	s_wait_alu 0xfffe
	s_cbranch_vccnz .LBB145_63
.LBB145_45:                             ;   Parent Loop BB145_3 Depth=1
                                        ; =>  This Loop Header: Depth=2
                                        ;       Child Loop BB145_48 Depth 3
                                        ;         Child Loop BB145_49 Depth 4
                                        ;         Child Loop BB145_52 Depth 4
                                        ;           Child Loop BB145_53 Depth 5
                                        ;         Child Loop BB145_57 Depth 4
                                        ;           Child Loop BB145_59 Depth 5
	s_getpc_b64 s[14:15]
	s_sext_i32_i16 s15, s15
	s_add_co_u32 s14, s14, __const._ZL38rocblas_trsm_small_left_device_sharedBILi12ELi12ELb1E19rocblas_complex_numIfES1_PKPKS1_PKPS1_Ev13rocblas_fill_18rocblas_operation_17rocblas_diagonal_iiT3_T4_lilT5_lili.step_sizes@rel32@lo+8
	s_add_co_ci_u32 s15, s15, __const._ZL38rocblas_trsm_small_left_device_sharedBILi12ELi12ELb1E19rocblas_complex_numIfES1_PKPKS1_PKPS1_Ev13rocblas_fill_18rocblas_operation_17rocblas_diagonal_iiT3_T4_lilT5_lili.step_sizes@rel32@hi+16
	s_lshl_b64 s[30:31], s[18:19], 2
	s_wait_alu 0xfffe
	s_add_nc_u64 s[14:15], s[14:15], s[30:31]
	s_load_b32 s14, s[14:15], 0x0
	s_wait_kmcnt 0x0
	s_add_co_i32 s15, s14, -1
	s_delay_alu instid0(SALU_CYCLE_1) | instskip(NEXT) | instid1(SALU_CYCLE_1)
	s_add_co_i32 s21, s15, s3
	s_cmp_ge_i32 s21, s23
	s_cbranch_scc1 .LBB145_44
; %bb.46:                               ;   in Loop: Header=BB145_45 Depth=2
	v_mad_co_u64_u32 v[8:9], null, 0x60, s3, v[1:2]
	s_max_i32 s21, s14, 1
	s_mul_i32 s29, s14, 0x60
	s_lshl_b32 s30, s3, 3
	s_lshl_b32 s31, s14, 3
	s_mul_i32 s33, s3, 0x68
	s_mul_i32 s34, s14, 0x68
	s_branch .LBB145_48
.LBB145_47:                             ;   in Loop: Header=BB145_48 Depth=3
	s_add_co_i32 s3, s3, s14
	v_add_nc_u32_e32 v8, s29, v8
	s_wait_alu 0xfffe
	s_add_co_i32 s35, s15, s3
	s_add_co_i32 s30, s30, s31
	;; [unrolled: 1-line block ×3, first 2 shown]
	s_wait_alu 0xfffe
	s_cmp_ge_i32 s35, s23
	s_cbranch_scc1 .LBB145_44
.LBB145_48:                             ;   Parent Loop BB145_3 Depth=1
                                        ;     Parent Loop BB145_45 Depth=2
                                        ; =>    This Loop Header: Depth=3
                                        ;         Child Loop BB145_49 Depth 4
                                        ;         Child Loop BB145_52 Depth 4
                                        ;           Child Loop BB145_53 Depth 5
                                        ;         Child Loop BB145_57 Depth 4
                                        ;           Child Loop BB145_59 Depth 5
	v_mov_b32_e32 v9, v8
	s_mov_b32 s35, 0
	s_mov_b32 s36, s21
.LBB145_49:                             ;   Parent Loop BB145_3 Depth=1
                                        ;     Parent Loop BB145_45 Depth=2
                                        ;       Parent Loop BB145_48 Depth=3
                                        ; =>      This Inner Loop Header: Depth=4
	ds_load_b64 v[10:11], v9
	v_add_nc_u32_e32 v9, 0x60, v9
	s_wait_alu 0xfffe
	s_add_co_i32 s36, s36, -1
	s_wait_dscnt 0x0
	scratch_store_b64 off, v[10:11], s35
	s_add_co_i32 s35, s35, 8
	s_wait_alu 0xfffe
	s_cmp_eq_u32 s36, 0
	s_cbranch_scc0 .LBB145_49
; %bb.50:                               ;   in Loop: Header=BB145_48 Depth=3
	s_cmp_lt_i32 s3, 1
	s_cbranch_scc1 .LBB145_55
; %bb.51:                               ;   in Loop: Header=BB145_48 Depth=3
	s_mov_b32 s35, 0
	s_mov_b32 s36, s30
.LBB145_52:                             ;   Parent Loop BB145_3 Depth=1
                                        ;     Parent Loop BB145_45 Depth=2
                                        ;       Parent Loop BB145_48 Depth=3
                                        ; =>      This Loop Header: Depth=4
                                        ;           Child Loop BB145_53 Depth 5
	s_wait_alu 0xfffe
	v_mad_co_u64_u32 v[9:10], null, 0x60, s35, v[1:2]
	s_mov_b32 s37, s28
	s_mov_b32 s38, s36
	;; [unrolled: 1-line block ×3, first 2 shown]
	ds_load_b64 v[9:10], v9
.LBB145_53:                             ;   Parent Loop BB145_3 Depth=1
                                        ;     Parent Loop BB145_45 Depth=2
                                        ;       Parent Loop BB145_48 Depth=3
                                        ;         Parent Loop BB145_52 Depth=4
                                        ; =>        This Inner Loop Header: Depth=5
	scratch_load_b64 v[17:18], off, s37 offset:-4
	s_wait_alu 0xfffe
	v_mov_b32_e32 v11, s38
	s_add_co_i32 s39, s39, -1
	s_add_co_i32 s38, s38, 8
	ds_load_b64 v[19:20], v11
	s_wait_dscnt 0x0
	v_mul_f32_e32 v11, v20, v10
	v_mul_f32_e32 v20, v20, v9
	s_delay_alu instid0(VALU_DEP_1) | instskip(SKIP_1) | instid1(VALU_DEP_1)
	v_fmac_f32_e32 v20, v19, v10
	s_wait_loadcnt 0x0
	v_sub_f32_e32 v18, v18, v20
	v_fma_f32 v11, v19, v9, -v11
	s_delay_alu instid0(VALU_DEP_1)
	v_sub_f32_e32 v17, v17, v11
	scratch_store_b64 off, v[17:18], s37 offset:-4
	s_add_co_i32 s37, s37, 8
	s_wait_alu 0xfffe
	s_cmp_eq_u32 s39, 0
	s_cbranch_scc0 .LBB145_53
; %bb.54:                               ;   in Loop: Header=BB145_52 Depth=4
	s_add_co_i32 s35, s35, 1
	s_addk_co_i32 s36, 0x60
	s_wait_alu 0xfffe
	s_cmp_eq_u32 s35, s3
	s_cbranch_scc0 .LBB145_52
.LBB145_55:                             ;   in Loop: Header=BB145_48 Depth=3
	s_mov_b32 s35, 0
	s_mov_b32 s36, s33
	s_branch .LBB145_57
.LBB145_56:                             ;   in Loop: Header=BB145_57 Depth=4
	s_add_co_i32 s37, s35, s3
	s_add_co_i32 s36, s36, 8
	s_wait_alu 0xfffe
	s_mul_i32 s38, s37, 0x68
	v_mad_co_u64_u32 v[19:20], null, 0x60, s37, v[1:2]
	s_wait_alu 0xfffe
	v_mov_b32_e32 v11, s38
	s_lshl_b32 s38, s35, 3
	s_add_co_i32 s35, s35, 1
	s_wait_alu 0xfffe
	s_cmp_eq_u32 s35, s21
	ds_load_b64 v[17:18], v11
	s_wait_loadcnt_dscnt 0x0
	v_mul_f32_e32 v21, v18, v10
	v_mul_f32_e32 v11, v17, v10
	s_delay_alu instid0(VALU_DEP_2) | instskip(NEXT) | instid1(VALU_DEP_2)
	v_fma_f32 v10, v17, v9, -v21
	v_fmac_f32_e32 v11, v18, v9
	scratch_store_b64 off, v[10:11], s38
	ds_store_b64 v19, v[10:11]
	s_cbranch_scc1 .LBB145_47
.LBB145_57:                             ;   Parent Loop BB145_3 Depth=1
                                        ;     Parent Loop BB145_45 Depth=2
                                        ;       Parent Loop BB145_48 Depth=3
                                        ; =>      This Loop Header: Depth=4
                                        ;           Child Loop BB145_59 Depth 5
	s_wait_alu 0xfffe
	s_cmp_lg_u32 s35, 0
	s_cbranch_scc0 .LBB145_61
; %bb.58:                               ;   in Loop: Header=BB145_57 Depth=4
	s_lshl_b32 s37, s35, 3
	s_mov_b32 s38, 0
	scratch_load_b64 v[9:10], off, s37
	s_mov_b32 s39, s36
	s_mov_b32 s40, s35
.LBB145_59:                             ;   Parent Loop BB145_3 Depth=1
                                        ;     Parent Loop BB145_45 Depth=2
                                        ;       Parent Loop BB145_48 Depth=3
                                        ;         Parent Loop BB145_57 Depth=4
                                        ; =>        This Inner Loop Header: Depth=5
	scratch_load_b64 v[17:18], off, s38
	s_wait_alu 0xfffe
	v_mov_b32_e32 v11, s39
	s_add_co_i32 s40, s40, -1
	s_addk_co_i32 s39, 0x60
	s_add_co_i32 s38, s38, 8
	s_wait_alu 0xfffe
	s_cmp_eq_u32 s40, 0
	ds_load_b64 v[19:20], v11
	s_wait_loadcnt_dscnt 0x0
	v_mul_f32_e32 v11, v20, v18
	v_mul_f32_e32 v18, v19, v18
	s_delay_alu instid0(VALU_DEP_2) | instskip(NEXT) | instid1(VALU_DEP_1)
	v_fma_f32 v11, v19, v17, -v11
	v_dual_fmac_f32 v18, v20, v17 :: v_dual_sub_f32 v9, v9, v11
	s_delay_alu instid0(VALU_DEP_1)
	v_sub_f32_e32 v10, v10, v18
	scratch_store_b64 off, v[9:10], s37
	s_cbranch_scc0 .LBB145_59
; %bb.60:                               ;   in Loop: Header=BB145_57 Depth=4
	s_branch .LBB145_56
.LBB145_61:                             ;   in Loop: Header=BB145_57 Depth=4
                                        ; implicit-def: $vgpr9
	s_cbranch_execz .LBB145_56
; %bb.62:                               ;   in Loop: Header=BB145_57 Depth=4
	scratch_load_b64 v[9:10], off, off
	s_branch .LBB145_56
.LBB145_63:                             ;   in Loop: Header=BB145_3 Depth=1
	s_wait_storecnt 0x0
	; wave barrier
	s_wait_loadcnt_dscnt 0x0
	global_inv scope:SCOPE_SE
	s_and_saveexec_b32 s3, s27
	s_cbranch_execz .LBB145_2
; %bb.64:                               ;   in Loop: Header=BB145_3 Depth=1
	v_add_co_u32 v6, vcc_lo, v6, s6
	s_wait_alu 0xfffd
	v_add_co_ci_u32_e64 v7, null, s7, v7, vcc_lo
	v_mov_b32_e32 v8, v1
	s_delay_alu instid0(VALU_DEP_3) | instskip(SKIP_1) | instid1(VALU_DEP_3)
	v_add_co_u32 v6, vcc_lo, v6, s12
	s_wait_alu 0xfffd
	v_add_co_ci_u32_e64 v7, null, s13, v7, vcc_lo
	s_mov_b32 s14, s23
	v_add_co_u32 v6, vcc_lo, v6, v4
	s_wait_alu 0xfffd
	v_add_co_ci_u32_e64 v7, null, v7, v5, vcc_lo
.LBB145_65:                             ;   Parent Loop BB145_3 Depth=1
                                        ; =>  This Inner Loop Header: Depth=2
	ds_load_b64 v[9:10], v8
	v_add_nc_u32_e32 v8, 0x60, v8
	s_add_co_i32 s14, s14, -1
	s_delay_alu instid0(SALU_CYCLE_1)
	s_cmp_lg_u32 s14, 0
	s_wait_dscnt 0x0
	flat_store_b64 v[6:7], v[9:10]
	v_add_co_u32 v6, vcc_lo, v6, 8
	s_wait_alu 0xfffd
	v_add_co_ci_u32_e64 v7, null, 0, v7, vcc_lo
	s_cbranch_scc1 .LBB145_65
	s_branch .LBB145_2
.LBB145_66:
	s_endpgm
	.section	.rodata,"a",@progbits
	.p2align	6, 0x0
	.amdhsa_kernel _ZL38rocblas_trsm_small_left_device_sharedBILi12ELi12ELb1E19rocblas_complex_numIfES1_PKPKS1_PKPS1_Ev13rocblas_fill_18rocblas_operation_17rocblas_diagonal_iiT3_T4_lilT5_lili
		.amdhsa_group_segment_fixed_size 2304
		.amdhsa_private_segment_fixed_size 112
		.amdhsa_kernarg_size 360
		.amdhsa_user_sgpr_count 2
		.amdhsa_user_sgpr_dispatch_ptr 0
		.amdhsa_user_sgpr_queue_ptr 0
		.amdhsa_user_sgpr_kernarg_segment_ptr 1
		.amdhsa_user_sgpr_dispatch_id 0
		.amdhsa_user_sgpr_private_segment_size 0
		.amdhsa_wavefront_size32 1
		.amdhsa_uses_dynamic_stack 0
		.amdhsa_enable_private_segment 1
		.amdhsa_system_sgpr_workgroup_id_x 1
		.amdhsa_system_sgpr_workgroup_id_y 0
		.amdhsa_system_sgpr_workgroup_id_z 1
		.amdhsa_system_sgpr_workgroup_info 0
		.amdhsa_system_vgpr_workitem_id 0
		.amdhsa_next_free_vgpr 22
		.amdhsa_next_free_sgpr 43
		.amdhsa_reserve_vcc 1
		.amdhsa_float_round_mode_32 0
		.amdhsa_float_round_mode_16_64 0
		.amdhsa_float_denorm_mode_32 3
		.amdhsa_float_denorm_mode_16_64 3
		.amdhsa_fp16_overflow 0
		.amdhsa_workgroup_processor_mode 1
		.amdhsa_memory_ordered 1
		.amdhsa_forward_progress 1
		.amdhsa_inst_pref_size 24
		.amdhsa_round_robin_scheduling 0
		.amdhsa_exception_fp_ieee_invalid_op 0
		.amdhsa_exception_fp_denorm_src 0
		.amdhsa_exception_fp_ieee_div_zero 0
		.amdhsa_exception_fp_ieee_overflow 0
		.amdhsa_exception_fp_ieee_underflow 0
		.amdhsa_exception_fp_ieee_inexact 0
		.amdhsa_exception_int_div_zero 0
	.end_amdhsa_kernel
	.section	.text._ZL38rocblas_trsm_small_left_device_sharedBILi12ELi12ELb1E19rocblas_complex_numIfES1_PKPKS1_PKPS1_Ev13rocblas_fill_18rocblas_operation_17rocblas_diagonal_iiT3_T4_lilT5_lili,"axG",@progbits,_ZL38rocblas_trsm_small_left_device_sharedBILi12ELi12ELb1E19rocblas_complex_numIfES1_PKPKS1_PKPS1_Ev13rocblas_fill_18rocblas_operation_17rocblas_diagonal_iiT3_T4_lilT5_lili,comdat
.Lfunc_end145:
	.size	_ZL38rocblas_trsm_small_left_device_sharedBILi12ELi12ELb1E19rocblas_complex_numIfES1_PKPKS1_PKPS1_Ev13rocblas_fill_18rocblas_operation_17rocblas_diagonal_iiT3_T4_lilT5_lili, .Lfunc_end145-_ZL38rocblas_trsm_small_left_device_sharedBILi12ELi12ELb1E19rocblas_complex_numIfES1_PKPKS1_PKPS1_Ev13rocblas_fill_18rocblas_operation_17rocblas_diagonal_iiT3_T4_lilT5_lili
                                        ; -- End function
	.set _ZL38rocblas_trsm_small_left_device_sharedBILi12ELi12ELb1E19rocblas_complex_numIfES1_PKPKS1_PKPS1_Ev13rocblas_fill_18rocblas_operation_17rocblas_diagonal_iiT3_T4_lilT5_lili.num_vgpr, 22
	.set _ZL38rocblas_trsm_small_left_device_sharedBILi12ELi12ELb1E19rocblas_complex_numIfES1_PKPKS1_PKPS1_Ev13rocblas_fill_18rocblas_operation_17rocblas_diagonal_iiT3_T4_lilT5_lili.num_agpr, 0
	.set _ZL38rocblas_trsm_small_left_device_sharedBILi12ELi12ELb1E19rocblas_complex_numIfES1_PKPKS1_PKPS1_Ev13rocblas_fill_18rocblas_operation_17rocblas_diagonal_iiT3_T4_lilT5_lili.numbered_sgpr, 43
	.set _ZL38rocblas_trsm_small_left_device_sharedBILi12ELi12ELb1E19rocblas_complex_numIfES1_PKPKS1_PKPS1_Ev13rocblas_fill_18rocblas_operation_17rocblas_diagonal_iiT3_T4_lilT5_lili.num_named_barrier, 0
	.set _ZL38rocblas_trsm_small_left_device_sharedBILi12ELi12ELb1E19rocblas_complex_numIfES1_PKPKS1_PKPS1_Ev13rocblas_fill_18rocblas_operation_17rocblas_diagonal_iiT3_T4_lilT5_lili.private_seg_size, 112
	.set _ZL38rocblas_trsm_small_left_device_sharedBILi12ELi12ELb1E19rocblas_complex_numIfES1_PKPKS1_PKPS1_Ev13rocblas_fill_18rocblas_operation_17rocblas_diagonal_iiT3_T4_lilT5_lili.uses_vcc, 1
	.set _ZL38rocblas_trsm_small_left_device_sharedBILi12ELi12ELb1E19rocblas_complex_numIfES1_PKPKS1_PKPS1_Ev13rocblas_fill_18rocblas_operation_17rocblas_diagonal_iiT3_T4_lilT5_lili.uses_flat_scratch, 0
	.set _ZL38rocblas_trsm_small_left_device_sharedBILi12ELi12ELb1E19rocblas_complex_numIfES1_PKPKS1_PKPS1_Ev13rocblas_fill_18rocblas_operation_17rocblas_diagonal_iiT3_T4_lilT5_lili.has_dyn_sized_stack, 0
	.set _ZL38rocblas_trsm_small_left_device_sharedBILi12ELi12ELb1E19rocblas_complex_numIfES1_PKPKS1_PKPS1_Ev13rocblas_fill_18rocblas_operation_17rocblas_diagonal_iiT3_T4_lilT5_lili.has_recursion, 0
	.set _ZL38rocblas_trsm_small_left_device_sharedBILi12ELi12ELb1E19rocblas_complex_numIfES1_PKPKS1_PKPS1_Ev13rocblas_fill_18rocblas_operation_17rocblas_diagonal_iiT3_T4_lilT5_lili.has_indirect_call, 0
	.section	.AMDGPU.csdata,"",@progbits
; Kernel info:
; codeLenInByte = 3068
; TotalNumSgprs: 45
; NumVgprs: 22
; ScratchSize: 112
; MemoryBound: 0
; FloatMode: 240
; IeeeMode: 1
; LDSByteSize: 2304 bytes/workgroup (compile time only)
; SGPRBlocks: 0
; VGPRBlocks: 2
; NumSGPRsForWavesPerEU: 45
; NumVGPRsForWavesPerEU: 22
; Occupancy: 14
; WaveLimiterHint : 0
; COMPUTE_PGM_RSRC2:SCRATCH_EN: 1
; COMPUTE_PGM_RSRC2:USER_SGPR: 2
; COMPUTE_PGM_RSRC2:TRAP_HANDLER: 0
; COMPUTE_PGM_RSRC2:TGID_X_EN: 1
; COMPUTE_PGM_RSRC2:TGID_Y_EN: 0
; COMPUTE_PGM_RSRC2:TGID_Z_EN: 1
; COMPUTE_PGM_RSRC2:TIDIG_COMP_CNT: 0
	.section	.text._ZL30rocblas_trsm_small_left_deviceILi12ELi12ELb1E19rocblas_complex_numIfES1_PKPKS1_PKPS1_Ev13rocblas_fill_18rocblas_operation_17rocblas_diagonal_iiT3_T4_lilT5_lili,"axG",@progbits,_ZL30rocblas_trsm_small_left_deviceILi12ELi12ELb1E19rocblas_complex_numIfES1_PKPKS1_PKPS1_Ev13rocblas_fill_18rocblas_operation_17rocblas_diagonal_iiT3_T4_lilT5_lili,comdat
	.globl	_ZL30rocblas_trsm_small_left_deviceILi12ELi12ELb1E19rocblas_complex_numIfES1_PKPKS1_PKPS1_Ev13rocblas_fill_18rocblas_operation_17rocblas_diagonal_iiT3_T4_lilT5_lili ; -- Begin function _ZL30rocblas_trsm_small_left_deviceILi12ELi12ELb1E19rocblas_complex_numIfES1_PKPKS1_PKPS1_Ev13rocblas_fill_18rocblas_operation_17rocblas_diagonal_iiT3_T4_lilT5_lili
	.p2align	8
	.type	_ZL30rocblas_trsm_small_left_deviceILi12ELi12ELb1E19rocblas_complex_numIfES1_PKPKS1_PKPS1_Ev13rocblas_fill_18rocblas_operation_17rocblas_diagonal_iiT3_T4_lilT5_lili,@function
_ZL30rocblas_trsm_small_left_deviceILi12ELi12ELb1E19rocblas_complex_numIfES1_PKPKS1_PKPS1_Ev13rocblas_fill_18rocblas_operation_17rocblas_diagonal_iiT3_T4_lilT5_lili: ; @_ZL30rocblas_trsm_small_left_deviceILi12ELi12ELb1E19rocblas_complex_numIfES1_PKPKS1_PKPS1_Ev13rocblas_fill_18rocblas_operation_17rocblas_diagonal_iiT3_T4_lilT5_lili
; %bb.0:
	s_load_b32 s24, s[0:1], 0x60
	s_lshr_b32 s2, ttmp7, 16
	s_wait_kmcnt 0x0
	s_cmp_ge_u32 s2, s24
	s_cbranch_scc1 .LBB146_63
; %bb.1:
	s_clause 0x6
	s_load_b32 s18, s[0:1], 0x30
	s_load_b128 s[12:15], s[0:1], 0x4
	s_load_b32 s3, s[0:1], 0x50
	s_load_b32 s20, s[0:1], 0x68
	s_load_b128 s[4:7], s[0:1], 0x20
	s_load_b128 s[8:11], s[0:1], 0x40
	s_load_b64 s[16:17], s[0:1], 0x14
	v_mad_co_u64_u32 v[2:3], null, ttmp9, 12, v[0:1]
	s_mul_i32 s0, ttmp9, -12
	v_dual_mov_b32 v1, 0 :: v_dual_lshlrev_b32 v10, 3, v0
	v_mul_u32_u24_e32 v4, 0x60, v0
	s_mov_b32 s33, 0
                                        ; implicit-def: $sgpr34
                                        ; implicit-def: $sgpr35
	s_delay_alu instid0(VALU_DEP_1)
	v_add_nc_u32_e32 v15, v10, v4
	s_wait_kmcnt 0x0
	s_ashr_i32 s19, s18, 31
	s_cmp_lg_u32 s12, 0x71
	v_mad_co_i64_i32 v[2:3], null, s3, v2, 0
	s_cselect_b32 s25, -1, 0
	s_min_i32 s26, s14, 12
	s_add_co_i32 s20, s20, -1
	s_wait_alu 0xfffe
	s_add_co_i32 s1, s15, s0
	s_add_co_i32 s27, s26, -1
	s_cmp_ge_u32 ttmp9, s20
	v_lshlrev_b64_e32 v[2:3], 3, v[2:3]
	s_wait_alu 0xfffe
	s_cselect_b32 s1, s1, 12
	s_cmp_lg_u32 s13, 0x84
	v_cmp_gt_i32_e64 s0, s26, v0
	s_cselect_b32 s28, -1, 0
	s_cmp_lg_u32 s12, 0x6f
	s_wait_alu 0xfffe
	v_cmp_gt_i32_e64 s1, s1, v0
	s_cselect_b32 s29, -1, 0
	s_lshl_b64 s[6:7], s[6:7], 3
	s_lshl_b32 s31, s26, 3
	v_add_co_u32 v0, s3, s6, v10
	s_wait_alu 0xf1ff
	v_add_co_ci_u32_e64 v11, null, s7, 0, s3
	s_lshl_b64 s[6:7], s[10:11], 3
	v_or_b32_e32 v12, 4, v0
	s_wait_alu 0xfffe
	v_add_co_u32 v5, vcc_lo, v2, s6
	s_delay_alu instid0(VALU_DEP_1) | instskip(SKIP_1) | instid1(VALU_DEP_3)
	v_add_co_ci_u32_e64 v13, null, s7, v3, vcc_lo
	v_mov_b32_e32 v0, 1.0
	v_or_b32_e32 v14, 4, v5
	s_or_b32 s30, 0, 4
	s_lshl_b64 s[10:11], s[18:19], 3
	s_add_co_i32 s31, s31, -8
	s_mov_b32 s13, 0
	s_branch .LBB146_4
.LBB146_2:                              ;   in Loop: Header=BB146_4 Depth=1
	s_add_co_i32 s2, s2, 0x10000
	s_wait_alu 0xfffe
	s_cmp_ge_u32 s2, s24
	s_cselect_b32 s12, -1, 0
	s_and_not1_b32 s35, s35, exec_lo
	s_or_not1_b32 s12, s12, exec_lo
.LBB146_3:                              ;   in Loop: Header=BB146_4 Depth=1
	s_wait_alu 0xfffe
	s_or_b32 exec_lo, exec_lo, s3
	s_delay_alu instid0(SALU_CYCLE_1)
	s_and_b32 s3, exec_lo, s12
	s_wait_alu 0xfffe
	s_or_b32 s33, s3, s33
	s_and_not1_b32 s3, s34, exec_lo
	s_and_b32 s12, s35, exec_lo
	s_wait_alu 0xfffe
	s_or_b32 s34, s3, s12
	s_and_not1_b32 exec_lo, exec_lo, s33
	s_cbranch_execz .LBB146_62
.LBB146_4:                              ; =>This Loop Header: Depth=1
                                        ;     Child Loop BB146_7 Depth 2
                                        ;     Child Loop BB146_23 Depth 2
                                        ;       Child Loop BB146_26 Depth 3
                                        ;         Child Loop BB146_27 Depth 4
                                        ;         Child Loop BB146_29 Depth 4
                                        ;           Child Loop BB146_30 Depth 5
                                        ;         Child Loop BB146_34 Depth 4
                                        ;           Child Loop BB146_36 Depth 5
                                        ;     Child Loop BB146_44 Depth 2
                                        ;       Child Loop BB146_47 Depth 3
                                        ;         Child Loop BB146_48 Depth 4
                                        ;         Child Loop BB146_51 Depth 4
                                        ;           Child Loop BB146_52 Depth 5
                                        ;         Child Loop BB146_56 Depth 4
                                        ;           Child Loop BB146_58 Depth 5
	s_mov_b32 s3, s13
	s_wait_alu 0xfffe
	s_lshl_b64 s[14:15], s[2:3], 3
	s_delay_alu instid0(SALU_CYCLE_1)
	s_add_nc_u64 s[18:19], s[8:9], s[14:15]
	global_load_b64 v[4:5], v1, s[18:19]
	s_and_saveexec_b32 s3, s0
	s_cbranch_execz .LBB146_19
; %bb.5:                                ;   in Loop: Header=BB146_4 Depth=1
	s_add_nc_u64 s[14:15], s[4:5], s[14:15]
	v_mov_b32_e32 v16, v10
	global_load_b64 v[6:7], v1, s[14:15]
	s_mov_b32 s12, s26
	s_wait_loadcnt 0x0
	v_add_co_u32 v6, vcc_lo, v6, v12
	s_wait_alu 0xfffd
	v_add_co_ci_u32_e64 v7, null, v7, v11, vcc_lo
	s_branch .LBB146_7
.LBB146_6:                              ;   in Loop: Header=BB146_7 Depth=2
	flat_load_b32 v8, v[6:7] offset:-4
	v_add_co_u32 v6, vcc_lo, v6, s10
	s_wait_alu 0xfffd
	v_add_co_ci_u32_e64 v7, null, s11, v7, vcc_lo
	s_add_co_i32 s12, s12, -1
	s_delay_alu instid0(SALU_CYCLE_1)
	s_cmp_eq_u32 s12, 0
	s_wait_loadcnt_dscnt 0x0
	ds_store_b64 v16, v[8:9]
	v_add_nc_u32_e32 v16, 0x60, v16
	s_cbranch_scc1 .LBB146_11
.LBB146_7:                              ;   Parent Loop BB146_4 Depth=1
                                        ; =>  This Inner Loop Header: Depth=2
	s_and_b32 vcc_lo, exec_lo, s25
	s_mov_b32 s14, -1
                                        ; implicit-def: $vgpr9
	s_wait_alu 0xfffe
	s_cbranch_vccz .LBB146_9
; %bb.8:                                ;   in Loop: Header=BB146_7 Depth=2
	flat_load_b32 v9, v[6:7]
	s_mov_b32 s14, 0
.LBB146_9:                              ;   in Loop: Header=BB146_7 Depth=2
	s_delay_alu instid0(SALU_CYCLE_1)
	s_and_not1_b32 vcc_lo, exec_lo, s14
	s_wait_alu 0xfffe
	s_cbranch_vccnz .LBB146_6
; %bb.10:                               ;   in Loop: Header=BB146_7 Depth=2
	flat_load_b32 v8, v[6:7]
	s_wait_loadcnt_dscnt 0x0
	v_xor_b32_e32 v9, 0x80000000, v8
	s_branch .LBB146_6
.LBB146_11:                             ;   in Loop: Header=BB146_4 Depth=1
	s_and_b32 vcc_lo, exec_lo, s28
	s_mov_b32 s12, -1
	s_wait_alu 0xfffe
	s_cbranch_vccz .LBB146_17
; %bb.12:                               ;   in Loop: Header=BB146_4 Depth=1
	ds_load_b64 v[6:7], v15
                                        ; implicit-def: $vgpr8
	s_wait_dscnt 0x0
	v_cmp_ngt_f32_e64 s12, |v6|, |v7|
	s_and_saveexec_b32 s14, s12
	s_delay_alu instid0(SALU_CYCLE_1)
	s_xor_b32 s12, exec_lo, s14
	s_cbranch_execz .LBB146_14
; %bb.13:                               ;   in Loop: Header=BB146_4 Depth=1
	v_div_scale_f32 v8, null, v7, v7, v6
	v_div_scale_f32 v17, vcc_lo, v6, v7, v6
	s_delay_alu instid0(VALU_DEP_2) | instskip(NEXT) | instid1(TRANS32_DEP_1)
	v_rcp_f32_e32 v9, v8
	v_fma_f32 v16, -v8, v9, 1.0
	s_delay_alu instid0(VALU_DEP_1) | instskip(NEXT) | instid1(VALU_DEP_1)
	v_fmac_f32_e32 v9, v16, v9
	v_mul_f32_e32 v16, v17, v9
	s_delay_alu instid0(VALU_DEP_1) | instskip(NEXT) | instid1(VALU_DEP_1)
	v_fma_f32 v18, -v8, v16, v17
	v_fmac_f32_e32 v16, v18, v9
	s_delay_alu instid0(VALU_DEP_1) | instskip(SKIP_1) | instid1(VALU_DEP_1)
	v_fma_f32 v8, -v8, v16, v17
	s_wait_alu 0xfffd
	v_div_fmas_f32 v8, v8, v9, v16
	s_delay_alu instid0(VALU_DEP_1) | instskip(NEXT) | instid1(VALU_DEP_1)
	v_div_fixup_f32 v8, v8, v7, v6
	v_fmac_f32_e32 v7, v6, v8
	s_delay_alu instid0(VALU_DEP_1) | instskip(SKIP_1) | instid1(VALU_DEP_2)
	v_div_scale_f32 v6, null, v7, v7, 1.0
	v_div_scale_f32 v17, vcc_lo, 1.0, v7, 1.0
	v_rcp_f32_e32 v9, v6
	s_delay_alu instid0(TRANS32_DEP_1) | instskip(NEXT) | instid1(VALU_DEP_1)
	v_fma_f32 v16, -v6, v9, 1.0
	v_fmac_f32_e32 v9, v16, v9
	s_delay_alu instid0(VALU_DEP_1) | instskip(NEXT) | instid1(VALU_DEP_1)
	v_mul_f32_e32 v16, v17, v9
	v_fma_f32 v18, -v6, v16, v17
	s_delay_alu instid0(VALU_DEP_1) | instskip(NEXT) | instid1(VALU_DEP_1)
	v_fmac_f32_e32 v16, v18, v9
	v_fma_f32 v6, -v6, v16, v17
	s_wait_alu 0xfffd
	s_delay_alu instid0(VALU_DEP_1) | instskip(SKIP_1) | instid1(VALU_DEP_2)
	v_div_fmas_f32 v6, v6, v9, v16
	v_add_f32_e32 v9, 0, v8
	v_div_fixup_f32 v6, v6, v7, 1.0
	v_fma_f32 v7, v8, 0, -1.0
	s_delay_alu instid0(VALU_DEP_2) | instskip(NEXT) | instid1(VALU_DEP_2)
	v_mul_f32_e32 v8, v9, v6
	v_mul_f32_e32 v9, v7, v6
                                        ; implicit-def: $vgpr6_vgpr7
.LBB146_14:                             ;   in Loop: Header=BB146_4 Depth=1
	s_and_not1_saveexec_b32 s12, s12
	s_cbranch_execz .LBB146_16
; %bb.15:                               ;   in Loop: Header=BB146_4 Depth=1
	v_div_scale_f32 v8, null, v6, v6, v7
	v_div_scale_f32 v17, vcc_lo, v7, v6, v7
	s_delay_alu instid0(VALU_DEP_2) | instskip(NEXT) | instid1(TRANS32_DEP_1)
	v_rcp_f32_e32 v9, v8
	v_fma_f32 v16, -v8, v9, 1.0
	s_delay_alu instid0(VALU_DEP_1) | instskip(NEXT) | instid1(VALU_DEP_1)
	v_fmac_f32_e32 v9, v16, v9
	v_mul_f32_e32 v16, v17, v9
	s_delay_alu instid0(VALU_DEP_1) | instskip(NEXT) | instid1(VALU_DEP_1)
	v_fma_f32 v18, -v8, v16, v17
	v_fmac_f32_e32 v16, v18, v9
	s_delay_alu instid0(VALU_DEP_1) | instskip(SKIP_1) | instid1(VALU_DEP_1)
	v_fma_f32 v8, -v8, v16, v17
	s_wait_alu 0xfffd
	v_div_fmas_f32 v8, v8, v9, v16
	s_delay_alu instid0(VALU_DEP_1) | instskip(NEXT) | instid1(VALU_DEP_1)
	v_div_fixup_f32 v9, v8, v6, v7
	v_fmac_f32_e32 v6, v7, v9
	s_delay_alu instid0(VALU_DEP_1) | instskip(SKIP_1) | instid1(VALU_DEP_2)
	v_div_scale_f32 v7, null, v6, v6, 1.0
	v_div_scale_f32 v17, vcc_lo, 1.0, v6, 1.0
	v_rcp_f32_e32 v8, v7
	s_delay_alu instid0(TRANS32_DEP_1) | instskip(NEXT) | instid1(VALU_DEP_1)
	v_fma_f32 v16, -v7, v8, 1.0
	v_fmac_f32_e32 v8, v16, v8
	s_delay_alu instid0(VALU_DEP_1) | instskip(NEXT) | instid1(VALU_DEP_1)
	v_mul_f32_e32 v16, v17, v8
	v_fma_f32 v18, -v7, v16, v17
	s_delay_alu instid0(VALU_DEP_1) | instskip(NEXT) | instid1(VALU_DEP_1)
	v_fmac_f32_e32 v16, v18, v8
	v_fma_f32 v7, -v7, v16, v17
	s_wait_alu 0xfffd
	s_delay_alu instid0(VALU_DEP_1) | instskip(SKIP_1) | instid1(VALU_DEP_2)
	v_div_fmas_f32 v7, v7, v8, v16
	v_fma_f32 v8, v9, 0, 1.0
	v_div_fixup_f32 v6, v7, v6, 1.0
	s_delay_alu instid0(VALU_DEP_1)
	v_mul_f32_e32 v8, v8, v6
	v_mul_f32_e64 v9, -v9, v6
.LBB146_16:                             ;   in Loop: Header=BB146_4 Depth=1
	s_or_b32 exec_lo, exec_lo, s12
	s_mov_b32 s12, 0
	ds_store_b64 v15, v[8:9]
.LBB146_17:                             ;   in Loop: Header=BB146_4 Depth=1
	s_and_b32 vcc_lo, exec_lo, s12
	s_wait_alu 0xfffe
	s_cbranch_vccz .LBB146_19
; %bb.18:                               ;   in Loop: Header=BB146_4 Depth=1
	ds_store_b64 v15, v[0:1]
.LBB146_19:                             ;   in Loop: Header=BB146_4 Depth=1
	s_wait_alu 0xfffe
	s_or_b32 exec_lo, exec_lo, s3
	s_mov_b32 s12, -1
	s_or_b32 s35, s35, exec_lo
	; wave barrier
	s_wait_loadcnt_dscnt 0x0
	global_inv scope:SCOPE_SE
	s_and_saveexec_b32 s3, s1
	s_cbranch_execz .LBB146_3
; %bb.20:                               ;   in Loop: Header=BB146_4 Depth=1
	v_add_co_u32 v6, vcc_lo, v4, s6
	s_wait_alu 0xfffd
	v_add_co_ci_u32_e64 v7, null, s7, v5, vcc_lo
	s_delay_alu instid0(VALU_DEP_2) | instskip(SKIP_1) | instid1(VALU_DEP_2)
	v_add_co_u32 v8, vcc_lo, v6, v2
	s_wait_alu 0xfffd
	v_add_co_ci_u32_e64 v9, null, v7, v3, vcc_lo
	s_and_not1_b32 vcc_lo, exec_lo, s29
	s_wait_alu 0xfffe
	s_cbranch_vccnz .LBB146_41
; %bb.21:                               ;   in Loop: Header=BB146_4 Depth=1
	v_add_co_u32 v16, vcc_lo, v4, v14
	s_wait_alu 0xfffd
	v_add_co_ci_u32_e64 v17, null, v5, v13, vcc_lo
	s_mov_b32 s12, 0
	s_mov_b32 s14, s27
	s_branch .LBB146_23
.LBB146_22:                             ;   in Loop: Header=BB146_23 Depth=2
	s_cmp_gt_i32 s14, -1
	s_cselect_b32 s15, -1, 0
	s_add_co_i32 s18, s12, 1
	s_cmp_lt_u32 s12, 2
	s_cselect_b32 s12, -1, 0
	s_delay_alu instid0(SALU_CYCLE_1) | instskip(NEXT) | instid1(SALU_CYCLE_1)
	s_and_b32 s12, s15, s12
	s_and_b32 vcc_lo, exec_lo, s12
	s_wait_alu 0xfffe
	s_mov_b32 s12, s18
	s_cbranch_vccz .LBB146_40
.LBB146_23:                             ;   Parent Loop BB146_4 Depth=1
                                        ; =>  This Loop Header: Depth=2
                                        ;       Child Loop BB146_26 Depth 3
                                        ;         Child Loop BB146_27 Depth 4
                                        ;         Child Loop BB146_29 Depth 4
                                        ;           Child Loop BB146_30 Depth 5
                                        ;         Child Loop BB146_34 Depth 4
                                        ;           Child Loop BB146_36 Depth 5
	s_getpc_b64 s[18:19]
	s_wait_alu 0xfffe
	s_sext_i32_i16 s19, s19
	s_add_co_u32 s18, s18, __const._ZL30rocblas_trsm_small_left_deviceILi12ELi12ELb1E19rocblas_complex_numIfES1_PKPKS1_PKPS1_Ev13rocblas_fill_18rocblas_operation_17rocblas_diagonal_iiT3_T4_lilT5_lili.step_sizes@rel32@lo+12
	s_wait_alu 0xfffe
	s_add_co_ci_u32 s19, s19, __const._ZL30rocblas_trsm_small_left_deviceILi12ELi12ELb1E19rocblas_complex_numIfES1_PKPKS1_PKPS1_Ev13rocblas_fill_18rocblas_operation_17rocblas_diagonal_iiT3_T4_lilT5_lili.step_sizes@rel32@hi+24
	s_lshl_b64 s[20:21], s[12:13], 2
	s_wait_alu 0xfffe
	s_add_nc_u64 s[18:19], s[18:19], s[20:21]
	s_load_b32 s22, s[18:19], 0x0
	s_wait_kmcnt 0x0
	s_add_co_i32 s23, s22, -1
	s_wait_alu 0xfffe
	s_cmp_lt_i32 s14, s23
	s_cbranch_scc1 .LBB146_22
; %bb.24:                               ;   in Loop: Header=BB146_23 Depth=2
	s_mul_i32 s15, s14, 0x60
	s_max_i32 s36, s22, 1
	s_add_co_i32 s37, s31, s15
	s_mul_i32 s38, s22, 0xffffffa0
	s_mul_i32 s39, s14, 0x68
	;; [unrolled: 1-line block ×3, first 2 shown]
	s_branch .LBB146_26
.LBB146_25:                             ;   in Loop: Header=BB146_26 Depth=3
	s_sub_co_i32 s14, s14, s22
	s_add_co_i32 s37, s37, s38
	s_add_co_i32 s39, s39, s40
	s_cmp_lt_i32 s14, s23
	s_cbranch_scc1 .LBB146_22
.LBB146_26:                             ;   Parent Loop BB146_4 Depth=1
                                        ;     Parent Loop BB146_23 Depth=2
                                        ; =>    This Loop Header: Depth=3
                                        ;         Child Loop BB146_27 Depth 4
                                        ;         Child Loop BB146_29 Depth 4
                                        ;           Child Loop BB146_30 Depth 5
                                        ;         Child Loop BB146_34 Depth 4
                                        ;           Child Loop BB146_36 Depth 5
	s_ashr_i32 s15, s14, 31
	s_delay_alu instid0(SALU_CYCLE_1)
	s_lshl_b64 s[18:19], s[14:15], 3
	s_wait_alu 0xfffe
	v_add_co_u32 v6, vcc_lo, v16, s18
	s_wait_alu 0xfffd
	v_add_co_ci_u32_e64 v7, null, s19, v17, vcc_lo
	s_mov_b32 s18, 4
	s_mov_b32 s19, s36
.LBB146_27:                             ;   Parent Loop BB146_4 Depth=1
                                        ;     Parent Loop BB146_23 Depth=2
                                        ;       Parent Loop BB146_26 Depth=3
                                        ; =>      This Inner Loop Header: Depth=4
	flat_load_b64 v[18:19], v[6:7] offset:-4
	v_add_co_u32 v6, vcc_lo, v6, -8
	s_wait_alu 0xfffd
	v_add_co_ci_u32_e64 v7, null, -1, v7, vcc_lo
	s_wait_alu 0xfffe
	s_add_co_i32 s19, s19, -1
	s_mov_b32 s20, s18
	s_add_co_i32 s18, s18, 8
	s_wait_alu 0xfffe
	s_cmp_eq_u32 s19, 0
	s_wait_loadcnt_dscnt 0x0
	v_mul_f32_e32 v20, s16, v19
	s_delay_alu instid0(VALU_DEP_1) | instskip(NEXT) | instid1(VALU_DEP_1)
	v_dual_mul_f32 v21, s17, v19 :: v_dual_fmac_f32 v20, s17, v18
	v_fma_f32 v19, v18, s16, -v21
	scratch_store_b64 off, v[19:20], s20 offset:-4
	s_cbranch_scc0 .LBB146_27
; %bb.28:                               ;   in Loop: Header=BB146_26 Depth=3
	s_cmp_le_i32 s27, s14
	s_mov_b32 s20, s37
	s_mov_b32 s18, s27
	s_cbranch_scc1 .LBB146_32
.LBB146_29:                             ;   Parent Loop BB146_4 Depth=1
                                        ;     Parent Loop BB146_23 Depth=2
                                        ;       Parent Loop BB146_26 Depth=3
                                        ; =>      This Loop Header: Depth=4
                                        ;           Child Loop BB146_30 Depth 5
	s_wait_alu 0xfffe
	s_ashr_i32 s19, s18, 31
	s_mov_b32 s21, s20
	s_wait_alu 0xfffe
	s_lshl_b64 s[42:43], s[18:19], 3
	s_mov_b32 s19, s30
	s_wait_alu 0xfffe
	v_add_co_u32 v6, vcc_lo, v8, s42
	s_wait_alu 0xfffd
	v_add_co_ci_u32_e64 v7, null, s43, v9, vcc_lo
	s_mov_b32 s41, s36
	flat_load_b64 v[6:7], v[6:7]
.LBB146_30:                             ;   Parent Loop BB146_4 Depth=1
                                        ;     Parent Loop BB146_23 Depth=2
                                        ;       Parent Loop BB146_26 Depth=3
                                        ;         Parent Loop BB146_29 Depth=4
                                        ; =>        This Inner Loop Header: Depth=5
	scratch_load_b64 v[18:19], off, s19 offset:-4
	v_mov_b32_e32 v20, s21
	s_wait_alu 0xfffe
	s_add_co_i32 s41, s41, -1
	s_addk_co_i32 s21, 0xffa0
	ds_load_b64 v[20:21], v20
	s_wait_loadcnt_dscnt 0x100
	v_mul_f32_e32 v22, v21, v7
	v_mul_f32_e32 v21, v21, v6
	s_delay_alu instid0(VALU_DEP_1) | instskip(SKIP_1) | instid1(VALU_DEP_1)
	v_fmac_f32_e32 v21, v20, v7
	s_wait_loadcnt 0x0
	v_sub_f32_e32 v19, v19, v21
	v_fma_f32 v22, v20, v6, -v22
	s_delay_alu instid0(VALU_DEP_1)
	v_sub_f32_e32 v18, v18, v22
	scratch_store_b64 off, v[18:19], s19 offset:-4
	s_add_co_i32 s19, s19, 8
	s_wait_alu 0xfffe
	s_cmp_eq_u32 s41, 0
	s_cbranch_scc0 .LBB146_30
; %bb.31:                               ;   in Loop: Header=BB146_29 Depth=4
	s_add_co_i32 s18, s18, -1
	s_add_co_i32 s20, s20, -8
	s_wait_alu 0xfffe
	s_cmp_le_i32 s18, s14
	s_cbranch_scc0 .LBB146_29
.LBB146_32:                             ;   in Loop: Header=BB146_26 Depth=3
	s_mov_b32 s41, 0
	s_mov_b32 s42, s39
	s_branch .LBB146_34
.LBB146_33:                             ;   in Loop: Header=BB146_34 Depth=4
	s_wait_alu 0xfffe
	s_mulk_i32 s20, 0x68
	s_lshl_b64 s[18:19], s[18:19], 3
	s_wait_alu 0xfffe
	v_mov_b32_e32 v18, s20
	s_lshl_b32 s20, s41, 3
	s_add_co_i32 s41, s41, 1
	s_addk_co_i32 s42, 0xffa0
	s_wait_alu 0xfffe
	s_cmp_eq_u32 s41, s36
	ds_load_b64 v[18:19], v18
	s_wait_loadcnt_dscnt 0x0
	v_mul_f32_e32 v20, v19, v7
	v_mul_f32_e32 v21, v18, v7
	s_delay_alu instid0(VALU_DEP_2) | instskip(NEXT) | instid1(VALU_DEP_2)
	v_fma_f32 v20, v18, v6, -v20
	v_fmac_f32_e32 v21, v19, v6
	v_add_co_u32 v6, vcc_lo, v8, s18
	s_wait_alu 0xfffd
	v_add_co_ci_u32_e64 v7, null, s19, v9, vcc_lo
	scratch_store_b64 off, v[20:21], s20
	flat_store_b64 v[6:7], v[20:21]
	s_cbranch_scc1 .LBB146_25
.LBB146_34:                             ;   Parent Loop BB146_4 Depth=1
                                        ;     Parent Loop BB146_23 Depth=2
                                        ;       Parent Loop BB146_26 Depth=3
                                        ; =>      This Loop Header: Depth=4
                                        ;           Child Loop BB146_36 Depth 5
	s_wait_alu 0xfffe
	s_cmp_lg_u32 s41, 0
	s_cbranch_scc0 .LBB146_38
; %bb.35:                               ;   in Loop: Header=BB146_34 Depth=4
	s_lshl_b32 s18, s41, 3
	s_mov_b32 s19, 0
	scratch_load_b64 v[6:7], off, s18
	s_mov_b32 s20, s42
	s_mov_b32 s21, s41
.LBB146_36:                             ;   Parent Loop BB146_4 Depth=1
                                        ;     Parent Loop BB146_23 Depth=2
                                        ;       Parent Loop BB146_26 Depth=3
                                        ;         Parent Loop BB146_34 Depth=4
                                        ; =>        This Inner Loop Header: Depth=5
	scratch_load_b64 v[18:19], off, s19
	s_wait_alu 0xfffe
	v_mov_b32_e32 v20, s20
	s_add_co_i32 s21, s21, -1
	s_add_co_i32 s20, s20, -8
	s_add_co_i32 s19, s19, 8
	s_wait_alu 0xfffe
	s_cmp_eq_u32 s21, 0
	ds_load_b64 v[20:21], v20
	s_wait_loadcnt_dscnt 0x0
	v_mul_f32_e32 v22, v21, v19
	v_mul_f32_e32 v19, v20, v19
	s_delay_alu instid0(VALU_DEP_2) | instskip(NEXT) | instid1(VALU_DEP_1)
	v_fma_f32 v20, v20, v18, -v22
	v_dual_sub_f32 v6, v6, v20 :: v_dual_fmac_f32 v19, v21, v18
	s_delay_alu instid0(VALU_DEP_1)
	v_sub_f32_e32 v7, v7, v19
	scratch_store_b64 off, v[6:7], s18
	s_cbranch_scc0 .LBB146_36
; %bb.37:                               ;   in Loop: Header=BB146_34 Depth=4
	s_sub_co_i32 s20, s14, s41
	s_wait_alu 0xfffe
	s_ashr_i32 s21, s20, 31
	s_wait_alu 0xfffe
	s_mov_b64 s[18:19], s[20:21]
	s_branch .LBB146_33
.LBB146_38:                             ;   in Loop: Header=BB146_34 Depth=4
                                        ; implicit-def: $vgpr6
                                        ; implicit-def: $sgpr20
                                        ; implicit-def: $sgpr18_sgpr19
	s_cbranch_execz .LBB146_33
; %bb.39:                               ;   in Loop: Header=BB146_34 Depth=4
	scratch_load_b64 v[6:7], off, off
	s_mov_b64 s[18:19], s[14:15]
	s_mov_b32 s20, s14
	s_branch .LBB146_33
.LBB146_40:                             ;   in Loop: Header=BB146_4 Depth=1
	s_mov_b32 s12, 0
.LBB146_41:                             ;   in Loop: Header=BB146_4 Depth=1
	s_delay_alu instid0(SALU_CYCLE_1)
	s_and_b32 vcc_lo, exec_lo, s12
	s_wait_alu 0xfffe
	s_cbranch_vccz .LBB146_2
; %bb.42:                               ;   in Loop: Header=BB146_4 Depth=1
	v_add_co_u32 v16, vcc_lo, v4, v14
	s_wait_alu 0xfffd
	v_add_co_ci_u32_e64 v17, null, v5, v13, vcc_lo
	s_mov_b32 s14, 0
	s_mov_b32 s18, 0
	s_branch .LBB146_44
.LBB146_43:                             ;   in Loop: Header=BB146_44 Depth=2
	s_cmp_lt_i32 s14, s26
	s_cselect_b32 s12, -1, 0
	s_add_co_i32 s15, s18, 1
	s_cmp_lt_u32 s18, 2
	s_cselect_b32 s18, -1, 0
	s_wait_alu 0xfffe
	s_and_b32 s12, s12, s18
	s_mov_b32 s18, s15
	s_and_not1_b32 vcc_lo, exec_lo, s12
	s_wait_alu 0xfffe
	s_cbranch_vccnz .LBB146_2
.LBB146_44:                             ;   Parent Loop BB146_4 Depth=1
                                        ; =>  This Loop Header: Depth=2
                                        ;       Child Loop BB146_47 Depth 3
                                        ;         Child Loop BB146_48 Depth 4
                                        ;         Child Loop BB146_51 Depth 4
                                        ;           Child Loop BB146_52 Depth 5
                                        ;         Child Loop BB146_56 Depth 4
                                        ;           Child Loop BB146_58 Depth 5
	s_mov_b32 s19, s13
	s_getpc_b64 s[20:21]
	s_wait_alu 0xfffe
	s_sext_i32_i16 s21, s21
	s_add_co_u32 s20, s20, __const._ZL30rocblas_trsm_small_left_deviceILi12ELi12ELb1E19rocblas_complex_numIfES1_PKPKS1_PKPS1_Ev13rocblas_fill_18rocblas_operation_17rocblas_diagonal_iiT3_T4_lilT5_lili.step_sizes@rel32@lo+12
	s_wait_alu 0xfffe
	s_add_co_ci_u32 s21, s21, __const._ZL30rocblas_trsm_small_left_deviceILi12ELi12ELb1E19rocblas_complex_numIfES1_PKPKS1_PKPS1_Ev13rocblas_fill_18rocblas_operation_17rocblas_diagonal_iiT3_T4_lilT5_lili.step_sizes@rel32@hi+24
	s_lshl_b64 s[22:23], s[18:19], 2
	s_wait_alu 0xfffe
	s_add_nc_u64 s[20:21], s[20:21], s[22:23]
	s_load_b32 s20, s[20:21], 0x0
	s_wait_kmcnt 0x0
	s_add_co_i32 s19, s20, -1
	s_wait_alu 0xfffe
	s_add_co_i32 s12, s19, s14
	s_delay_alu instid0(SALU_CYCLE_1)
	s_cmp_ge_i32 s12, s26
	s_cbranch_scc1 .LBB146_43
; %bb.45:                               ;   in Loop: Header=BB146_44 Depth=2
	s_ashr_i32 s15, s14, 31
	s_ashr_i32 s21, s20, 31
	s_lshl_b64 s[22:23], s[14:15], 3
	s_max_i32 s36, s20, 1
	s_wait_alu 0xfffe
	v_add_co_u32 v4, vcc_lo, v16, s22
	s_wait_alu 0xfffd
	v_add_co_ci_u32_e64 v5, null, s23, v17, vcc_lo
	s_lshl_b64 s[22:23], s[20:21], 3
	s_lshl_b32 s15, s14, 3
	s_lshl_b32 s21, s20, 3
	s_mul_i32 s37, s14, 0x68
	s_mul_i32 s38, s20, 0x68
	s_branch .LBB146_47
.LBB146_46:                             ;   in Loop: Header=BB146_47 Depth=3
	v_add_co_u32 v4, vcc_lo, v4, s22
	s_add_co_i32 s14, s14, s20
	s_wait_alu 0xfffd
	v_add_co_ci_u32_e64 v5, null, s23, v5, vcc_lo
	s_add_co_i32 s12, s19, s14
	s_add_co_i32 s15, s15, s21
	;; [unrolled: 1-line block ×3, first 2 shown]
	s_cmp_ge_i32 s12, s26
	s_cbranch_scc1 .LBB146_43
.LBB146_47:                             ;   Parent Loop BB146_4 Depth=1
                                        ;     Parent Loop BB146_44 Depth=2
                                        ; =>    This Loop Header: Depth=3
                                        ;         Child Loop BB146_48 Depth 4
                                        ;         Child Loop BB146_51 Depth 4
                                        ;           Child Loop BB146_52 Depth 5
                                        ;         Child Loop BB146_56 Depth 4
                                        ;           Child Loop BB146_58 Depth 5
	v_dual_mov_b32 v7, v5 :: v_dual_mov_b32 v6, v4
	s_mov_b32 s12, 4
	s_mov_b32 s39, s36
.LBB146_48:                             ;   Parent Loop BB146_4 Depth=1
                                        ;     Parent Loop BB146_44 Depth=2
                                        ;       Parent Loop BB146_47 Depth=3
                                        ; =>      This Inner Loop Header: Depth=4
	flat_load_b64 v[18:19], v[6:7] offset:-4
	v_add_co_u32 v6, vcc_lo, v6, 8
	s_wait_alu 0xfffd
	v_add_co_ci_u32_e64 v7, null, 0, v7, vcc_lo
	s_add_co_i32 s39, s39, -1
	s_mov_b32 s40, s12
	s_add_co_i32 s12, s12, 8
	s_cmp_eq_u32 s39, 0
	s_wait_loadcnt_dscnt 0x0
	v_mul_f32_e32 v20, s16, v19
	s_delay_alu instid0(VALU_DEP_1) | instskip(NEXT) | instid1(VALU_DEP_1)
	v_dual_mul_f32 v21, s17, v19 :: v_dual_fmac_f32 v20, s17, v18
	v_fma_f32 v19, v18, s16, -v21
	scratch_store_b64 off, v[19:20], s40 offset:-4
	s_cbranch_scc0 .LBB146_48
; %bb.49:                               ;   in Loop: Header=BB146_47 Depth=3
	s_cmp_lt_i32 s14, 1
	s_cbranch_scc1 .LBB146_54
; %bb.50:                               ;   in Loop: Header=BB146_47 Depth=3
	s_mov_b32 s12, 0
	s_mov_b32 s39, s15
.LBB146_51:                             ;   Parent Loop BB146_4 Depth=1
                                        ;     Parent Loop BB146_44 Depth=2
                                        ;       Parent Loop BB146_47 Depth=3
                                        ; =>      This Loop Header: Depth=4
                                        ;           Child Loop BB146_52 Depth 5
	s_lshl_b64 s[40:41], s[12:13], 3
	s_mov_b32 s42, s36
	s_wait_alu 0xfffe
	v_add_co_u32 v6, vcc_lo, v8, s40
	s_wait_alu 0xfffd
	v_add_co_ci_u32_e64 v7, null, s41, v9, vcc_lo
	s_mov_b32 s40, s30
	s_mov_b32 s41, s39
	flat_load_b64 v[6:7], v[6:7]
.LBB146_52:                             ;   Parent Loop BB146_4 Depth=1
                                        ;     Parent Loop BB146_44 Depth=2
                                        ;       Parent Loop BB146_47 Depth=3
                                        ;         Parent Loop BB146_51 Depth=4
                                        ; =>        This Inner Loop Header: Depth=5
	scratch_load_b64 v[18:19], off, s40 offset:-4
	s_wait_alu 0xfffe
	v_mov_b32_e32 v20, s41
	s_add_co_i32 s42, s42, -1
	s_add_co_i32 s41, s41, 8
	ds_load_b64 v[20:21], v20
	s_wait_loadcnt_dscnt 0x100
	v_mul_f32_e32 v22, v21, v7
	v_mul_f32_e32 v21, v21, v6
	s_delay_alu instid0(VALU_DEP_1) | instskip(SKIP_1) | instid1(VALU_DEP_1)
	v_fmac_f32_e32 v21, v20, v7
	s_wait_loadcnt 0x0
	v_sub_f32_e32 v19, v19, v21
	v_fma_f32 v22, v20, v6, -v22
	s_delay_alu instid0(VALU_DEP_1)
	v_sub_f32_e32 v18, v18, v22
	scratch_store_b64 off, v[18:19], s40 offset:-4
	s_add_co_i32 s40, s40, 8
	s_wait_alu 0xfffe
	s_cmp_eq_u32 s42, 0
	s_cbranch_scc0 .LBB146_52
; %bb.53:                               ;   in Loop: Header=BB146_51 Depth=4
	s_add_co_i32 s12, s12, 1
	s_addk_co_i32 s39, 0x60
	s_cmp_eq_u32 s12, s14
	s_cbranch_scc0 .LBB146_51
.LBB146_54:                             ;   in Loop: Header=BB146_47 Depth=3
	s_mov_b32 s12, 0
	s_mov_b32 s39, s37
	s_branch .LBB146_56
.LBB146_55:                             ;   in Loop: Header=BB146_56 Depth=4
	s_add_co_i32 s40, s12, s14
	s_lshl_b32 s42, s12, 3
	s_wait_alu 0xfffe
	s_mul_i32 s41, s40, 0x68
	s_add_co_i32 s12, s12, 1
	s_wait_alu 0xfffe
	v_mov_b32_e32 v18, s41
	s_ashr_i32 s41, s40, 31
	s_add_co_i32 s39, s39, 8
	s_wait_alu 0xfffe
	s_lshl_b64 s[40:41], s[40:41], 3
	s_cmp_eq_u32 s12, s36
	ds_load_b64 v[18:19], v18
	s_wait_loadcnt_dscnt 0x0
	v_mul_f32_e32 v20, v19, v7
	v_mul_f32_e32 v21, v18, v7
	s_delay_alu instid0(VALU_DEP_2) | instskip(NEXT) | instid1(VALU_DEP_2)
	v_fma_f32 v20, v18, v6, -v20
	v_fmac_f32_e32 v21, v19, v6
	s_wait_alu 0xfffe
	v_add_co_u32 v6, vcc_lo, v8, s40
	s_wait_alu 0xfffd
	v_add_co_ci_u32_e64 v7, null, s41, v9, vcc_lo
	scratch_store_b64 off, v[20:21], s42
	flat_store_b64 v[6:7], v[20:21]
	s_cbranch_scc1 .LBB146_46
.LBB146_56:                             ;   Parent Loop BB146_4 Depth=1
                                        ;     Parent Loop BB146_44 Depth=2
                                        ;       Parent Loop BB146_47 Depth=3
                                        ; =>      This Loop Header: Depth=4
                                        ;           Child Loop BB146_58 Depth 5
	s_cmp_lg_u32 s12, 0
	s_cbranch_scc0 .LBB146_60
; %bb.57:                               ;   in Loop: Header=BB146_56 Depth=4
	s_lshl_b32 s40, s12, 3
	s_mov_b32 s41, 0
	scratch_load_b64 v[6:7], off, s40
	s_mov_b32 s42, s39
	s_mov_b32 s43, s12
.LBB146_58:                             ;   Parent Loop BB146_4 Depth=1
                                        ;     Parent Loop BB146_44 Depth=2
                                        ;       Parent Loop BB146_47 Depth=3
                                        ;         Parent Loop BB146_56 Depth=4
                                        ; =>        This Inner Loop Header: Depth=5
	scratch_load_b64 v[18:19], off, s41
	s_wait_alu 0xfffe
	v_mov_b32_e32 v20, s42
	s_add_co_i32 s43, s43, -1
	s_addk_co_i32 s42, 0x60
	s_add_co_i32 s41, s41, 8
	s_wait_alu 0xfffe
	s_cmp_eq_u32 s43, 0
	ds_load_b64 v[20:21], v20
	s_wait_loadcnt_dscnt 0x0
	v_mul_f32_e32 v22, v21, v19
	v_mul_f32_e32 v19, v20, v19
	s_delay_alu instid0(VALU_DEP_2) | instskip(NEXT) | instid1(VALU_DEP_1)
	v_fma_f32 v20, v20, v18, -v22
	v_dual_sub_f32 v6, v6, v20 :: v_dual_fmac_f32 v19, v21, v18
	s_delay_alu instid0(VALU_DEP_1)
	v_sub_f32_e32 v7, v7, v19
	scratch_store_b64 off, v[6:7], s40
	s_cbranch_scc0 .LBB146_58
; %bb.59:                               ;   in Loop: Header=BB146_56 Depth=4
	s_branch .LBB146_55
.LBB146_60:                             ;   in Loop: Header=BB146_56 Depth=4
                                        ; implicit-def: $vgpr6
	s_cbranch_execz .LBB146_55
; %bb.61:                               ;   in Loop: Header=BB146_56 Depth=4
	scratch_load_b64 v[6:7], off, off
	s_branch .LBB146_55
.LBB146_62:
	s_or_b32 exec_lo, exec_lo, s33
	s_and_saveexec_b32 s0, s34
	s_wait_alu 0xfffe
	s_xor_b32 s0, exec_lo, s0
.LBB146_63:
	s_endpgm
	.section	.rodata,"a",@progbits
	.p2align	6, 0x0
	.amdhsa_kernel _ZL30rocblas_trsm_small_left_deviceILi12ELi12ELb1E19rocblas_complex_numIfES1_PKPKS1_PKPS1_Ev13rocblas_fill_18rocblas_operation_17rocblas_diagonal_iiT3_T4_lilT5_lili
		.amdhsa_group_segment_fixed_size 1152
		.amdhsa_private_segment_fixed_size 112
		.amdhsa_kernarg_size 360
		.amdhsa_user_sgpr_count 2
		.amdhsa_user_sgpr_dispatch_ptr 0
		.amdhsa_user_sgpr_queue_ptr 0
		.amdhsa_user_sgpr_kernarg_segment_ptr 1
		.amdhsa_user_sgpr_dispatch_id 0
		.amdhsa_user_sgpr_private_segment_size 0
		.amdhsa_wavefront_size32 1
		.amdhsa_uses_dynamic_stack 0
		.amdhsa_enable_private_segment 1
		.amdhsa_system_sgpr_workgroup_id_x 1
		.amdhsa_system_sgpr_workgroup_id_y 0
		.amdhsa_system_sgpr_workgroup_id_z 1
		.amdhsa_system_sgpr_workgroup_info 0
		.amdhsa_system_vgpr_workitem_id 0
		.amdhsa_next_free_vgpr 23
		.amdhsa_next_free_sgpr 44
		.amdhsa_reserve_vcc 1
		.amdhsa_float_round_mode_32 0
		.amdhsa_float_round_mode_16_64 0
		.amdhsa_float_denorm_mode_32 3
		.amdhsa_float_denorm_mode_16_64 3
		.amdhsa_fp16_overflow 0
		.amdhsa_workgroup_processor_mode 1
		.amdhsa_memory_ordered 1
		.amdhsa_forward_progress 1
		.amdhsa_inst_pref_size 25
		.amdhsa_round_robin_scheduling 0
		.amdhsa_exception_fp_ieee_invalid_op 0
		.amdhsa_exception_fp_denorm_src 0
		.amdhsa_exception_fp_ieee_div_zero 0
		.amdhsa_exception_fp_ieee_overflow 0
		.amdhsa_exception_fp_ieee_underflow 0
		.amdhsa_exception_fp_ieee_inexact 0
		.amdhsa_exception_int_div_zero 0
	.end_amdhsa_kernel
	.section	.text._ZL30rocblas_trsm_small_left_deviceILi12ELi12ELb1E19rocblas_complex_numIfES1_PKPKS1_PKPS1_Ev13rocblas_fill_18rocblas_operation_17rocblas_diagonal_iiT3_T4_lilT5_lili,"axG",@progbits,_ZL30rocblas_trsm_small_left_deviceILi12ELi12ELb1E19rocblas_complex_numIfES1_PKPKS1_PKPS1_Ev13rocblas_fill_18rocblas_operation_17rocblas_diagonal_iiT3_T4_lilT5_lili,comdat
.Lfunc_end146:
	.size	_ZL30rocblas_trsm_small_left_deviceILi12ELi12ELb1E19rocblas_complex_numIfES1_PKPKS1_PKPS1_Ev13rocblas_fill_18rocblas_operation_17rocblas_diagonal_iiT3_T4_lilT5_lili, .Lfunc_end146-_ZL30rocblas_trsm_small_left_deviceILi12ELi12ELb1E19rocblas_complex_numIfES1_PKPKS1_PKPS1_Ev13rocblas_fill_18rocblas_operation_17rocblas_diagonal_iiT3_T4_lilT5_lili
                                        ; -- End function
	.set _ZL30rocblas_trsm_small_left_deviceILi12ELi12ELb1E19rocblas_complex_numIfES1_PKPKS1_PKPS1_Ev13rocblas_fill_18rocblas_operation_17rocblas_diagonal_iiT3_T4_lilT5_lili.num_vgpr, 23
	.set _ZL30rocblas_trsm_small_left_deviceILi12ELi12ELb1E19rocblas_complex_numIfES1_PKPKS1_PKPS1_Ev13rocblas_fill_18rocblas_operation_17rocblas_diagonal_iiT3_T4_lilT5_lili.num_agpr, 0
	.set _ZL30rocblas_trsm_small_left_deviceILi12ELi12ELb1E19rocblas_complex_numIfES1_PKPKS1_PKPS1_Ev13rocblas_fill_18rocblas_operation_17rocblas_diagonal_iiT3_T4_lilT5_lili.numbered_sgpr, 44
	.set _ZL30rocblas_trsm_small_left_deviceILi12ELi12ELb1E19rocblas_complex_numIfES1_PKPKS1_PKPS1_Ev13rocblas_fill_18rocblas_operation_17rocblas_diagonal_iiT3_T4_lilT5_lili.num_named_barrier, 0
	.set _ZL30rocblas_trsm_small_left_deviceILi12ELi12ELb1E19rocblas_complex_numIfES1_PKPKS1_PKPS1_Ev13rocblas_fill_18rocblas_operation_17rocblas_diagonal_iiT3_T4_lilT5_lili.private_seg_size, 112
	.set _ZL30rocblas_trsm_small_left_deviceILi12ELi12ELb1E19rocblas_complex_numIfES1_PKPKS1_PKPS1_Ev13rocblas_fill_18rocblas_operation_17rocblas_diagonal_iiT3_T4_lilT5_lili.uses_vcc, 1
	.set _ZL30rocblas_trsm_small_left_deviceILi12ELi12ELb1E19rocblas_complex_numIfES1_PKPKS1_PKPS1_Ev13rocblas_fill_18rocblas_operation_17rocblas_diagonal_iiT3_T4_lilT5_lili.uses_flat_scratch, 0
	.set _ZL30rocblas_trsm_small_left_deviceILi12ELi12ELb1E19rocblas_complex_numIfES1_PKPKS1_PKPS1_Ev13rocblas_fill_18rocblas_operation_17rocblas_diagonal_iiT3_T4_lilT5_lili.has_dyn_sized_stack, 0
	.set _ZL30rocblas_trsm_small_left_deviceILi12ELi12ELb1E19rocblas_complex_numIfES1_PKPKS1_PKPS1_Ev13rocblas_fill_18rocblas_operation_17rocblas_diagonal_iiT3_T4_lilT5_lili.has_recursion, 0
	.set _ZL30rocblas_trsm_small_left_deviceILi12ELi12ELb1E19rocblas_complex_numIfES1_PKPKS1_PKPS1_Ev13rocblas_fill_18rocblas_operation_17rocblas_diagonal_iiT3_T4_lilT5_lili.has_indirect_call, 0
	.section	.AMDGPU.csdata,"",@progbits
; Kernel info:
; codeLenInByte = 3092
; TotalNumSgprs: 46
; NumVgprs: 23
; ScratchSize: 112
; MemoryBound: 0
; FloatMode: 240
; IeeeMode: 1
; LDSByteSize: 1152 bytes/workgroup (compile time only)
; SGPRBlocks: 0
; VGPRBlocks: 2
; NumSGPRsForWavesPerEU: 46
; NumVGPRsForWavesPerEU: 23
; Occupancy: 16
; WaveLimiterHint : 1
; COMPUTE_PGM_RSRC2:SCRATCH_EN: 1
; COMPUTE_PGM_RSRC2:USER_SGPR: 2
; COMPUTE_PGM_RSRC2:TRAP_HANDLER: 0
; COMPUTE_PGM_RSRC2:TGID_X_EN: 1
; COMPUTE_PGM_RSRC2:TGID_Y_EN: 0
; COMPUTE_PGM_RSRC2:TGID_Z_EN: 1
; COMPUTE_PGM_RSRC2:TIDIG_COMP_CNT: 0
	.section	.text._ZL31rocblas_trsm_small_right_deviceI19rocblas_complex_numIfES1_PKPKS1_PKPS1_Li12EEv13rocblas_fill_18rocblas_operation_17rocblas_diagonal_iiT0_T1_lilT2_lili,"axG",@progbits,_ZL31rocblas_trsm_small_right_deviceI19rocblas_complex_numIfES1_PKPKS1_PKPS1_Li12EEv13rocblas_fill_18rocblas_operation_17rocblas_diagonal_iiT0_T1_lilT2_lili,comdat
	.globl	_ZL31rocblas_trsm_small_right_deviceI19rocblas_complex_numIfES1_PKPKS1_PKPS1_Li12EEv13rocblas_fill_18rocblas_operation_17rocblas_diagonal_iiT0_T1_lilT2_lili ; -- Begin function _ZL31rocblas_trsm_small_right_deviceI19rocblas_complex_numIfES1_PKPKS1_PKPS1_Li12EEv13rocblas_fill_18rocblas_operation_17rocblas_diagonal_iiT0_T1_lilT2_lili
	.p2align	8
	.type	_ZL31rocblas_trsm_small_right_deviceI19rocblas_complex_numIfES1_PKPKS1_PKPS1_Li12EEv13rocblas_fill_18rocblas_operation_17rocblas_diagonal_iiT0_T1_lilT2_lili,@function
_ZL31rocblas_trsm_small_right_deviceI19rocblas_complex_numIfES1_PKPKS1_PKPS1_Li12EEv13rocblas_fill_18rocblas_operation_17rocblas_diagonal_iiT0_T1_lilT2_lili: ; @_ZL31rocblas_trsm_small_right_deviceI19rocblas_complex_numIfES1_PKPKS1_PKPS1_Li12EEv13rocblas_fill_18rocblas_operation_17rocblas_diagonal_iiT0_T1_lilT2_lili
; %bb.0:
	s_load_b32 s19, s[0:1], 0x60
	s_lshr_b32 s2, ttmp7, 16
	s_wait_kmcnt 0x0
	s_cmp_ge_u32 s2, s19
	s_cbranch_scc1 .LBB147_150
; %bb.1:
	s_clause 0x6
	s_load_b32 s20, s[0:1], 0x30
	s_load_b32 s30, s[0:1], 0x50
	s_load_b128 s[12:15], s[0:1], 0x0
	s_load_b96 s[16:18], s[0:1], 0x10
	s_load_b32 s3, s[0:1], 0x68
	s_load_b128 s[4:7], s[0:1], 0x20
	s_load_b128 s[8:11], s[0:1], 0x40
	s_mul_i32 s0, ttmp9, -12
	v_dual_mov_b32 v12, 1.0 :: v_dual_lshlrev_b32 v21, 3, v0
	s_mov_b32 s22, ttmp9
	v_mul_u32_u24_e32 v1, 0x60, v0
	v_mov_b32_e32 v13, 0
	s_delay_alu instid0(VALU_DEP_3) | instskip(SKIP_1) | instid1(VALU_DEP_4)
	v_or_b32_e32 v14, 0x480, v21
	v_lshlrev_b32_e32 v29, 3, v0
	v_add_nc_u32_e32 v28, v21, v1
	s_wait_kmcnt 0x0
	s_ashr_i32 s21, s20, 31
	s_ashr_i32 s31, s30, 31
	s_cmp_lg_u32 s12, 0x7a
	s_cselect_b32 s27, -1, 0
	s_cmp_lg_u32 s13, 0x71
	s_cselect_b32 s1, -1, 0
	s_min_i32 s24, s16, 12
	s_add_co_i32 s3, s3, -1
	s_add_co_i32 s0, s15, s0
	s_add_co_i32 s25, s24, -1
	s_cmp_ge_u32 ttmp9, s3
	s_mov_b32 s3, 0
	s_cselect_b32 s15, s0, 12
	s_ashr_i32 s23, ttmp9, 31
	s_cmp_eq_u32 s14, 0x84
	v_cmp_gt_i32_e32 vcc_lo, s15, v0
	s_cselect_b32 s26, -1, 0
	s_cmp_gt_i32 s16, 0
	v_cmp_gt_i32_e64 s0, s24, v0
	s_cselect_b32 s14, -1, 0
	s_cmp_lg_u32 s13, 0x6f
	s_cselect_b32 s13, -1, 0
	s_cmp_lg_u32 s12, 0x79
	s_cselect_b32 s12, -1, 0
	s_or_b32 s27, s27, s13
	s_or_b32 s28, s12, s13
	s_cmp_gt_i32 s16, 3
	v_cndmask_b32_e64 v22, 0, 1, s12
	s_mul_u64 s[12:13], s[22:23], 0x60
	s_cselect_b32 s22, -1, 0
	s_wait_alu 0xfffe
	s_and_b32 s23, vcc_lo, s14
	s_lshl_b64 s[14:15], s[6:7], 3
	s_lshl_b64 s[6:7], s[10:11], 3
	s_wait_alu 0xfffe
	v_add_co_u32 v2, s10, s14, v21
	s_delay_alu instid0(VALU_DEP_1)
	v_add_co_ci_u32_e64 v23, null, s15, 0, s10
	s_add_nc_u64 s[14:15], s[12:13], s[6:7]
	v_or_b32_e32 v24, 4, v2
	s_wait_alu 0xfffe
	v_add_co_u32 v3, s14, s14, v21
	s_wait_alu 0xf1ff
	v_add_co_ci_u32_e64 v25, null, s15, 0, s14
	s_lshl_b64 s[14:15], s[30:31], 3
	s_mul_i32 s30, s24, 0x60
	v_or_b32_e32 v26, 4, v3
	v_add3_u32 v27, s30, v21, 0x420
	s_mul_i32 s31, s24, 0x68
	s_lshl_b32 s33, s24, 3
	s_lshl_b64 s[10:11], s[20:21], 3
	s_wait_alu 0xfffe
	s_add_co_i32 s29, s31, 0xffffff80
	s_addk_co_i32 s30, 0xffa0
	s_addk_co_i32 s31, 0xfe78
	s_add_co_i32 s33, s33, -8
	s_branch .LBB147_3
.LBB147_2:                              ;   in Loop: Header=BB147_3 Depth=1
	s_wait_alu 0xfffe
	s_or_b32 exec_lo, exec_lo, s20
	s_add_co_i32 s2, s2, 0x10000
	s_delay_alu instid0(SALU_CYCLE_1)
	s_cmp_lt_u32 s2, s19
	s_cbranch_scc0 .LBB147_150
.LBB147_3:                              ; =>This Loop Header: Depth=1
                                        ;     Child Loop BB147_6 Depth 2
                                        ;     Child Loop BB147_14 Depth 2
	;; [unrolled: 1-line block ×3, first 2 shown]
                                        ;       Child Loop BB147_21 Depth 3
                                        ;     Child Loop BB147_43 Depth 2
                                        ;       Child Loop BB147_44 Depth 3
                                        ;     Child Loop BB147_52 Depth 2
	;; [unrolled: 2-line block ×8, first 2 shown]
	s_lshl_b64 s[20:21], s[2:3], 3
	s_wait_alu 0xfffe
	s_add_nc_u64 s[34:35], s[8:9], s[20:21]
	global_load_b64 v[15:16], v13, s[34:35]
	s_and_saveexec_b32 s34, s0
	s_cbranch_execz .LBB147_12
; %bb.4:                                ;   in Loop: Header=BB147_3 Depth=1
	s_add_nc_u64 s[20:21], s[4:5], s[20:21]
	v_mov_b32_e32 v4, v21
	global_load_b64 v[0:1], v13, s[20:21]
	s_mov_b32 s20, s24
	s_wait_loadcnt 0x0
	v_add_co_u32 v0, vcc_lo, v0, v24
	s_wait_alu 0xfffd
	v_add_co_ci_u32_e64 v1, null, v1, v23, vcc_lo
	s_branch .LBB147_6
.LBB147_5:                              ;   in Loop: Header=BB147_6 Depth=2
	flat_load_b32 v2, v[0:1] offset:-4
	v_add_co_u32 v0, vcc_lo, v0, s10
	s_wait_alu 0xfffd
	v_add_co_ci_u32_e64 v1, null, s11, v1, vcc_lo
	s_add_co_i32 s20, s20, -1
	s_wait_alu 0xfffe
	s_cmp_eq_u32 s20, 0
	s_wait_loadcnt_dscnt 0x0
	ds_store_b64 v4, v[2:3]
	v_add_nc_u32_e32 v4, 0x60, v4
	s_cbranch_scc1 .LBB147_10
.LBB147_6:                              ;   Parent Loop BB147_3 Depth=1
                                        ; =>  This Inner Loop Header: Depth=2
	s_and_b32 vcc_lo, exec_lo, s1
	s_mov_b32 s21, -1
                                        ; implicit-def: $vgpr3
	s_wait_alu 0xfffe
	s_cbranch_vccz .LBB147_8
; %bb.7:                                ;   in Loop: Header=BB147_6 Depth=2
	flat_load_b32 v3, v[0:1]
	s_mov_b32 s21, 0
.LBB147_8:                              ;   in Loop: Header=BB147_6 Depth=2
	s_wait_alu 0xfffe
	s_and_not1_b32 vcc_lo, exec_lo, s21
	s_wait_alu 0xfffe
	s_cbranch_vccnz .LBB147_5
; %bb.9:                                ;   in Loop: Header=BB147_6 Depth=2
	flat_load_b32 v2, v[0:1]
	s_wait_loadcnt_dscnt 0x0
	v_xor_b32_e32 v3, 0x80000000, v2
	s_branch .LBB147_5
.LBB147_10:                             ;   in Loop: Header=BB147_3 Depth=1
	s_and_b32 vcc_lo, exec_lo, s26
	s_wait_alu 0xfffe
	s_cbranch_vccz .LBB147_12
; %bb.11:                               ;   in Loop: Header=BB147_3 Depth=1
	ds_store_b64 v28, v[12:13]
.LBB147_12:                             ;   in Loop: Header=BB147_3 Depth=1
	s_wait_alu 0xfffe
	s_or_b32 exec_lo, exec_lo, s34
	s_and_saveexec_b32 s20, s23
	s_cbranch_execz .LBB147_15
; %bb.13:                               ;   in Loop: Header=BB147_3 Depth=1
	s_wait_loadcnt 0x0
	v_add_co_u32 v0, vcc_lo, v15, v26
	s_wait_alu 0xfffd
	v_add_co_ci_u32_e64 v1, null, v16, v25, vcc_lo
	v_mov_b32_e32 v2, v14
	s_mov_b32 s21, s16
.LBB147_14:                             ;   Parent Loop BB147_3 Depth=1
                                        ; =>  This Inner Loop Header: Depth=2
	flat_load_b64 v[3:4], v[0:1] offset:-4
	v_add_co_u32 v0, vcc_lo, v0, s14
	s_wait_alu 0xfffd
	v_add_co_ci_u32_e64 v1, null, s15, v1, vcc_lo
	s_wait_alu 0xfffe
	s_add_co_i32 s21, s21, -1
	s_wait_alu 0xfffe
	s_cmp_lg_u32 s21, 0
	s_wait_loadcnt_dscnt 0x0
	v_mul_f32_e32 v5, s17, v4
	s_delay_alu instid0(VALU_DEP_1) | instskip(NEXT) | instid1(VALU_DEP_1)
	v_dual_mul_f32 v6, s18, v4 :: v_dual_fmac_f32 v5, s18, v3
	v_fma_f32 v4, s17, v3, -v6
	ds_store_b64 v2, v[4:5]
	v_add_nc_u32_e32 v2, 0x60, v2
	s_cbranch_scc1 .LBB147_14
.LBB147_15:                             ;   in Loop: Header=BB147_3 Depth=1
	s_wait_alu 0xfffe
	s_or_b32 exec_lo, exec_lo, s20
	s_delay_alu instid0(SALU_CYCLE_1)
	s_and_b32 vcc_lo, exec_lo, s28
	s_mov_b32 s20, -1
	; wave barrier
	s_wait_loadcnt_dscnt 0x0
	global_inv scope:SCOPE_SE
	s_wait_alu 0xfffe
	s_cbranch_vccz .LBB147_115
; %bb.16:                               ;   in Loop: Header=BB147_3 Depth=1
	s_and_b32 vcc_lo, exec_lo, s27
	s_wait_alu 0xfffe
	s_cbranch_vccz .LBB147_83
; %bb.17:                               ;   in Loop: Header=BB147_3 Depth=1
	v_cmp_ne_u32_e32 vcc_lo, 1, v22
	s_cbranch_vccnz .LBB147_50
; %bb.18:                               ;   in Loop: Header=BB147_3 Depth=1
	s_and_not1_b32 vcc_lo, exec_lo, s22
	s_mov_b32 s34, 0
	s_wait_alu 0xfffe
	s_cbranch_vccnz .LBB147_40
; %bb.19:                               ;   in Loop: Header=BB147_3 Depth=1
	s_mov_b32 s20, 0
	s_mov_b32 s21, 0
.LBB147_20:                             ;   Parent Loop BB147_3 Depth=1
                                        ; =>  This Loop Header: Depth=2
                                        ;       Child Loop BB147_21 Depth 3
	s_wait_alu 0xfffe
	v_mad_co_u64_u32 v[8:9], null, 0x60, s21, v[14:15]
	s_or_b32 s34, s21, 3
	s_cmp_eq_u32 s21, 0
	s_wait_alu 0xfffe
	s_mulk_i32 s34, 0x60
	s_wait_alu 0xfffe
	v_dual_mov_b32 v4, v14 :: v_dual_add_nc_u32 v11, s34, v14
	s_mov_b32 s34, s20
	ds_load_2addr_b64 v[0:3], v8 offset1:12
	ds_load_b64 v[17:18], v8 offset:192
	ds_load_b64 v[9:10], v11
	s_mov_b32 s35, s21
	s_cbranch_scc1 .LBB147_22
.LBB147_21:                             ;   Parent Loop BB147_3 Depth=1
                                        ;     Parent Loop BB147_20 Depth=2
                                        ; =>    This Inner Loop Header: Depth=3
	s_wait_alu 0xfffe
	v_mov_b32_e32 v7, s34
	s_add_co_i32 s35, s35, -1
	s_addk_co_i32 s34, 0x60
	s_wait_alu 0xfffe
	s_cmp_eq_u32 s35, 0
	ds_load_b64 v[5:6], v4
	ds_load_b128 v[30:33], v7
	ds_load_b128 v[34:37], v7 offset:16
	v_add_nc_u32_e32 v4, 0x60, v4
	s_wait_dscnt 0x1
	v_mul_f32_e32 v20, v33, v6
	s_wait_dscnt 0x0
	v_dual_mul_f32 v33, v33, v5 :: v_dual_mul_f32 v38, v35, v6
	v_mul_f32_e32 v35, v35, v5
	s_delay_alu instid0(VALU_DEP_3) | instskip(SKIP_1) | instid1(VALU_DEP_3)
	v_fma_f32 v20, v32, v5, -v20
	v_mul_f32_e32 v7, v31, v6
	v_fmac_f32_e32 v35, v34, v6
	v_mul_f32_e32 v39, v37, v6
	s_delay_alu instid0(VALU_DEP_4) | instskip(NEXT) | instid1(VALU_DEP_4)
	v_dual_mul_f32 v37, v37, v5 :: v_dual_sub_f32 v2, v2, v20
	v_fma_f32 v7, v30, v5, -v7
	v_mul_f32_e32 v19, v30, v6
	v_fma_f32 v30, v34, v5, -v38
	s_delay_alu instid0(VALU_DEP_4) | instskip(SKIP_1) | instid1(VALU_DEP_4)
	v_fmac_f32_e32 v37, v36, v6
	v_fmac_f32_e32 v33, v32, v6
	v_dual_sub_f32 v0, v0, v7 :: v_dual_fmac_f32 v19, v31, v5
	v_sub_f32_e32 v18, v18, v35
	v_fma_f32 v5, v36, v5, -v39
	v_dual_sub_f32 v17, v17, v30 :: v_dual_sub_f32 v10, v10, v37
	s_delay_alu instid0(VALU_DEP_4) | instskip(SKIP_1) | instid1(VALU_DEP_4)
	v_sub_f32_e32 v1, v1, v19
	v_sub_f32_e32 v3, v3, v33
	;; [unrolled: 1-line block ×3, first 2 shown]
	s_cbranch_scc0 .LBB147_21
.LBB147_22:                             ;   in Loop: Header=BB147_20 Depth=2
	s_lshl_b32 s34, s21, 3
	s_mul_i32 s35, s21, 0x60
	s_mov_b32 s36, -1
	s_wait_alu 0xfffe
	s_add_co_i32 s35, s34, s35
                                        ; implicit-def: $vgpr20
	s_wait_alu 0xfffe
	v_mov_b32_e32 v4, s35
	ds_load_b64 v[4:5], v4
	s_wait_dscnt 0x0
	v_and_b32_e32 v6, 0x7fffffff, v4
	v_and_b32_e32 v7, 0x7fffffff, v5
	s_delay_alu instid0(VALU_DEP_1)
	v_cmp_ngt_f32_e32 vcc_lo, v6, v7
	s_cbranch_vccz .LBB147_24
; %bb.23:                               ;   in Loop: Header=BB147_20 Depth=2
	v_div_scale_f32 v6, null, v5, v5, v4
	v_div_scale_f32 v20, vcc_lo, v4, v5, v4
	s_mov_b32 s36, 0
	v_rcp_f32_e32 v7, v6
	v_xor_b32_e32 v6, 0x80000000, v6
	s_delay_alu instid0(TRANS32_DEP_1) | instid1(VALU_DEP_1)
	v_fma_f32 v19, v6, v7, 1.0
	s_delay_alu instid0(VALU_DEP_1) | instskip(NEXT) | instid1(VALU_DEP_1)
	v_fmac_f32_e32 v7, v19, v7
	v_mul_f32_e32 v19, v20, v7
	s_delay_alu instid0(VALU_DEP_1) | instskip(NEXT) | instid1(VALU_DEP_1)
	v_fma_f32 v30, v6, v19, v20
	v_fmac_f32_e32 v19, v30, v7
	s_delay_alu instid0(VALU_DEP_1) | instskip(SKIP_1) | instid1(VALU_DEP_1)
	v_fmac_f32_e32 v20, v6, v19
	s_wait_alu 0xfffd
	v_div_fmas_f32 v6, v20, v7, v19
	s_delay_alu instid0(VALU_DEP_1) | instskip(NEXT) | instid1(VALU_DEP_1)
	v_div_fixup_f32 v6, v6, v5, v4
	v_fma_f32 v7, v4, v6, v5
	s_delay_alu instid0(VALU_DEP_1) | instskip(SKIP_1) | instid1(VALU_DEP_2)
	v_div_scale_f32 v19, null, v7, v7, 1.0
	v_div_scale_f32 v31, vcc_lo, 1.0, v7, 1.0
	v_rcp_f32_e32 v20, v19
	v_xor_b32_e32 v19, 0x80000000, v19
	s_delay_alu instid0(TRANS32_DEP_1) | instid1(VALU_DEP_1)
	v_fma_f32 v30, v19, v20, 1.0
	s_delay_alu instid0(VALU_DEP_1) | instskip(NEXT) | instid1(VALU_DEP_1)
	v_fmac_f32_e32 v20, v30, v20
	v_mul_f32_e32 v30, v31, v20
	s_delay_alu instid0(VALU_DEP_1) | instskip(NEXT) | instid1(VALU_DEP_1)
	v_fma_f32 v32, v19, v30, v31
	v_fmac_f32_e32 v30, v32, v20
	s_delay_alu instid0(VALU_DEP_1) | instskip(SKIP_1) | instid1(VALU_DEP_1)
	v_fmac_f32_e32 v31, v19, v30
	s_wait_alu 0xfffd
	v_div_fmas_f32 v19, v31, v20, v30
	v_fma_f32 v20, v0, v6, v1
	v_fma_f32 v6, v1, v6, -v0
	s_delay_alu instid0(VALU_DEP_3) | instskip(NEXT) | instid1(VALU_DEP_1)
	v_div_fixup_f32 v7, v19, v7, 1.0
	v_mul_f32_e32 v19, v20, v7
	s_delay_alu instid0(VALU_DEP_3)
	v_mul_f32_e32 v20, v6, v7
.LBB147_24:                             ;   in Loop: Header=BB147_20 Depth=2
	s_wait_alu 0xfffe
	s_and_not1_b32 vcc_lo, exec_lo, s36
	s_wait_alu 0xfffe
	s_cbranch_vccnz .LBB147_26
; %bb.25:                               ;   in Loop: Header=BB147_20 Depth=2
	v_div_scale_f32 v6, null, v4, v4, v5
	v_div_scale_f32 v20, vcc_lo, v5, v4, v5
	s_delay_alu instid0(VALU_DEP_2)
	v_rcp_f32_e32 v7, v6
	v_xor_b32_e32 v6, 0x80000000, v6
	s_delay_alu instid0(TRANS32_DEP_1) | instid1(VALU_DEP_1)
	v_fma_f32 v19, v6, v7, 1.0
	s_delay_alu instid0(VALU_DEP_1) | instskip(NEXT) | instid1(VALU_DEP_1)
	v_fmac_f32_e32 v7, v19, v7
	v_mul_f32_e32 v19, v20, v7
	s_delay_alu instid0(VALU_DEP_1) | instskip(NEXT) | instid1(VALU_DEP_1)
	v_fma_f32 v30, v6, v19, v20
	v_fmac_f32_e32 v19, v30, v7
	s_delay_alu instid0(VALU_DEP_1) | instskip(SKIP_1) | instid1(VALU_DEP_1)
	v_fmac_f32_e32 v20, v6, v19
	s_wait_alu 0xfffd
	v_div_fmas_f32 v6, v20, v7, v19
	s_delay_alu instid0(VALU_DEP_1) | instskip(NEXT) | instid1(VALU_DEP_1)
	v_div_fixup_f32 v6, v6, v4, v5
	v_fmac_f32_e32 v4, v5, v6
	s_delay_alu instid0(VALU_DEP_1) | instskip(SKIP_1) | instid1(VALU_DEP_2)
	v_div_scale_f32 v5, null, v4, v4, 1.0
	v_div_scale_f32 v20, vcc_lo, 1.0, v4, 1.0
	v_rcp_f32_e32 v7, v5
	v_xor_b32_e32 v5, 0x80000000, v5
	s_delay_alu instid0(TRANS32_DEP_1) | instid1(VALU_DEP_1)
	v_fma_f32 v19, v5, v7, 1.0
	s_delay_alu instid0(VALU_DEP_1) | instskip(NEXT) | instid1(VALU_DEP_1)
	v_fmac_f32_e32 v7, v19, v7
	v_mul_f32_e32 v19, v20, v7
	s_delay_alu instid0(VALU_DEP_1) | instskip(NEXT) | instid1(VALU_DEP_1)
	v_fma_f32 v30, v5, v19, v20
	v_fmac_f32_e32 v19, v30, v7
	s_delay_alu instid0(VALU_DEP_1) | instskip(SKIP_1) | instid1(VALU_DEP_1)
	v_fmac_f32_e32 v20, v5, v19
	s_wait_alu 0xfffd
	v_div_fmas_f32 v5, v20, v7, v19
	v_fma_f32 v7, v1, v6, v0
	v_fma_f32 v0, -v0, v6, v1
	s_delay_alu instid0(VALU_DEP_3) | instskip(NEXT) | instid1(VALU_DEP_1)
	v_div_fixup_f32 v4, v5, v4, 1.0
	v_mul_f32_e32 v19, v7, v4
	s_delay_alu instid0(VALU_DEP_3)
	v_mul_f32_e32 v20, v0, v4
.LBB147_26:                             ;   in Loop: Header=BB147_20 Depth=2
	v_mov_b32_e32 v0, s35
	s_mov_b32 s36, -1
	ds_store_b64 v8, v[19:20]
	ds_load_2addr_b64 v[4:7], v0 offset0:1 offset1:13
	s_wait_dscnt 0x0
	v_mul_f32_e32 v0, v20, v5
	v_mul_f32_e32 v1, v19, v5
	v_and_b32_e32 v5, 0x7fffffff, v6
	v_and_b32_e32 v30, 0x7fffffff, v7
	s_delay_alu instid0(VALU_DEP_4) | instskip(NEXT) | instid1(VALU_DEP_4)
	v_fma_f32 v0, v19, v4, -v0
	v_fmac_f32_e32 v1, v20, v4
	s_delay_alu instid0(VALU_DEP_3) | instskip(NEXT) | instid1(VALU_DEP_2)
	v_cmp_ngt_f32_e32 vcc_lo, v5, v30
                                        ; implicit-def: $vgpr5
	v_dual_sub_f32 v0, v2, v0 :: v_dual_sub_f32 v1, v3, v1
	s_cbranch_vccz .LBB147_28
; %bb.27:                               ;   in Loop: Header=BB147_20 Depth=2
	v_div_scale_f32 v2, null, v7, v7, v6
	v_div_scale_f32 v5, vcc_lo, v6, v7, v6
	s_mov_b32 s36, 0
	v_rcp_f32_e32 v3, v2
	v_xor_b32_e32 v2, 0x80000000, v2
	s_delay_alu instid0(TRANS32_DEP_1) | instid1(VALU_DEP_1)
	v_fma_f32 v4, v2, v3, 1.0
	s_delay_alu instid0(VALU_DEP_1) | instskip(NEXT) | instid1(VALU_DEP_1)
	v_fmac_f32_e32 v3, v4, v3
	v_mul_f32_e32 v4, v5, v3
	s_delay_alu instid0(VALU_DEP_1) | instskip(NEXT) | instid1(VALU_DEP_1)
	v_fma_f32 v30, v2, v4, v5
	v_fmac_f32_e32 v4, v30, v3
	s_delay_alu instid0(VALU_DEP_1) | instskip(SKIP_1) | instid1(VALU_DEP_1)
	v_fmac_f32_e32 v5, v2, v4
	s_wait_alu 0xfffd
	v_div_fmas_f32 v2, v5, v3, v4
	s_delay_alu instid0(VALU_DEP_1) | instskip(NEXT) | instid1(VALU_DEP_1)
	v_div_fixup_f32 v2, v2, v7, v6
	v_fma_f32 v3, v6, v2, v7
	s_delay_alu instid0(VALU_DEP_1) | instskip(SKIP_1) | instid1(VALU_DEP_2)
	v_div_scale_f32 v4, null, v3, v3, 1.0
	v_div_scale_f32 v31, vcc_lo, 1.0, v3, 1.0
	v_rcp_f32_e32 v5, v4
	v_xor_b32_e32 v4, 0x80000000, v4
	s_delay_alu instid0(TRANS32_DEP_1) | instid1(VALU_DEP_1)
	v_fma_f32 v30, v4, v5, 1.0
	s_delay_alu instid0(VALU_DEP_1) | instskip(NEXT) | instid1(VALU_DEP_1)
	v_fmac_f32_e32 v5, v30, v5
	v_mul_f32_e32 v30, v31, v5
	s_delay_alu instid0(VALU_DEP_1) | instskip(NEXT) | instid1(VALU_DEP_1)
	v_fma_f32 v32, v4, v30, v31
	v_fmac_f32_e32 v30, v32, v5
	s_delay_alu instid0(VALU_DEP_1) | instskip(SKIP_1) | instid1(VALU_DEP_1)
	v_fmac_f32_e32 v31, v4, v30
	s_wait_alu 0xfffd
	v_div_fmas_f32 v4, v31, v5, v30
	v_fma_f32 v5, v2, v0, v1
	v_fma_f32 v2, v2, v1, -v0
	s_delay_alu instid0(VALU_DEP_3) | instskip(NEXT) | instid1(VALU_DEP_1)
	v_div_fixup_f32 v3, v4, v3, 1.0
	v_mul_f32_e32 v4, v5, v3
	s_delay_alu instid0(VALU_DEP_3)
	v_mul_f32_e32 v5, v2, v3
.LBB147_28:                             ;   in Loop: Header=BB147_20 Depth=2
	s_wait_alu 0xfffe
	s_and_not1_b32 vcc_lo, exec_lo, s36
	s_wait_alu 0xfffe
	s_cbranch_vccnz .LBB147_30
; %bb.29:                               ;   in Loop: Header=BB147_20 Depth=2
	v_div_scale_f32 v2, null, v6, v6, v7
	v_div_scale_f32 v5, vcc_lo, v7, v6, v7
	s_delay_alu instid0(VALU_DEP_2)
	v_rcp_f32_e32 v3, v2
	v_xor_b32_e32 v2, 0x80000000, v2
	s_delay_alu instid0(TRANS32_DEP_1) | instid1(VALU_DEP_1)
	v_fma_f32 v4, v2, v3, 1.0
	s_delay_alu instid0(VALU_DEP_1) | instskip(NEXT) | instid1(VALU_DEP_1)
	v_fmac_f32_e32 v3, v4, v3
	v_mul_f32_e32 v4, v5, v3
	s_delay_alu instid0(VALU_DEP_1) | instskip(NEXT) | instid1(VALU_DEP_1)
	v_fma_f32 v30, v2, v4, v5
	v_fmac_f32_e32 v4, v30, v3
	s_delay_alu instid0(VALU_DEP_1) | instskip(SKIP_1) | instid1(VALU_DEP_1)
	v_fmac_f32_e32 v5, v2, v4
	s_wait_alu 0xfffd
	v_div_fmas_f32 v2, v5, v3, v4
	s_delay_alu instid0(VALU_DEP_1) | instskip(NEXT) | instid1(VALU_DEP_1)
	v_div_fixup_f32 v2, v2, v6, v7
	v_fmac_f32_e32 v6, v7, v2
	s_delay_alu instid0(VALU_DEP_1) | instskip(SKIP_1) | instid1(VALU_DEP_2)
	v_div_scale_f32 v3, null, v6, v6, 1.0
	v_div_scale_f32 v7, vcc_lo, 1.0, v6, 1.0
	v_rcp_f32_e32 v4, v3
	v_xor_b32_e32 v3, 0x80000000, v3
	s_delay_alu instid0(TRANS32_DEP_1) | instid1(VALU_DEP_1)
	v_fma_f32 v5, v3, v4, 1.0
	s_delay_alu instid0(VALU_DEP_1) | instskip(NEXT) | instid1(VALU_DEP_1)
	v_fmac_f32_e32 v4, v5, v4
	v_mul_f32_e32 v5, v7, v4
	s_delay_alu instid0(VALU_DEP_1) | instskip(NEXT) | instid1(VALU_DEP_1)
	v_fma_f32 v30, v3, v5, v7
	v_fmac_f32_e32 v5, v30, v4
	s_delay_alu instid0(VALU_DEP_1) | instskip(SKIP_1) | instid1(VALU_DEP_1)
	v_fmac_f32_e32 v7, v3, v5
	s_wait_alu 0xfffd
	v_div_fmas_f32 v3, v7, v4, v5
	v_fma_f32 v4, v2, v1, v0
	v_fma_f32 v0, -v2, v0, v1
	s_delay_alu instid0(VALU_DEP_3) | instskip(NEXT) | instid1(VALU_DEP_1)
	v_div_fixup_f32 v3, v3, v6, 1.0
	v_mul_f32_e32 v4, v4, v3
	s_delay_alu instid0(VALU_DEP_3)
	v_mul_f32_e32 v5, v0, v3
.LBB147_30:                             ;   in Loop: Header=BB147_20 Depth=2
	v_mov_b32_e32 v0, s35
	s_add_co_i32 s36, s35, 0x68
	s_or_b32 s37, s34, 8
	s_mov_b32 s38, -1
	s_wait_alu 0xfffe
	s_sub_co_i32 s37, s36, s37
	ds_load_2addr_b64 v[0:3], v0 offset0:2 offset1:26
	s_wait_alu 0xfffe
	s_add_co_i32 s37, s37, s34
	ds_store_b64 v8, v[4:5] offset:96
	s_wait_dscnt 0x1
	s_wait_alu 0xfffe
	v_dual_mov_b32 v6, s37 :: v_dual_and_b32 v31, 0x7fffffff, v2
	ds_load_b64 v[6:7], v6 offset:16
	v_mul_f32_e32 v30, v20, v1
	v_mul_f32_e32 v1, v19, v1
	s_delay_alu instid0(VALU_DEP_2) | instskip(NEXT) | instid1(VALU_DEP_2)
	v_fma_f32 v30, v19, v0, -v30
	v_dual_fmac_f32 v1, v20, v0 :: v_dual_and_b32 v32, 0x7fffffff, v3
	s_delay_alu instid0(VALU_DEP_2) | instskip(NEXT) | instid1(VALU_DEP_2)
	v_sub_f32_e32 v17, v17, v30
	v_cmp_ngt_f32_e32 vcc_lo, v31, v32
	s_and_b32 vcc_lo, exec_lo, vcc_lo
	s_wait_dscnt 0x0
	v_dual_mul_f32 v0, v5, v7 :: v_dual_sub_f32 v1, v18, v1
	s_delay_alu instid0(VALU_DEP_1) | instskip(NEXT) | instid1(VALU_DEP_1)
	v_fma_f32 v0, v4, v6, -v0
	v_dual_mul_f32 v7, v4, v7 :: v_dual_sub_f32 v0, v17, v0
	s_delay_alu instid0(VALU_DEP_1) | instskip(NEXT) | instid1(VALU_DEP_1)
	v_fmac_f32_e32 v7, v5, v6
	v_sub_f32_e32 v1, v1, v7
                                        ; implicit-def: $vgpr7
	s_wait_alu 0xfffe
	s_cbranch_vccz .LBB147_32
; %bb.31:                               ;   in Loop: Header=BB147_20 Depth=2
	v_div_scale_f32 v6, null, v3, v3, v2
	v_div_scale_f32 v18, vcc_lo, v2, v3, v2
	s_mov_b32 s38, 0
	v_rcp_f32_e32 v7, v6
	v_xor_b32_e32 v6, 0x80000000, v6
	s_delay_alu instid0(TRANS32_DEP_1) | instid1(VALU_DEP_1)
	v_fma_f32 v17, v6, v7, 1.0
	s_delay_alu instid0(VALU_DEP_1) | instskip(NEXT) | instid1(VALU_DEP_1)
	v_fmac_f32_e32 v7, v17, v7
	v_mul_f32_e32 v17, v18, v7
	s_delay_alu instid0(VALU_DEP_1) | instskip(NEXT) | instid1(VALU_DEP_1)
	v_fma_f32 v30, v6, v17, v18
	v_fmac_f32_e32 v17, v30, v7
	s_delay_alu instid0(VALU_DEP_1) | instskip(SKIP_1) | instid1(VALU_DEP_1)
	v_fmac_f32_e32 v18, v6, v17
	s_wait_alu 0xfffd
	v_div_fmas_f32 v6, v18, v7, v17
	s_delay_alu instid0(VALU_DEP_1) | instskip(NEXT) | instid1(VALU_DEP_1)
	v_div_fixup_f32 v6, v6, v3, v2
	v_fma_f32 v7, v2, v6, v3
	s_delay_alu instid0(VALU_DEP_1) | instskip(SKIP_1) | instid1(VALU_DEP_2)
	v_div_scale_f32 v17, null, v7, v7, 1.0
	v_div_scale_f32 v31, vcc_lo, 1.0, v7, 1.0
	v_rcp_f32_e32 v18, v17
	v_xor_b32_e32 v17, 0x80000000, v17
	s_delay_alu instid0(TRANS32_DEP_1) | instid1(VALU_DEP_1)
	v_fma_f32 v30, v17, v18, 1.0
	s_delay_alu instid0(VALU_DEP_1) | instskip(NEXT) | instid1(VALU_DEP_1)
	v_fmac_f32_e32 v18, v30, v18
	v_mul_f32_e32 v30, v31, v18
	s_delay_alu instid0(VALU_DEP_1) | instskip(NEXT) | instid1(VALU_DEP_1)
	v_fma_f32 v32, v17, v30, v31
	v_fmac_f32_e32 v30, v32, v18
	s_delay_alu instid0(VALU_DEP_1) | instskip(SKIP_1) | instid1(VALU_DEP_1)
	v_fmac_f32_e32 v31, v17, v30
	s_wait_alu 0xfffd
	v_div_fmas_f32 v17, v31, v18, v30
	v_fma_f32 v18, v6, v0, v1
	s_delay_alu instid0(VALU_DEP_2) | instskip(SKIP_1) | instid1(VALU_DEP_2)
	v_div_fixup_f32 v7, v17, v7, 1.0
	v_fma_f32 v17, v6, v1, -v0
	v_mul_f32_e32 v6, v18, v7
	s_delay_alu instid0(VALU_DEP_2)
	v_mul_f32_e32 v7, v17, v7
.LBB147_32:                             ;   in Loop: Header=BB147_20 Depth=2
	s_wait_alu 0xfffe
	s_and_not1_b32 vcc_lo, exec_lo, s38
	s_wait_alu 0xfffe
	s_cbranch_vccnz .LBB147_34
; %bb.33:                               ;   in Loop: Header=BB147_20 Depth=2
	v_div_scale_f32 v6, null, v2, v2, v3
	v_div_scale_f32 v18, vcc_lo, v3, v2, v3
	s_delay_alu instid0(VALU_DEP_2)
	v_rcp_f32_e32 v7, v6
	v_xor_b32_e32 v6, 0x80000000, v6
	s_delay_alu instid0(TRANS32_DEP_1) | instid1(VALU_DEP_1)
	v_fma_f32 v17, v6, v7, 1.0
	s_delay_alu instid0(VALU_DEP_1) | instskip(NEXT) | instid1(VALU_DEP_1)
	v_fmac_f32_e32 v7, v17, v7
	v_mul_f32_e32 v17, v18, v7
	s_delay_alu instid0(VALU_DEP_1) | instskip(NEXT) | instid1(VALU_DEP_1)
	v_fma_f32 v30, v6, v17, v18
	v_fmac_f32_e32 v17, v30, v7
	s_delay_alu instid0(VALU_DEP_1) | instskip(SKIP_1) | instid1(VALU_DEP_1)
	v_fmac_f32_e32 v18, v6, v17
	s_wait_alu 0xfffd
	v_div_fmas_f32 v6, v18, v7, v17
	s_delay_alu instid0(VALU_DEP_1) | instskip(NEXT) | instid1(VALU_DEP_1)
	v_div_fixup_f32 v6, v6, v2, v3
	v_fmac_f32_e32 v2, v3, v6
	s_delay_alu instid0(VALU_DEP_1) | instskip(SKIP_1) | instid1(VALU_DEP_2)
	v_div_scale_f32 v3, null, v2, v2, 1.0
	v_div_scale_f32 v18, vcc_lo, 1.0, v2, 1.0
	v_rcp_f32_e32 v7, v3
	v_xor_b32_e32 v3, 0x80000000, v3
	s_delay_alu instid0(TRANS32_DEP_1) | instid1(VALU_DEP_1)
	v_fma_f32 v17, v3, v7, 1.0
	s_delay_alu instid0(VALU_DEP_1) | instskip(NEXT) | instid1(VALU_DEP_1)
	v_fmac_f32_e32 v7, v17, v7
	v_mul_f32_e32 v17, v18, v7
	s_delay_alu instid0(VALU_DEP_1) | instskip(NEXT) | instid1(VALU_DEP_1)
	v_fma_f32 v30, v3, v17, v18
	v_fmac_f32_e32 v17, v30, v7
	s_delay_alu instid0(VALU_DEP_1) | instskip(SKIP_1) | instid1(VALU_DEP_1)
	v_fmac_f32_e32 v18, v3, v17
	s_wait_alu 0xfffd
	v_div_fmas_f32 v3, v18, v7, v17
	v_fma_f32 v7, v6, v1, v0
	v_fma_f32 v0, -v6, v0, v1
	s_delay_alu instid0(VALU_DEP_3) | instskip(NEXT) | instid1(VALU_DEP_1)
	v_div_fixup_f32 v2, v3, v2, 1.0
	v_mul_f32_e32 v6, v7, v2
	s_delay_alu instid0(VALU_DEP_3)
	v_mul_f32_e32 v7, v0, v2
.LBB147_34:                             ;   in Loop: Header=BB147_20 Depth=2
	v_dual_mov_b32 v0, s35 :: v_dual_mov_b32 v17, s37
	s_or_b32 s35, s34, 16
	ds_store_b64 v8, v[6:7] offset:192
	s_wait_alu 0xfffe
	s_sub_co_i32 s35, s36, s35
	ds_load_2addr_b64 v[0:3], v0 offset0:3 offset1:39
	s_wait_alu 0xfffe
	s_add_co_i32 s34, s35, s34
	ds_load_b64 v[17:18], v17 offset:24
	s_wait_alu 0xfffe
	v_mov_b32_e32 v30, s34
	s_mov_b32 s34, -1
	s_wait_dscnt 0x1
	v_mul_f32_e32 v32, v20, v1
	v_mul_f32_e32 v1, v19, v1
	ds_load_b64 v[30:31], v30 offset:128
	s_wait_dscnt 0x1
	v_mul_f32_e32 v33, v5, v18
	v_mul_f32_e32 v18, v4, v18
	v_dual_fmac_f32 v1, v20, v0 :: v_dual_and_b32 v34, 0x7fffffff, v2
	v_fma_f32 v19, v19, v0, -v32
	s_delay_alu instid0(VALU_DEP_4) | instskip(NEXT) | instid1(VALU_DEP_4)
	v_fma_f32 v0, v4, v17, -v33
	v_fmac_f32_e32 v18, v5, v17
	s_wait_dscnt 0x0
	v_dual_sub_f32 v1, v10, v1 :: v_dual_mul_f32 v4, v7, v31
	v_mul_f32_e32 v5, v6, v31
	s_delay_alu instid0(VALU_DEP_2) | instskip(SKIP_1) | instid1(VALU_DEP_3)
	v_fma_f32 v4, v6, v30, -v4
	v_sub_f32_e32 v9, v9, v19
	v_dual_fmac_f32 v5, v7, v30 :: v_dual_and_b32 v10, 0x7fffffff, v3
	v_sub_f32_e32 v1, v1, v18
	s_delay_alu instid0(VALU_DEP_3) | instskip(NEXT) | instid1(VALU_DEP_3)
	v_sub_f32_e32 v0, v9, v0
	v_cmp_ngt_f32_e32 vcc_lo, v34, v10
	s_delay_alu instid0(VALU_DEP_2)
	v_dual_sub_f32 v5, v1, v5 :: v_dual_sub_f32 v4, v0, v4
                                        ; implicit-def: $vgpr1
	s_cbranch_vccz .LBB147_36
; %bb.35:                               ;   in Loop: Header=BB147_20 Depth=2
	v_div_scale_f32 v0, null, v3, v3, v2
	v_div_scale_f32 v7, vcc_lo, v2, v3, v2
	s_mov_b32 s34, 0
	v_rcp_f32_e32 v1, v0
	v_xor_b32_e32 v0, 0x80000000, v0
	s_delay_alu instid0(TRANS32_DEP_1) | instid1(VALU_DEP_1)
	v_fma_f32 v6, v0, v1, 1.0
	s_delay_alu instid0(VALU_DEP_1) | instskip(NEXT) | instid1(VALU_DEP_1)
	v_fmac_f32_e32 v1, v6, v1
	v_mul_f32_e32 v6, v7, v1
	s_delay_alu instid0(VALU_DEP_1) | instskip(NEXT) | instid1(VALU_DEP_1)
	v_fma_f32 v8, v0, v6, v7
	v_fmac_f32_e32 v6, v8, v1
	s_delay_alu instid0(VALU_DEP_1) | instskip(SKIP_1) | instid1(VALU_DEP_1)
	v_fmac_f32_e32 v7, v0, v6
	s_wait_alu 0xfffd
	v_div_fmas_f32 v0, v7, v1, v6
	s_delay_alu instid0(VALU_DEP_1) | instskip(NEXT) | instid1(VALU_DEP_1)
	v_div_fixup_f32 v0, v0, v3, v2
	v_fma_f32 v1, v2, v0, v3
	s_delay_alu instid0(VALU_DEP_1) | instskip(SKIP_1) | instid1(VALU_DEP_2)
	v_div_scale_f32 v6, null, v1, v1, 1.0
	v_div_scale_f32 v9, vcc_lo, 1.0, v1, 1.0
	v_rcp_f32_e32 v7, v6
	v_xor_b32_e32 v6, 0x80000000, v6
	s_delay_alu instid0(TRANS32_DEP_1) | instid1(VALU_DEP_1)
	v_fma_f32 v8, v6, v7, 1.0
	s_delay_alu instid0(VALU_DEP_1) | instskip(NEXT) | instid1(VALU_DEP_1)
	v_fmac_f32_e32 v7, v8, v7
	v_mul_f32_e32 v8, v9, v7
	s_delay_alu instid0(VALU_DEP_1) | instskip(NEXT) | instid1(VALU_DEP_1)
	v_fma_f32 v10, v6, v8, v9
	v_fmac_f32_e32 v8, v10, v7
	s_delay_alu instid0(VALU_DEP_1) | instskip(SKIP_1) | instid1(VALU_DEP_1)
	v_fmac_f32_e32 v9, v6, v8
	s_wait_alu 0xfffd
	v_div_fmas_f32 v6, v9, v7, v8
	v_fma_f32 v7, v0, v4, v5
	s_delay_alu instid0(VALU_DEP_2) | instskip(SKIP_1) | instid1(VALU_DEP_2)
	v_div_fixup_f32 v1, v6, v1, 1.0
	v_fma_f32 v6, v0, v5, -v4
	v_mul_f32_e32 v0, v7, v1
	s_delay_alu instid0(VALU_DEP_2)
	v_mul_f32_e32 v1, v6, v1
.LBB147_36:                             ;   in Loop: Header=BB147_20 Depth=2
	s_wait_alu 0xfffe
	s_and_not1_b32 vcc_lo, exec_lo, s34
	s_wait_alu 0xfffe
	s_cbranch_vccnz .LBB147_38
; %bb.37:                               ;   in Loop: Header=BB147_20 Depth=2
	v_div_scale_f32 v0, null, v2, v2, v3
	v_div_scale_f32 v7, vcc_lo, v3, v2, v3
	s_delay_alu instid0(VALU_DEP_2)
	v_rcp_f32_e32 v1, v0
	v_xor_b32_e32 v0, 0x80000000, v0
	s_delay_alu instid0(TRANS32_DEP_1) | instid1(VALU_DEP_1)
	v_fma_f32 v6, v0, v1, 1.0
	s_delay_alu instid0(VALU_DEP_1) | instskip(NEXT) | instid1(VALU_DEP_1)
	v_fmac_f32_e32 v1, v6, v1
	v_mul_f32_e32 v6, v7, v1
	s_delay_alu instid0(VALU_DEP_1) | instskip(NEXT) | instid1(VALU_DEP_1)
	v_fma_f32 v8, v0, v6, v7
	v_fmac_f32_e32 v6, v8, v1
	s_delay_alu instid0(VALU_DEP_1) | instskip(SKIP_1) | instid1(VALU_DEP_1)
	v_fmac_f32_e32 v7, v0, v6
	s_wait_alu 0xfffd
	v_div_fmas_f32 v0, v7, v1, v6
	s_delay_alu instid0(VALU_DEP_1) | instskip(NEXT) | instid1(VALU_DEP_1)
	v_div_fixup_f32 v0, v0, v2, v3
	v_fmac_f32_e32 v2, v3, v0
	s_delay_alu instid0(VALU_DEP_1) | instskip(SKIP_1) | instid1(VALU_DEP_2)
	v_div_scale_f32 v1, null, v2, v2, 1.0
	v_div_scale_f32 v7, vcc_lo, 1.0, v2, 1.0
	v_rcp_f32_e32 v3, v1
	v_xor_b32_e32 v1, 0x80000000, v1
	s_delay_alu instid0(TRANS32_DEP_1) | instid1(VALU_DEP_1)
	v_fma_f32 v6, v1, v3, 1.0
	s_delay_alu instid0(VALU_DEP_1) | instskip(NEXT) | instid1(VALU_DEP_1)
	v_fmac_f32_e32 v3, v6, v3
	v_mul_f32_e32 v6, v7, v3
	s_delay_alu instid0(VALU_DEP_1) | instskip(NEXT) | instid1(VALU_DEP_1)
	v_fma_f32 v8, v1, v6, v7
	v_fmac_f32_e32 v6, v8, v3
	s_delay_alu instid0(VALU_DEP_1) | instskip(SKIP_1) | instid1(VALU_DEP_1)
	v_fmac_f32_e32 v7, v1, v6
	s_wait_alu 0xfffd
	v_div_fmas_f32 v1, v7, v3, v6
	v_fma_f32 v3, v0, v5, v4
	s_delay_alu instid0(VALU_DEP_2) | instskip(SKIP_1) | instid1(VALU_DEP_2)
	v_div_fixup_f32 v1, v1, v2, 1.0
	v_fma_f32 v2, -v0, v4, v5
	v_mul_f32_e32 v0, v3, v1
	s_delay_alu instid0(VALU_DEP_2)
	v_mul_f32_e32 v1, v2, v1
.LBB147_38:                             ;   in Loop: Header=BB147_20 Depth=2
	s_add_co_i32 s34, s21, 4
	s_add_co_i32 s21, s21, 7
	;; [unrolled: 1-line block ×3, first 2 shown]
	s_wait_alu 0xfffe
	s_cmp_ge_i32 s21, s24
	ds_store_b64 v11, v[0:1]
	s_cbranch_scc1 .LBB147_40
; %bb.39:                               ;   in Loop: Header=BB147_20 Depth=2
	s_mov_b32 s21, s34
	s_branch .LBB147_20
.LBB147_40:                             ;   in Loop: Header=BB147_3 Depth=1
	s_cmp_ge_i32 s34, s24
	s_cbranch_scc1 .LBB147_49
; %bb.41:                               ;   in Loop: Header=BB147_3 Depth=1
	s_lshl_b32 s20, s34, 3
	s_branch .LBB147_43
.LBB147_42:                             ;   in Loop: Header=BB147_43 Depth=2
	s_add_co_i32 s34, s34, 1
	s_add_co_i32 s20, s20, 8
	s_wait_alu 0xfffe
	s_cmp_ge_i32 s34, s24
	ds_store_b64 v6, v[4:5]
	s_cbranch_scc1 .LBB147_49
.LBB147_43:                             ;   Parent Loop BB147_3 Depth=1
                                        ; =>  This Loop Header: Depth=2
                                        ;       Child Loop BB147_44 Depth 3
	s_mul_i32 s21, s34, 0x60
	v_mov_b32_e32 v2, v14
	s_wait_alu 0xfffe
	v_add_nc_u32_e32 v6, s21, v14
	s_cmp_eq_u32 s34, 0
	s_mov_b32 s35, s20
	s_mov_b32 s36, s34
	ds_load_b64 v[0:1], v6
	s_cbranch_scc1 .LBB147_45
.LBB147_44:                             ;   Parent Loop BB147_3 Depth=1
                                        ;     Parent Loop BB147_43 Depth=2
                                        ; =>    This Inner Loop Header: Depth=3
	s_wait_alu 0xfffe
	v_mov_b32_e32 v5, s35
	s_add_co_i32 s36, s36, -1
	s_addk_co_i32 s35, 0x60
	s_wait_alu 0xfffe
	s_cmp_eq_u32 s36, 0
	ds_load_b64 v[3:4], v2
	ds_load_b64 v[7:8], v5
	s_wait_dscnt 0x0
	v_dual_mul_f32 v5, v8, v4 :: v_dual_add_nc_u32 v2, 0x60, v2
	v_mul_f32_e32 v4, v7, v4
	s_delay_alu instid0(VALU_DEP_2) | instskip(NEXT) | instid1(VALU_DEP_2)
	v_fma_f32 v5, v7, v3, -v5
	v_fmac_f32_e32 v4, v8, v3
	s_delay_alu instid0(VALU_DEP_1)
	v_dual_sub_f32 v0, v0, v5 :: v_dual_sub_f32 v1, v1, v4
	s_cbranch_scc0 .LBB147_44
.LBB147_45:                             ;   in Loop: Header=BB147_43 Depth=2
	s_lshl_b32 s35, s34, 3
	s_wait_alu 0xfffe
	s_add_co_i32 s21, s35, s21
	s_wait_alu 0xfffe
	v_mov_b32_e32 v2, s21
	s_mov_b32 s21, -1
	ds_load_b64 v[2:3], v2
	s_wait_dscnt 0x0
	v_and_b32_e32 v4, 0x7fffffff, v2
	v_and_b32_e32 v5, 0x7fffffff, v3
	s_delay_alu instid0(VALU_DEP_1)
	v_cmp_ngt_f32_e32 vcc_lo, v4, v5
                                        ; implicit-def: $vgpr4
	s_cbranch_vccz .LBB147_47
; %bb.46:                               ;   in Loop: Header=BB147_43 Depth=2
	v_div_scale_f32 v4, null, v3, v3, v2
	v_div_scale_f32 v8, vcc_lo, v2, v3, v2
	s_mov_b32 s21, 0
	v_rcp_f32_e32 v5, v4
	v_xor_b32_e32 v4, 0x80000000, v4
	s_delay_alu instid0(TRANS32_DEP_1) | instid1(VALU_DEP_1)
	v_fma_f32 v7, v4, v5, 1.0
	s_delay_alu instid0(VALU_DEP_1) | instskip(NEXT) | instid1(VALU_DEP_1)
	v_fmac_f32_e32 v5, v7, v5
	v_mul_f32_e32 v7, v8, v5
	s_delay_alu instid0(VALU_DEP_1) | instskip(NEXT) | instid1(VALU_DEP_1)
	v_fma_f32 v9, v4, v7, v8
	v_fmac_f32_e32 v7, v9, v5
	s_delay_alu instid0(VALU_DEP_1) | instskip(SKIP_1) | instid1(VALU_DEP_1)
	v_fmac_f32_e32 v8, v4, v7
	s_wait_alu 0xfffd
	v_div_fmas_f32 v4, v8, v5, v7
	s_delay_alu instid0(VALU_DEP_1) | instskip(NEXT) | instid1(VALU_DEP_1)
	v_div_fixup_f32 v4, v4, v3, v2
	v_fma_f32 v5, v2, v4, v3
	s_delay_alu instid0(VALU_DEP_1) | instskip(SKIP_1) | instid1(VALU_DEP_2)
	v_div_scale_f32 v7, null, v5, v5, 1.0
	v_div_scale_f32 v10, vcc_lo, 1.0, v5, 1.0
	v_rcp_f32_e32 v8, v7
	v_xor_b32_e32 v7, 0x80000000, v7
	s_delay_alu instid0(TRANS32_DEP_1) | instid1(VALU_DEP_1)
	v_fma_f32 v9, v7, v8, 1.0
	s_delay_alu instid0(VALU_DEP_1) | instskip(NEXT) | instid1(VALU_DEP_1)
	v_fmac_f32_e32 v8, v9, v8
	v_mul_f32_e32 v9, v10, v8
	s_delay_alu instid0(VALU_DEP_1) | instskip(NEXT) | instid1(VALU_DEP_1)
	v_fma_f32 v11, v7, v9, v10
	v_fmac_f32_e32 v9, v11, v8
	s_delay_alu instid0(VALU_DEP_1) | instskip(SKIP_1) | instid1(VALU_DEP_1)
	v_fmac_f32_e32 v10, v7, v9
	s_wait_alu 0xfffd
	v_div_fmas_f32 v7, v10, v8, v9
	v_fma_f32 v8, v0, v4, v1
	s_delay_alu instid0(VALU_DEP_2) | instskip(SKIP_1) | instid1(VALU_DEP_2)
	v_div_fixup_f32 v5, v7, v5, 1.0
	v_fma_f32 v7, v1, v4, -v0
	v_mul_f32_e32 v4, v8, v5
	s_delay_alu instid0(VALU_DEP_2)
	v_mul_f32_e32 v5, v7, v5
.LBB147_47:                             ;   in Loop: Header=BB147_43 Depth=2
	s_wait_alu 0xfffe
	s_and_not1_b32 vcc_lo, exec_lo, s21
	s_wait_alu 0xfffe
	s_cbranch_vccnz .LBB147_42
; %bb.48:                               ;   in Loop: Header=BB147_43 Depth=2
	v_div_scale_f32 v4, null, v2, v2, v3
	v_div_scale_f32 v8, vcc_lo, v3, v2, v3
	s_delay_alu instid0(VALU_DEP_2)
	v_rcp_f32_e32 v5, v4
	v_xor_b32_e32 v4, 0x80000000, v4
	s_delay_alu instid0(TRANS32_DEP_1) | instid1(VALU_DEP_1)
	v_fma_f32 v7, v4, v5, 1.0
	s_delay_alu instid0(VALU_DEP_1) | instskip(NEXT) | instid1(VALU_DEP_1)
	v_fmac_f32_e32 v5, v7, v5
	v_mul_f32_e32 v7, v8, v5
	s_delay_alu instid0(VALU_DEP_1) | instskip(NEXT) | instid1(VALU_DEP_1)
	v_fma_f32 v9, v4, v7, v8
	v_fmac_f32_e32 v7, v9, v5
	s_delay_alu instid0(VALU_DEP_1) | instskip(SKIP_1) | instid1(VALU_DEP_1)
	v_fmac_f32_e32 v8, v4, v7
	s_wait_alu 0xfffd
	v_div_fmas_f32 v4, v8, v5, v7
	s_delay_alu instid0(VALU_DEP_1) | instskip(NEXT) | instid1(VALU_DEP_1)
	v_div_fixup_f32 v4, v4, v2, v3
	v_fmac_f32_e32 v2, v3, v4
	s_delay_alu instid0(VALU_DEP_1) | instskip(SKIP_1) | instid1(VALU_DEP_2)
	v_div_scale_f32 v3, null, v2, v2, 1.0
	v_div_scale_f32 v8, vcc_lo, 1.0, v2, 1.0
	v_rcp_f32_e32 v5, v3
	v_xor_b32_e32 v3, 0x80000000, v3
	s_delay_alu instid0(TRANS32_DEP_1) | instid1(VALU_DEP_1)
	v_fma_f32 v7, v3, v5, 1.0
	s_delay_alu instid0(VALU_DEP_1) | instskip(NEXT) | instid1(VALU_DEP_1)
	v_fmac_f32_e32 v5, v7, v5
	v_mul_f32_e32 v7, v8, v5
	s_delay_alu instid0(VALU_DEP_1) | instskip(NEXT) | instid1(VALU_DEP_1)
	v_fma_f32 v9, v3, v7, v8
	v_fmac_f32_e32 v7, v9, v5
	s_delay_alu instid0(VALU_DEP_1) | instskip(SKIP_1) | instid1(VALU_DEP_1)
	v_fmac_f32_e32 v8, v3, v7
	s_wait_alu 0xfffd
	v_div_fmas_f32 v3, v8, v5, v7
	v_fma_f32 v5, v1, v4, v0
	v_fma_f32 v0, -v0, v4, v1
	s_delay_alu instid0(VALU_DEP_3) | instskip(NEXT) | instid1(VALU_DEP_1)
	v_div_fixup_f32 v2, v3, v2, 1.0
	v_mul_f32_e32 v4, v5, v2
	s_delay_alu instid0(VALU_DEP_3)
	v_mul_f32_e32 v5, v0, v2
	s_branch .LBB147_42
.LBB147_49:                             ;   in Loop: Header=BB147_3 Depth=1
	s_mov_b32 s20, 0
.LBB147_50:                             ;   in Loop: Header=BB147_3 Depth=1
	s_wait_alu 0xfffe
	s_and_b32 vcc_lo, exec_lo, s20
	s_wait_alu 0xfffe
	s_cbranch_vccz .LBB147_82
; %bb.51:                               ;   in Loop: Header=BB147_3 Depth=1
	s_mov_b32 s34, s25
	s_and_not1_b32 vcc_lo, exec_lo, s22
	s_mov_b32 s20, s29
	s_mov_b32 s21, s25
	s_wait_alu 0xfffe
	s_cbranch_vccnz .LBB147_73
.LBB147_52:                             ;   Parent Loop BB147_3 Depth=1
                                        ; =>  This Loop Header: Depth=2
                                        ;       Child Loop BB147_53 Depth 3
	s_wait_alu 0xfffe
	s_mul_i32 s35, s21, 0x60
	s_mov_b32 s36, s25
	s_wait_alu 0xfffe
	v_add_nc_u32_e32 v20, s35, v14
	s_add_co_i32 s34, s35, 0xfffffee0
	s_cmp_le_i32 s25, s21
	s_wait_alu 0xfffe
	v_add_nc_u32_e32 v17, s34, v14
	s_mov_b32 s34, s20
	v_dual_mov_b32 v4, v27 :: v_dual_add_nc_u32 v19, 0xffffffa0, v20
	v_add_nc_u32_e32 v18, 0xffffff40, v20
	ds_load_b64 v[8:9], v20
	ds_load_b64 v[6:7], v19
	;; [unrolled: 1-line block ×4, first 2 shown]
	s_cbranch_scc1 .LBB147_54
.LBB147_53:                             ;   Parent Loop BB147_3 Depth=1
                                        ;     Parent Loop BB147_52 Depth=2
                                        ; =>    This Inner Loop Header: Depth=3
	s_wait_alu 0xfffe
	v_mov_b32_e32 v5, s34
	s_add_co_i32 s36, s36, -1
	s_addk_co_i32 s34, 0xffa0
	s_wait_alu 0xfffe
	s_cmp_le_i32 s36, s21
	ds_load_b64 v[10:11], v4
	ds_load_2addr_b64 v[30:33], v5 offset0:2 offset1:3
	ds_load_2addr_b64 v[34:37], v5 offset1:1
	s_wait_dscnt 0x1
	v_dual_mul_f32 v5, v33, v11 :: v_dual_add_nc_u32 v4, 0xffffffa0, v4
	v_mul_f32_e32 v38, v32, v11
	v_mul_f32_e32 v39, v31, v11
	s_wait_dscnt 0x0
	v_dual_mul_f32 v31, v31, v10 :: v_dual_mul_f32 v40, v37, v11
	v_mul_f32_e32 v41, v35, v11
	v_mul_f32_e32 v35, v35, v10
	v_fma_f32 v5, v32, v10, -v5
	v_mul_f32_e32 v37, v37, v10
	v_fmac_f32_e32 v38, v33, v10
	v_fma_f32 v32, v30, v10, -v39
	v_fmac_f32_e32 v31, v30, v11
	v_fma_f32 v30, v36, v10, -v40
	v_dual_fmac_f32 v35, v34, v11 :: v_dual_sub_f32 v8, v8, v5
	v_fmac_f32_e32 v37, v36, v11
	v_sub_f32_e32 v9, v9, v38
	s_delay_alu instid0(VALU_DEP_4) | instskip(SKIP_1) | instid1(VALU_DEP_4)
	v_sub_f32_e32 v2, v2, v30
	v_fma_f32 v10, v34, v10, -v41
	v_dual_sub_f32 v6, v6, v32 :: v_dual_sub_f32 v3, v3, v37
	s_delay_alu instid0(VALU_DEP_2)
	v_dual_sub_f32 v1, v1, v35 :: v_dual_sub_f32 v0, v0, v10
	v_sub_f32_e32 v7, v7, v31
	s_cbranch_scc0 .LBB147_53
.LBB147_54:                             ;   in Loop: Header=BB147_52 Depth=2
	s_add_co_i32 s34, s21, -3
; %bb.55:                               ;   in Loop: Header=BB147_52 Depth=2
	s_lshl_b32 s36, s21, 3
	s_wait_alu 0xfffe
	s_add_co_i32 s35, s36, s35
	s_mov_b32 s36, -1
	s_wait_alu 0xfffe
	v_mov_b32_e32 v4, s35
	ds_load_b64 v[10:11], v4
	s_wait_dscnt 0x0
	v_and_b32_e32 v4, 0x7fffffff, v10
	v_and_b32_e32 v5, 0x7fffffff, v11
	s_delay_alu instid0(VALU_DEP_1)
	v_cmp_ngt_f32_e32 vcc_lo, v4, v5
                                        ; implicit-def: $vgpr5
	s_cbranch_vccz .LBB147_57
; %bb.56:                               ;   in Loop: Header=BB147_52 Depth=2
	v_div_scale_f32 v4, null, v11, v11, v10
	v_div_scale_f32 v31, vcc_lo, v10, v11, v10
	s_mov_b32 s36, 0
	v_rcp_f32_e32 v5, v4
	v_xor_b32_e32 v4, 0x80000000, v4
	s_delay_alu instid0(TRANS32_DEP_1) | instid1(VALU_DEP_1)
	v_fma_f32 v30, v4, v5, 1.0
	s_delay_alu instid0(VALU_DEP_1) | instskip(NEXT) | instid1(VALU_DEP_1)
	v_fmac_f32_e32 v5, v30, v5
	v_mul_f32_e32 v30, v31, v5
	s_delay_alu instid0(VALU_DEP_1) | instskip(NEXT) | instid1(VALU_DEP_1)
	v_fma_f32 v32, v4, v30, v31
	v_fmac_f32_e32 v30, v32, v5
	s_delay_alu instid0(VALU_DEP_1) | instskip(SKIP_1) | instid1(VALU_DEP_1)
	v_fmac_f32_e32 v31, v4, v30
	s_wait_alu 0xfffd
	v_div_fmas_f32 v4, v31, v5, v30
	s_delay_alu instid0(VALU_DEP_1) | instskip(NEXT) | instid1(VALU_DEP_1)
	v_div_fixup_f32 v4, v4, v11, v10
	v_fma_f32 v5, v10, v4, v11
	s_delay_alu instid0(VALU_DEP_1) | instskip(SKIP_1) | instid1(VALU_DEP_2)
	v_div_scale_f32 v30, null, v5, v5, 1.0
	v_div_scale_f32 v33, vcc_lo, 1.0, v5, 1.0
	v_rcp_f32_e32 v31, v30
	v_xor_b32_e32 v30, 0x80000000, v30
	s_delay_alu instid0(TRANS32_DEP_1) | instid1(VALU_DEP_1)
	v_fma_f32 v32, v30, v31, 1.0
	s_delay_alu instid0(VALU_DEP_1) | instskip(NEXT) | instid1(VALU_DEP_1)
	v_fmac_f32_e32 v31, v32, v31
	v_mul_f32_e32 v32, v33, v31
	s_delay_alu instid0(VALU_DEP_1) | instskip(NEXT) | instid1(VALU_DEP_1)
	v_fma_f32 v34, v30, v32, v33
	v_fmac_f32_e32 v32, v34, v31
	s_delay_alu instid0(VALU_DEP_1) | instskip(SKIP_1) | instid1(VALU_DEP_1)
	v_fmac_f32_e32 v33, v30, v32
	s_wait_alu 0xfffd
	v_div_fmas_f32 v30, v33, v31, v32
	v_fma_f32 v31, v8, v4, v9
	s_delay_alu instid0(VALU_DEP_2) | instskip(SKIP_1) | instid1(VALU_DEP_2)
	v_div_fixup_f32 v5, v30, v5, 1.0
	v_fma_f32 v30, v9, v4, -v8
	v_mul_f32_e32 v4, v31, v5
	s_delay_alu instid0(VALU_DEP_2)
	v_mul_f32_e32 v5, v30, v5
.LBB147_57:                             ;   in Loop: Header=BB147_52 Depth=2
	s_wait_alu 0xfffe
	s_and_not1_b32 vcc_lo, exec_lo, s36
	s_wait_alu 0xfffe
	s_cbranch_vccnz .LBB147_59
; %bb.58:                               ;   in Loop: Header=BB147_52 Depth=2
	v_div_scale_f32 v4, null, v10, v10, v11
	v_div_scale_f32 v31, vcc_lo, v11, v10, v11
	s_delay_alu instid0(VALU_DEP_2)
	v_rcp_f32_e32 v5, v4
	v_xor_b32_e32 v4, 0x80000000, v4
	s_delay_alu instid0(TRANS32_DEP_1) | instid1(VALU_DEP_1)
	v_fma_f32 v30, v4, v5, 1.0
	s_delay_alu instid0(VALU_DEP_1) | instskip(NEXT) | instid1(VALU_DEP_1)
	v_fmac_f32_e32 v5, v30, v5
	v_mul_f32_e32 v30, v31, v5
	s_delay_alu instid0(VALU_DEP_1) | instskip(NEXT) | instid1(VALU_DEP_1)
	v_fma_f32 v32, v4, v30, v31
	v_fmac_f32_e32 v30, v32, v5
	s_delay_alu instid0(VALU_DEP_1) | instskip(SKIP_1) | instid1(VALU_DEP_1)
	v_fmac_f32_e32 v31, v4, v30
	s_wait_alu 0xfffd
	v_div_fmas_f32 v4, v31, v5, v30
	s_delay_alu instid0(VALU_DEP_1) | instskip(NEXT) | instid1(VALU_DEP_1)
	v_div_fixup_f32 v4, v4, v10, v11
	v_fmac_f32_e32 v10, v11, v4
	s_delay_alu instid0(VALU_DEP_1) | instskip(SKIP_1) | instid1(VALU_DEP_2)
	v_div_scale_f32 v5, null, v10, v10, 1.0
	v_div_scale_f32 v31, vcc_lo, 1.0, v10, 1.0
	v_rcp_f32_e32 v11, v5
	v_xor_b32_e32 v5, 0x80000000, v5
	s_delay_alu instid0(TRANS32_DEP_1) | instid1(VALU_DEP_1)
	v_fma_f32 v30, v5, v11, 1.0
	s_delay_alu instid0(VALU_DEP_1) | instskip(NEXT) | instid1(VALU_DEP_1)
	v_fmac_f32_e32 v11, v30, v11
	v_mul_f32_e32 v30, v31, v11
	s_delay_alu instid0(VALU_DEP_1) | instskip(NEXT) | instid1(VALU_DEP_1)
	v_fma_f32 v32, v5, v30, v31
	v_fmac_f32_e32 v30, v32, v11
	s_delay_alu instid0(VALU_DEP_1) | instskip(SKIP_1) | instid1(VALU_DEP_1)
	v_fmac_f32_e32 v31, v5, v30
	s_wait_alu 0xfffd
	v_div_fmas_f32 v5, v31, v11, v30
	v_fma_f32 v11, v9, v4, v8
	v_fma_f32 v8, -v8, v4, v9
	s_delay_alu instid0(VALU_DEP_3) | instskip(NEXT) | instid1(VALU_DEP_1)
	v_div_fixup_f32 v5, v5, v10, 1.0
	v_mul_f32_e32 v4, v11, v5
	s_delay_alu instid0(VALU_DEP_3)
	v_mul_f32_e32 v5, v8, v5
.LBB147_59:                             ;   in Loop: Header=BB147_52 Depth=2
	s_add_co_i32 s37, s35, -8
	s_add_co_i32 s36, s35, 0xffffff98
	s_wait_alu 0xfffe
	v_dual_mov_b32 v8, s37 :: v_dual_mov_b32 v9, s36
	s_mov_b32 s37, -1
	ds_load_b64 v[10:11], v8
	ds_load_b64 v[8:9], v9
	ds_store_b64 v20, v[4:5]
	s_wait_dscnt 0x1
	v_dual_mul_f32 v30, v5, v11 :: v_dual_and_b32 v31, 0x7fffffff, v8
	v_dual_mul_f32 v11, v4, v11 :: v_dual_and_b32 v32, 0x7fffffff, v9
	s_delay_alu instid0(VALU_DEP_2) | instskip(NEXT) | instid1(VALU_DEP_2)
	v_fma_f32 v30, v4, v10, -v30
	v_fmac_f32_e32 v11, v5, v10
	s_delay_alu instid0(VALU_DEP_3) | instskip(NEXT) | instid1(VALU_DEP_2)
	v_cmp_ngt_f32_e32 vcc_lo, v31, v32
	v_dual_sub_f32 v10, v6, v30 :: v_dual_sub_f32 v11, v7, v11
                                        ; implicit-def: $vgpr7
	s_cbranch_vccz .LBB147_61
; %bb.60:                               ;   in Loop: Header=BB147_52 Depth=2
	v_div_scale_f32 v6, null, v9, v9, v8
	v_div_scale_f32 v30, vcc_lo, v8, v9, v8
	s_mov_b32 s37, 0
	v_rcp_f32_e32 v7, v6
	v_xor_b32_e32 v6, 0x80000000, v6
	s_delay_alu instid0(TRANS32_DEP_1) | instid1(VALU_DEP_1)
	v_fma_f32 v20, v6, v7, 1.0
	s_delay_alu instid0(VALU_DEP_1) | instskip(NEXT) | instid1(VALU_DEP_1)
	v_fmac_f32_e32 v7, v20, v7
	v_mul_f32_e32 v20, v30, v7
	s_delay_alu instid0(VALU_DEP_1) | instskip(NEXT) | instid1(VALU_DEP_1)
	v_fma_f32 v31, v6, v20, v30
	v_fmac_f32_e32 v20, v31, v7
	s_delay_alu instid0(VALU_DEP_1) | instskip(SKIP_1) | instid1(VALU_DEP_1)
	v_fmac_f32_e32 v30, v6, v20
	s_wait_alu 0xfffd
	v_div_fmas_f32 v6, v30, v7, v20
	s_delay_alu instid0(VALU_DEP_1) | instskip(NEXT) | instid1(VALU_DEP_1)
	v_div_fixup_f32 v6, v6, v9, v8
	v_fma_f32 v7, v8, v6, v9
	s_delay_alu instid0(VALU_DEP_1) | instskip(SKIP_1) | instid1(VALU_DEP_2)
	v_div_scale_f32 v20, null, v7, v7, 1.0
	v_div_scale_f32 v32, vcc_lo, 1.0, v7, 1.0
	v_rcp_f32_e32 v30, v20
	v_xor_b32_e32 v20, 0x80000000, v20
	s_delay_alu instid0(TRANS32_DEP_1) | instid1(VALU_DEP_1)
	v_fma_f32 v31, v20, v30, 1.0
	s_delay_alu instid0(VALU_DEP_1) | instskip(NEXT) | instid1(VALU_DEP_1)
	v_fmac_f32_e32 v30, v31, v30
	v_mul_f32_e32 v31, v32, v30
	s_delay_alu instid0(VALU_DEP_1) | instskip(NEXT) | instid1(VALU_DEP_1)
	v_fma_f32 v33, v20, v31, v32
	v_fmac_f32_e32 v31, v33, v30
	s_delay_alu instid0(VALU_DEP_1) | instskip(SKIP_1) | instid1(VALU_DEP_1)
	v_fmac_f32_e32 v32, v20, v31
	s_wait_alu 0xfffd
	v_div_fmas_f32 v20, v32, v30, v31
	v_fma_f32 v30, v6, v10, v11
	s_delay_alu instid0(VALU_DEP_2) | instskip(SKIP_1) | instid1(VALU_DEP_2)
	v_div_fixup_f32 v7, v20, v7, 1.0
	v_fma_f32 v20, v6, v11, -v10
	v_mul_f32_e32 v6, v30, v7
	s_delay_alu instid0(VALU_DEP_2)
	v_mul_f32_e32 v7, v20, v7
.LBB147_61:                             ;   in Loop: Header=BB147_52 Depth=2
	s_wait_alu 0xfffe
	s_and_not1_b32 vcc_lo, exec_lo, s37
	s_wait_alu 0xfffe
	s_cbranch_vccnz .LBB147_63
; %bb.62:                               ;   in Loop: Header=BB147_52 Depth=2
	v_div_scale_f32 v6, null, v8, v8, v9
	v_div_scale_f32 v30, vcc_lo, v9, v8, v9
	s_delay_alu instid0(VALU_DEP_2)
	v_rcp_f32_e32 v7, v6
	v_xor_b32_e32 v6, 0x80000000, v6
	s_delay_alu instid0(TRANS32_DEP_1) | instid1(VALU_DEP_1)
	v_fma_f32 v20, v6, v7, 1.0
	s_delay_alu instid0(VALU_DEP_1) | instskip(NEXT) | instid1(VALU_DEP_1)
	v_fmac_f32_e32 v7, v20, v7
	v_mul_f32_e32 v20, v30, v7
	s_delay_alu instid0(VALU_DEP_1) | instskip(NEXT) | instid1(VALU_DEP_1)
	v_fma_f32 v31, v6, v20, v30
	v_fmac_f32_e32 v20, v31, v7
	s_delay_alu instid0(VALU_DEP_1) | instskip(SKIP_1) | instid1(VALU_DEP_1)
	v_fmac_f32_e32 v30, v6, v20
	s_wait_alu 0xfffd
	v_div_fmas_f32 v6, v30, v7, v20
	s_delay_alu instid0(VALU_DEP_1) | instskip(NEXT) | instid1(VALU_DEP_1)
	v_div_fixup_f32 v6, v6, v8, v9
	v_fmac_f32_e32 v8, v9, v6
	s_delay_alu instid0(VALU_DEP_1) | instskip(NEXT) | instid1(VALU_DEP_1)
	v_div_scale_f32 v7, null, v8, v8, 1.0
	v_rcp_f32_e32 v9, v7
	v_xor_b32_e32 v7, 0x80000000, v7
	s_delay_alu instid0(TRANS32_DEP_1) | instid1(VALU_DEP_1)
	v_fma_f32 v20, v7, v9, 1.0
	s_delay_alu instid0(VALU_DEP_1) | instskip(SKIP_1) | instid1(VALU_DEP_1)
	v_fmac_f32_e32 v9, v20, v9
	v_div_scale_f32 v30, vcc_lo, 1.0, v8, 1.0
	v_mul_f32_e32 v20, v30, v9
	s_delay_alu instid0(VALU_DEP_1) | instskip(NEXT) | instid1(VALU_DEP_1)
	v_fma_f32 v31, v7, v20, v30
	v_fmac_f32_e32 v20, v31, v9
	s_delay_alu instid0(VALU_DEP_1) | instskip(SKIP_1) | instid1(VALU_DEP_1)
	v_fmac_f32_e32 v30, v7, v20
	s_wait_alu 0xfffd
	v_div_fmas_f32 v7, v30, v9, v20
	v_fma_f32 v9, v6, v11, v10
	s_delay_alu instid0(VALU_DEP_2) | instskip(SKIP_1) | instid1(VALU_DEP_2)
	v_div_fixup_f32 v7, v7, v8, 1.0
	v_fma_f32 v8, -v6, v10, v11
	v_mul_f32_e32 v6, v9, v7
	s_delay_alu instid0(VALU_DEP_2)
	v_mul_f32_e32 v7, v8, v7
.LBB147_63:                             ;   in Loop: Header=BB147_52 Depth=2
	s_add_co_i32 s38, s21, -1
	s_add_co_i32 s37, s35, -16
	s_wait_alu 0xfffe
	s_lshl_b32 s38, s38, 3
	s_wait_alu 0xfffe
	s_sub_co_i32 s38, s36, s38
	s_add_co_i32 s36, s35, 0xffffff30
	s_wait_alu 0xfffe
	v_dual_mov_b32 v8, s37 :: v_dual_mov_b32 v9, s36
	s_add_co_i32 s37, s21, -2
	s_wait_alu 0xfffe
	s_lshl_b32 s37, s37, 3
	ds_load_b64 v[10:11], v8
	s_wait_alu 0xfffe
	s_add_co_i32 s39, s38, s37
	s_wait_alu 0xfffe
	v_mov_b32_e32 v8, s39
	s_mov_b32 s39, -1
	s_wait_dscnt 0x0
	v_mul_f32_e32 v20, v5, v11
	v_mul_f32_e32 v11, v4, v11
	ds_load_b64 v[30:31], v8
	ds_load_b64 v[8:9], v9
	ds_store_b64 v19, v[6:7]
	v_fmac_f32_e32 v11, v5, v10
	s_wait_dscnt 0x1
	v_and_b32_e32 v33, 0x7fffffff, v9
	v_fma_f32 v20, v4, v10, -v20
	v_mul_f32_e32 v10, v7, v31
	v_dual_mul_f32 v31, v6, v31 :: v_dual_and_b32 v32, 0x7fffffff, v8
	s_delay_alu instid0(VALU_DEP_3) | instskip(NEXT) | instid1(VALU_DEP_3)
	v_dual_sub_f32 v3, v3, v11 :: v_dual_sub_f32 v2, v2, v20
	v_fma_f32 v10, v6, v30, -v10
	s_delay_alu instid0(VALU_DEP_3) | instskip(NEXT) | instid1(VALU_DEP_4)
	v_fmac_f32_e32 v31, v7, v30
	v_cmp_ngt_f32_e32 vcc_lo, v32, v33
	s_delay_alu instid0(VALU_DEP_2)
	v_dual_sub_f32 v2, v2, v10 :: v_dual_sub_f32 v3, v3, v31
                                        ; implicit-def: $vgpr11
	s_cbranch_vccz .LBB147_65
; %bb.64:                               ;   in Loop: Header=BB147_52 Depth=2
	v_div_scale_f32 v10, null, v9, v9, v8
	v_div_scale_f32 v20, vcc_lo, v8, v9, v8
	s_mov_b32 s39, 0
	v_rcp_f32_e32 v11, v10
	v_xor_b32_e32 v10, 0x80000000, v10
	s_delay_alu instid0(TRANS32_DEP_1) | instid1(VALU_DEP_1)
	v_fma_f32 v19, v10, v11, 1.0
	s_delay_alu instid0(VALU_DEP_1) | instskip(NEXT) | instid1(VALU_DEP_1)
	v_fmac_f32_e32 v11, v19, v11
	v_mul_f32_e32 v19, v20, v11
	s_delay_alu instid0(VALU_DEP_1) | instskip(NEXT) | instid1(VALU_DEP_1)
	v_fma_f32 v30, v10, v19, v20
	v_fmac_f32_e32 v19, v30, v11
	s_delay_alu instid0(VALU_DEP_1) | instskip(SKIP_1) | instid1(VALU_DEP_1)
	v_fmac_f32_e32 v20, v10, v19
	s_wait_alu 0xfffd
	v_div_fmas_f32 v10, v20, v11, v19
	s_delay_alu instid0(VALU_DEP_1) | instskip(NEXT) | instid1(VALU_DEP_1)
	v_div_fixup_f32 v10, v10, v9, v8
	v_fma_f32 v11, v8, v10, v9
	s_delay_alu instid0(VALU_DEP_1) | instskip(SKIP_1) | instid1(VALU_DEP_2)
	v_div_scale_f32 v19, null, v11, v11, 1.0
	v_div_scale_f32 v31, vcc_lo, 1.0, v11, 1.0
	v_rcp_f32_e32 v20, v19
	v_xor_b32_e32 v19, 0x80000000, v19
	s_delay_alu instid0(TRANS32_DEP_1) | instid1(VALU_DEP_1)
	v_fma_f32 v30, v19, v20, 1.0
	s_delay_alu instid0(VALU_DEP_1) | instskip(NEXT) | instid1(VALU_DEP_1)
	v_fmac_f32_e32 v20, v30, v20
	v_mul_f32_e32 v30, v31, v20
	s_delay_alu instid0(VALU_DEP_1) | instskip(NEXT) | instid1(VALU_DEP_1)
	v_fma_f32 v32, v19, v30, v31
	v_fmac_f32_e32 v30, v32, v20
	s_delay_alu instid0(VALU_DEP_1) | instskip(SKIP_1) | instid1(VALU_DEP_1)
	v_fmac_f32_e32 v31, v19, v30
	s_wait_alu 0xfffd
	v_div_fmas_f32 v19, v31, v20, v30
	v_fma_f32 v20, v10, v2, v3
	s_delay_alu instid0(VALU_DEP_2) | instskip(SKIP_1) | instid1(VALU_DEP_2)
	v_div_fixup_f32 v11, v19, v11, 1.0
	v_fma_f32 v19, v10, v3, -v2
	v_mul_f32_e32 v10, v20, v11
	s_delay_alu instid0(VALU_DEP_2)
	v_mul_f32_e32 v11, v19, v11
.LBB147_65:                             ;   in Loop: Header=BB147_52 Depth=2
	s_wait_alu 0xfffe
	s_and_not1_b32 vcc_lo, exec_lo, s39
	s_wait_alu 0xfffe
	s_cbranch_vccnz .LBB147_67
; %bb.66:                               ;   in Loop: Header=BB147_52 Depth=2
	v_div_scale_f32 v10, null, v8, v8, v9
	v_div_scale_f32 v20, vcc_lo, v9, v8, v9
	s_delay_alu instid0(VALU_DEP_2)
	v_rcp_f32_e32 v11, v10
	v_xor_b32_e32 v10, 0x80000000, v10
	s_delay_alu instid0(TRANS32_DEP_1) | instid1(VALU_DEP_1)
	v_fma_f32 v19, v10, v11, 1.0
	s_delay_alu instid0(VALU_DEP_1) | instskip(NEXT) | instid1(VALU_DEP_1)
	v_fmac_f32_e32 v11, v19, v11
	v_mul_f32_e32 v19, v20, v11
	s_delay_alu instid0(VALU_DEP_1) | instskip(NEXT) | instid1(VALU_DEP_1)
	v_fma_f32 v30, v10, v19, v20
	v_fmac_f32_e32 v19, v30, v11
	s_delay_alu instid0(VALU_DEP_1) | instskip(SKIP_1) | instid1(VALU_DEP_1)
	v_fmac_f32_e32 v20, v10, v19
	s_wait_alu 0xfffd
	v_div_fmas_f32 v10, v20, v11, v19
	s_delay_alu instid0(VALU_DEP_1) | instskip(NEXT) | instid1(VALU_DEP_1)
	v_div_fixup_f32 v10, v10, v8, v9
	v_fmac_f32_e32 v8, v9, v10
	s_delay_alu instid0(VALU_DEP_1) | instskip(SKIP_1) | instid1(VALU_DEP_2)
	v_div_scale_f32 v9, null, v8, v8, 1.0
	v_div_scale_f32 v20, vcc_lo, 1.0, v8, 1.0
	v_rcp_f32_e32 v11, v9
	v_xor_b32_e32 v9, 0x80000000, v9
	s_delay_alu instid0(TRANS32_DEP_1) | instid1(VALU_DEP_1)
	v_fma_f32 v19, v9, v11, 1.0
	s_delay_alu instid0(VALU_DEP_1) | instskip(NEXT) | instid1(VALU_DEP_1)
	v_fmac_f32_e32 v11, v19, v11
	v_mul_f32_e32 v19, v20, v11
	s_delay_alu instid0(VALU_DEP_1) | instskip(NEXT) | instid1(VALU_DEP_1)
	v_fma_f32 v30, v9, v19, v20
	v_fmac_f32_e32 v19, v30, v11
	s_delay_alu instid0(VALU_DEP_1) | instskip(SKIP_1) | instid1(VALU_DEP_1)
	v_fmac_f32_e32 v20, v9, v19
	s_wait_alu 0xfffd
	v_div_fmas_f32 v9, v20, v11, v19
	v_fma_f32 v11, v10, v3, v2
	v_fma_f32 v2, -v10, v2, v3
	s_delay_alu instid0(VALU_DEP_3) | instskip(NEXT) | instid1(VALU_DEP_1)
	v_div_fixup_f32 v8, v9, v8, 1.0
	v_mul_f32_e32 v10, v11, v8
	s_delay_alu instid0(VALU_DEP_3)
	v_mul_f32_e32 v11, v2, v8
.LBB147_67:                             ;   in Loop: Header=BB147_52 Depth=2
	s_sub_co_i32 s35, s35, 24
	s_lshl_b32 s34, s34, 3
	s_wait_alu 0xfffe
	v_mov_b32_e32 v2, s35
	s_add_co_i32 s35, s38, s34
	s_sub_co_i32 s37, s36, s37
	s_wait_alu 0xfffe
	v_mov_b32_e32 v3, s35
	s_add_co_i32 s34, s37, s34
	ds_load_b64 v[8:9], v2
	ds_load_b64 v[19:20], v3
	s_wait_alu 0xfffe
	v_mov_b32_e32 v30, s34
	s_add_co_i32 s34, s36, 0xffffff98
	s_wait_alu 0xfffe
	v_mov_b32_e32 v2, s34
	s_mov_b32 s34, -1
	s_wait_dscnt 0x1
	v_mul_f32_e32 v32, v5, v9
	v_mul_f32_e32 v9, v4, v9
	s_wait_dscnt 0x0
	v_mul_f32_e32 v33, v7, v20
	ds_load_b64 v[30:31], v30
	ds_load_b64 v[2:3], v2
	v_mul_f32_e32 v20, v6, v20
	ds_store_b64 v18, v[10:11]
	v_fmac_f32_e32 v9, v5, v8
	v_fma_f32 v6, v6, v19, -v33
	s_wait_dscnt 0x2
	s_delay_alu instid0(VALU_DEP_2)
	v_dual_sub_f32 v1, v1, v9 :: v_dual_mul_f32 v34, v11, v31
	v_mul_f32_e32 v31, v10, v31
	v_fma_f32 v4, v4, v8, -v32
	s_wait_dscnt 0x1
	v_dual_fmac_f32 v20, v7, v19 :: v_dual_and_b32 v5, 0x7fffffff, v2
	v_fma_f32 v7, v10, v30, -v34
	s_delay_alu instid0(VALU_DEP_3) | instskip(NEXT) | instid1(VALU_DEP_3)
	v_dual_fmac_f32 v31, v11, v30 :: v_dual_sub_f32 v0, v0, v4
	v_dual_sub_f32 v1, v1, v20 :: v_dual_and_b32 v4, 0x7fffffff, v3
	s_delay_alu instid0(VALU_DEP_2) | instskip(NEXT) | instid1(VALU_DEP_2)
	v_sub_f32_e32 v0, v0, v6
	v_cmp_ngt_f32_e32 vcc_lo, v5, v4
	s_delay_alu instid0(VALU_DEP_3) | instskip(NEXT) | instid1(VALU_DEP_3)
	v_sub_f32_e32 v5, v1, v31
	v_sub_f32_e32 v4, v0, v7
                                        ; implicit-def: $vgpr1
	s_cbranch_vccz .LBB147_69
; %bb.68:                               ;   in Loop: Header=BB147_52 Depth=2
	v_div_scale_f32 v0, null, v3, v3, v2
	v_div_scale_f32 v7, vcc_lo, v2, v3, v2
	s_mov_b32 s34, 0
	v_rcp_f32_e32 v1, v0
	v_xor_b32_e32 v0, 0x80000000, v0
	s_delay_alu instid0(TRANS32_DEP_1) | instid1(VALU_DEP_1)
	v_fma_f32 v6, v0, v1, 1.0
	s_delay_alu instid0(VALU_DEP_1) | instskip(NEXT) | instid1(VALU_DEP_1)
	v_fmac_f32_e32 v1, v6, v1
	v_mul_f32_e32 v6, v7, v1
	s_delay_alu instid0(VALU_DEP_1) | instskip(NEXT) | instid1(VALU_DEP_1)
	v_fma_f32 v8, v0, v6, v7
	v_fmac_f32_e32 v6, v8, v1
	s_delay_alu instid0(VALU_DEP_1) | instskip(SKIP_1) | instid1(VALU_DEP_1)
	v_fmac_f32_e32 v7, v0, v6
	s_wait_alu 0xfffd
	v_div_fmas_f32 v0, v7, v1, v6
	s_delay_alu instid0(VALU_DEP_1) | instskip(NEXT) | instid1(VALU_DEP_1)
	v_div_fixup_f32 v0, v0, v3, v2
	v_fma_f32 v1, v2, v0, v3
	s_delay_alu instid0(VALU_DEP_1) | instskip(SKIP_1) | instid1(VALU_DEP_2)
	v_div_scale_f32 v6, null, v1, v1, 1.0
	v_div_scale_f32 v9, vcc_lo, 1.0, v1, 1.0
	v_rcp_f32_e32 v7, v6
	v_xor_b32_e32 v6, 0x80000000, v6
	s_delay_alu instid0(TRANS32_DEP_1) | instid1(VALU_DEP_1)
	v_fma_f32 v8, v6, v7, 1.0
	s_delay_alu instid0(VALU_DEP_1) | instskip(NEXT) | instid1(VALU_DEP_1)
	v_fmac_f32_e32 v7, v8, v7
	v_mul_f32_e32 v8, v9, v7
	s_delay_alu instid0(VALU_DEP_1) | instskip(NEXT) | instid1(VALU_DEP_1)
	v_fma_f32 v10, v6, v8, v9
	v_fmac_f32_e32 v8, v10, v7
	s_delay_alu instid0(VALU_DEP_1) | instskip(SKIP_1) | instid1(VALU_DEP_1)
	v_fmac_f32_e32 v9, v6, v8
	s_wait_alu 0xfffd
	v_div_fmas_f32 v6, v9, v7, v8
	v_fma_f32 v7, v0, v4, v5
	s_delay_alu instid0(VALU_DEP_2) | instskip(SKIP_1) | instid1(VALU_DEP_2)
	v_div_fixup_f32 v1, v6, v1, 1.0
	v_fma_f32 v6, v0, v5, -v4
	v_mul_f32_e32 v0, v7, v1
	s_delay_alu instid0(VALU_DEP_2)
	v_mul_f32_e32 v1, v6, v1
.LBB147_69:                             ;   in Loop: Header=BB147_52 Depth=2
	s_wait_alu 0xfffe
	s_and_not1_b32 vcc_lo, exec_lo, s34
	s_wait_alu 0xfffe
	s_cbranch_vccnz .LBB147_71
; %bb.70:                               ;   in Loop: Header=BB147_52 Depth=2
	v_div_scale_f32 v0, null, v2, v2, v3
	v_div_scale_f32 v7, vcc_lo, v3, v2, v3
	s_delay_alu instid0(VALU_DEP_2)
	v_rcp_f32_e32 v1, v0
	v_xor_b32_e32 v0, 0x80000000, v0
	s_delay_alu instid0(TRANS32_DEP_1) | instid1(VALU_DEP_1)
	v_fma_f32 v6, v0, v1, 1.0
	s_delay_alu instid0(VALU_DEP_1) | instskip(NEXT) | instid1(VALU_DEP_1)
	v_fmac_f32_e32 v1, v6, v1
	v_mul_f32_e32 v6, v7, v1
	s_delay_alu instid0(VALU_DEP_1) | instskip(NEXT) | instid1(VALU_DEP_1)
	v_fma_f32 v8, v0, v6, v7
	v_fmac_f32_e32 v6, v8, v1
	s_delay_alu instid0(VALU_DEP_1) | instskip(SKIP_1) | instid1(VALU_DEP_1)
	v_fmac_f32_e32 v7, v0, v6
	s_wait_alu 0xfffd
	v_div_fmas_f32 v0, v7, v1, v6
	s_delay_alu instid0(VALU_DEP_1) | instskip(NEXT) | instid1(VALU_DEP_1)
	v_div_fixup_f32 v0, v0, v2, v3
	v_fmac_f32_e32 v2, v3, v0
	s_delay_alu instid0(VALU_DEP_1) | instskip(SKIP_1) | instid1(VALU_DEP_2)
	v_div_scale_f32 v1, null, v2, v2, 1.0
	v_div_scale_f32 v7, vcc_lo, 1.0, v2, 1.0
	v_rcp_f32_e32 v3, v1
	v_xor_b32_e32 v1, 0x80000000, v1
	s_delay_alu instid0(TRANS32_DEP_1) | instid1(VALU_DEP_1)
	v_fma_f32 v6, v1, v3, 1.0
	s_delay_alu instid0(VALU_DEP_1) | instskip(NEXT) | instid1(VALU_DEP_1)
	v_fmac_f32_e32 v3, v6, v3
	v_mul_f32_e32 v6, v7, v3
	s_delay_alu instid0(VALU_DEP_1) | instskip(NEXT) | instid1(VALU_DEP_1)
	v_fma_f32 v8, v1, v6, v7
	v_fmac_f32_e32 v6, v8, v3
	s_delay_alu instid0(VALU_DEP_1) | instskip(SKIP_1) | instid1(VALU_DEP_1)
	v_fmac_f32_e32 v7, v1, v6
	s_wait_alu 0xfffd
	v_div_fmas_f32 v1, v7, v3, v6
	v_fma_f32 v3, v0, v5, v4
	s_delay_alu instid0(VALU_DEP_2) | instskip(SKIP_1) | instid1(VALU_DEP_2)
	v_div_fixup_f32 v1, v1, v2, 1.0
	v_fma_f32 v2, -v0, v4, v5
	v_mul_f32_e32 v0, v3, v1
	s_delay_alu instid0(VALU_DEP_2)
	v_mul_f32_e32 v1, v2, v1
.LBB147_71:                             ;   in Loop: Header=BB147_52 Depth=2
	s_add_co_i32 s34, s21, -4
	s_sub_co_i32 s20, s20, 32
	s_cmp_lt_i32 s21, 7
	ds_store_b64 v17, v[0:1]
	s_cbranch_scc1 .LBB147_73
; %bb.72:                               ;   in Loop: Header=BB147_52 Depth=2
	s_wait_alu 0xfffe
	s_mov_b32 s21, s34
	s_branch .LBB147_52
.LBB147_73:                             ;   in Loop: Header=BB147_3 Depth=1
	s_wait_alu 0xfffe
	s_cmp_lt_i32 s34, 0
	s_cbranch_scc1 .LBB147_82
; %bb.74:                               ;   in Loop: Header=BB147_3 Depth=1
	s_lshl_b32 s20, s34, 3
	s_wait_alu 0xfffe
	s_add_co_i32 s20, s30, s20
	s_branch .LBB147_76
.LBB147_75:                             ;   in Loop: Header=BB147_76 Depth=2
	s_add_co_i32 s21, s34, -1
	s_add_co_i32 s20, s20, -8
	s_cmp_lt_i32 s34, 1
	s_wait_alu 0xfffe
	s_mov_b32 s34, s21
	ds_store_b64 v6, v[4:5]
	s_cbranch_scc1 .LBB147_82
.LBB147_76:                             ;   Parent Loop BB147_3 Depth=1
                                        ; =>  This Loop Header: Depth=2
                                        ;       Child Loop BB147_77 Depth 3
	s_wait_alu 0xfffe
	s_mul_i32 s21, s34, 0x60
	v_mov_b32_e32 v2, v27
	s_wait_alu 0xfffe
	v_add_nc_u32_e32 v6, s21, v14
	s_cmp_le_i32 s25, s34
	s_mov_b32 s35, s20
	s_mov_b32 s36, s25
	ds_load_b64 v[0:1], v6
	s_cbranch_scc1 .LBB147_78
.LBB147_77:                             ;   Parent Loop BB147_3 Depth=1
                                        ;     Parent Loop BB147_76 Depth=2
                                        ; =>    This Inner Loop Header: Depth=3
	s_wait_alu 0xfffe
	v_mov_b32_e32 v5, s35
	s_add_co_i32 s36, s36, -1
	s_addk_co_i32 s35, 0xffa0
	s_wait_alu 0xfffe
	s_cmp_le_i32 s36, s34
	ds_load_b64 v[3:4], v2
	ds_load_b64 v[7:8], v5
	s_wait_dscnt 0x0
	v_dual_mul_f32 v5, v8, v4 :: v_dual_add_nc_u32 v2, 0xffffffa0, v2
	v_mul_f32_e32 v4, v7, v4
	s_delay_alu instid0(VALU_DEP_2) | instskip(NEXT) | instid1(VALU_DEP_2)
	v_fma_f32 v5, v7, v3, -v5
	v_fmac_f32_e32 v4, v8, v3
	s_delay_alu instid0(VALU_DEP_1)
	v_dual_sub_f32 v0, v0, v5 :: v_dual_sub_f32 v1, v1, v4
	s_cbranch_scc0 .LBB147_77
.LBB147_78:                             ;   in Loop: Header=BB147_76 Depth=2
	s_lshl_b32 s35, s34, 3
	s_wait_alu 0xfffe
	s_add_co_i32 s21, s35, s21
	s_wait_alu 0xfffe
	v_mov_b32_e32 v2, s21
	s_mov_b32 s21, -1
	ds_load_b64 v[2:3], v2
	s_wait_dscnt 0x0
	v_and_b32_e32 v4, 0x7fffffff, v2
	v_and_b32_e32 v5, 0x7fffffff, v3
	s_delay_alu instid0(VALU_DEP_1)
	v_cmp_ngt_f32_e32 vcc_lo, v4, v5
                                        ; implicit-def: $vgpr4
	s_cbranch_vccz .LBB147_80
; %bb.79:                               ;   in Loop: Header=BB147_76 Depth=2
	v_div_scale_f32 v4, null, v3, v3, v2
	v_div_scale_f32 v8, vcc_lo, v2, v3, v2
	s_mov_b32 s21, 0
	v_rcp_f32_e32 v5, v4
	v_xor_b32_e32 v4, 0x80000000, v4
	s_delay_alu instid0(TRANS32_DEP_1) | instid1(VALU_DEP_1)
	v_fma_f32 v7, v4, v5, 1.0
	s_delay_alu instid0(VALU_DEP_1) | instskip(NEXT) | instid1(VALU_DEP_1)
	v_fmac_f32_e32 v5, v7, v5
	v_mul_f32_e32 v7, v8, v5
	s_delay_alu instid0(VALU_DEP_1) | instskip(NEXT) | instid1(VALU_DEP_1)
	v_fma_f32 v9, v4, v7, v8
	v_fmac_f32_e32 v7, v9, v5
	s_delay_alu instid0(VALU_DEP_1) | instskip(SKIP_1) | instid1(VALU_DEP_1)
	v_fmac_f32_e32 v8, v4, v7
	s_wait_alu 0xfffd
	v_div_fmas_f32 v4, v8, v5, v7
	s_delay_alu instid0(VALU_DEP_1) | instskip(NEXT) | instid1(VALU_DEP_1)
	v_div_fixup_f32 v4, v4, v3, v2
	v_fma_f32 v5, v2, v4, v3
	s_delay_alu instid0(VALU_DEP_1) | instskip(SKIP_1) | instid1(VALU_DEP_2)
	v_div_scale_f32 v7, null, v5, v5, 1.0
	v_div_scale_f32 v10, vcc_lo, 1.0, v5, 1.0
	v_rcp_f32_e32 v8, v7
	v_xor_b32_e32 v7, 0x80000000, v7
	s_delay_alu instid0(TRANS32_DEP_1) | instid1(VALU_DEP_1)
	v_fma_f32 v9, v7, v8, 1.0
	s_delay_alu instid0(VALU_DEP_1) | instskip(NEXT) | instid1(VALU_DEP_1)
	v_fmac_f32_e32 v8, v9, v8
	v_mul_f32_e32 v9, v10, v8
	s_delay_alu instid0(VALU_DEP_1) | instskip(NEXT) | instid1(VALU_DEP_1)
	v_fma_f32 v11, v7, v9, v10
	v_fmac_f32_e32 v9, v11, v8
	s_delay_alu instid0(VALU_DEP_1) | instskip(SKIP_1) | instid1(VALU_DEP_1)
	v_fmac_f32_e32 v10, v7, v9
	s_wait_alu 0xfffd
	v_div_fmas_f32 v7, v10, v8, v9
	v_fma_f32 v8, v0, v4, v1
	s_delay_alu instid0(VALU_DEP_2) | instskip(SKIP_1) | instid1(VALU_DEP_2)
	v_div_fixup_f32 v5, v7, v5, 1.0
	v_fma_f32 v7, v1, v4, -v0
	v_mul_f32_e32 v4, v8, v5
	s_delay_alu instid0(VALU_DEP_2)
	v_mul_f32_e32 v5, v7, v5
.LBB147_80:                             ;   in Loop: Header=BB147_76 Depth=2
	s_wait_alu 0xfffe
	s_and_not1_b32 vcc_lo, exec_lo, s21
	s_wait_alu 0xfffe
	s_cbranch_vccnz .LBB147_75
; %bb.81:                               ;   in Loop: Header=BB147_76 Depth=2
	v_div_scale_f32 v4, null, v2, v2, v3
	v_div_scale_f32 v8, vcc_lo, v3, v2, v3
	s_delay_alu instid0(VALU_DEP_2)
	v_rcp_f32_e32 v5, v4
	v_xor_b32_e32 v4, 0x80000000, v4
	s_delay_alu instid0(TRANS32_DEP_1) | instid1(VALU_DEP_1)
	v_fma_f32 v7, v4, v5, 1.0
	s_delay_alu instid0(VALU_DEP_1) | instskip(NEXT) | instid1(VALU_DEP_1)
	v_fmac_f32_e32 v5, v7, v5
	v_mul_f32_e32 v7, v8, v5
	s_delay_alu instid0(VALU_DEP_1) | instskip(NEXT) | instid1(VALU_DEP_1)
	v_fma_f32 v9, v4, v7, v8
	v_fmac_f32_e32 v7, v9, v5
	s_delay_alu instid0(VALU_DEP_1) | instskip(SKIP_1) | instid1(VALU_DEP_1)
	v_fmac_f32_e32 v8, v4, v7
	s_wait_alu 0xfffd
	v_div_fmas_f32 v4, v8, v5, v7
	s_delay_alu instid0(VALU_DEP_1) | instskip(NEXT) | instid1(VALU_DEP_1)
	v_div_fixup_f32 v4, v4, v2, v3
	v_fmac_f32_e32 v2, v3, v4
	s_delay_alu instid0(VALU_DEP_1) | instskip(SKIP_1) | instid1(VALU_DEP_2)
	v_div_scale_f32 v3, null, v2, v2, 1.0
	v_div_scale_f32 v8, vcc_lo, 1.0, v2, 1.0
	v_rcp_f32_e32 v5, v3
	v_xor_b32_e32 v3, 0x80000000, v3
	s_delay_alu instid0(TRANS32_DEP_1) | instid1(VALU_DEP_1)
	v_fma_f32 v7, v3, v5, 1.0
	s_delay_alu instid0(VALU_DEP_1) | instskip(NEXT) | instid1(VALU_DEP_1)
	v_fmac_f32_e32 v5, v7, v5
	v_mul_f32_e32 v7, v8, v5
	s_delay_alu instid0(VALU_DEP_1) | instskip(NEXT) | instid1(VALU_DEP_1)
	v_fma_f32 v9, v3, v7, v8
	v_fmac_f32_e32 v7, v9, v5
	s_delay_alu instid0(VALU_DEP_1) | instskip(SKIP_1) | instid1(VALU_DEP_1)
	v_fmac_f32_e32 v8, v3, v7
	s_wait_alu 0xfffd
	v_div_fmas_f32 v3, v8, v5, v7
	v_fma_f32 v5, v1, v4, v0
	v_fma_f32 v0, -v0, v4, v1
	s_delay_alu instid0(VALU_DEP_3) | instskip(NEXT) | instid1(VALU_DEP_1)
	v_div_fixup_f32 v2, v3, v2, 1.0
	v_mul_f32_e32 v4, v5, v2
	s_delay_alu instid0(VALU_DEP_3)
	v_mul_f32_e32 v5, v0, v2
	s_branch .LBB147_75
.LBB147_82:                             ;   in Loop: Header=BB147_3 Depth=1
	s_mov_b32 s20, 0
.LBB147_83:                             ;   in Loop: Header=BB147_3 Depth=1
	s_wait_alu 0xfffe
	s_and_not1_b32 vcc_lo, exec_lo, s20
	s_wait_alu 0xfffe
	s_cbranch_vccnz .LBB147_114
; %bb.84:                               ;   in Loop: Header=BB147_3 Depth=1
	s_mov_b32 s34, s25
	s_and_not1_b32 vcc_lo, exec_lo, s22
	s_mov_b32 s20, s31
	s_mov_b32 s21, s25
	s_wait_alu 0xfffe
	s_cbranch_vccnz .LBB147_105
.LBB147_85:                             ;   Parent Loop BB147_3 Depth=1
                                        ; =>  This Loop Header: Depth=2
                                        ;       Child Loop BB147_86 Depth 3
	s_wait_alu 0xfffe
	s_mul_i32 s34, s21, 12
	s_cmp_le_i32 s25, s21
	s_wait_alu 0xfffe
	v_lshl_add_u32 v20, s34, 3, v14
	s_mov_b32 s35, s20
	s_mov_b32 s36, s25
	s_delay_alu instid0(VALU_DEP_1)
	v_dual_mov_b32 v2, v27 :: v_dual_add_nc_u32 v19, 0xffffffa0, v20
	v_add_nc_u32_e32 v18, 0xffffff40, v20
	v_add_nc_u32_e32 v17, 0xfffffee0, v20
	ds_load_b64 v[0:1], v20
	ds_load_b64 v[10:11], v19
	;; [unrolled: 1-line block ×4, first 2 shown]
	s_cbranch_scc1 .LBB147_87
.LBB147_86:                             ;   Parent Loop BB147_3 Depth=1
                                        ;     Parent Loop BB147_85 Depth=2
                                        ; =>    This Inner Loop Header: Depth=3
	s_wait_alu 0xfffe
	v_mov_b32_e32 v3, s35
	s_add_co_i32 s36, s36, -1
	s_add_co_i32 s35, s35, -8
	s_wait_alu 0xfffe
	s_cmp_le_i32 s36, s21
	ds_load_b64 v[8:9], v2
	ds_load_2addr_b64 v[30:33], v3 offset0:24 offset1:36
	ds_load_2addr_b64 v[34:37], v3 offset1:12
	s_wait_dscnt 0x1
	v_dual_mul_f32 v3, v33, v9 :: v_dual_add_nc_u32 v2, 0xffffffa0, v2
	v_mul_f32_e32 v38, v32, v9
	v_mul_f32_e32 v39, v31, v9
	s_wait_dscnt 0x0
	v_dual_mul_f32 v31, v31, v8 :: v_dual_mul_f32 v40, v37, v9
	v_mul_f32_e32 v41, v35, v9
	v_mul_f32_e32 v35, v35, v8
	v_fma_f32 v3, v32, v8, -v3
	v_mul_f32_e32 v37, v37, v8
	v_fmac_f32_e32 v38, v33, v8
	v_fma_f32 v32, v30, v8, -v39
	v_fmac_f32_e32 v31, v30, v9
	v_fma_f32 v30, v36, v8, -v40
	v_dual_fmac_f32 v35, v34, v9 :: v_dual_sub_f32 v0, v0, v3
	v_fmac_f32_e32 v37, v36, v9
	v_sub_f32_e32 v1, v1, v38
	s_delay_alu instid0(VALU_DEP_4) | instskip(SKIP_1) | instid1(VALU_DEP_4)
	v_sub_f32_e32 v6, v6, v30
	v_fma_f32 v8, v34, v8, -v41
	v_dual_sub_f32 v10, v10, v32 :: v_dual_sub_f32 v7, v7, v37
	s_delay_alu instid0(VALU_DEP_2)
	v_dual_sub_f32 v5, v5, v35 :: v_dual_sub_f32 v4, v4, v8
	v_sub_f32_e32 v11, v11, v31
	s_cbranch_scc0 .LBB147_86
.LBB147_87:                             ;   in Loop: Header=BB147_85 Depth=2
	s_mul_i32 s35, s21, 0x68
	s_wait_alu 0xfffe
	v_mov_b32_e32 v2, s35
	s_mov_b32 s35, -1
	ds_load_b64 v[2:3], v2
	s_wait_dscnt 0x0
	v_and_b32_e32 v8, 0x7fffffff, v2
	v_and_b32_e32 v9, 0x7fffffff, v3
	s_delay_alu instid0(VALU_DEP_1)
	v_cmp_ngt_f32_e32 vcc_lo, v8, v9
                                        ; implicit-def: $vgpr9
	s_cbranch_vccz .LBB147_89
; %bb.88:                               ;   in Loop: Header=BB147_85 Depth=2
	v_div_scale_f32 v8, null, v3, v3, v2
	v_div_scale_f32 v31, vcc_lo, v2, v3, v2
	s_mov_b32 s35, 0
	v_rcp_f32_e32 v9, v8
	v_xor_b32_e32 v8, 0x80000000, v8
	s_delay_alu instid0(TRANS32_DEP_1) | instid1(VALU_DEP_1)
	v_fma_f32 v30, v8, v9, 1.0
	s_delay_alu instid0(VALU_DEP_1) | instskip(NEXT) | instid1(VALU_DEP_1)
	v_fmac_f32_e32 v9, v30, v9
	v_mul_f32_e32 v30, v31, v9
	s_delay_alu instid0(VALU_DEP_1) | instskip(NEXT) | instid1(VALU_DEP_1)
	v_fma_f32 v32, v8, v30, v31
	v_fmac_f32_e32 v30, v32, v9
	s_delay_alu instid0(VALU_DEP_1) | instskip(SKIP_1) | instid1(VALU_DEP_1)
	v_fmac_f32_e32 v31, v8, v30
	s_wait_alu 0xfffd
	v_div_fmas_f32 v8, v31, v9, v30
	s_delay_alu instid0(VALU_DEP_1) | instskip(NEXT) | instid1(VALU_DEP_1)
	v_div_fixup_f32 v8, v8, v3, v2
	v_fma_f32 v9, v2, v8, v3
	s_delay_alu instid0(VALU_DEP_1) | instskip(SKIP_1) | instid1(VALU_DEP_2)
	v_div_scale_f32 v30, null, v9, v9, 1.0
	v_div_scale_f32 v33, vcc_lo, 1.0, v9, 1.0
	v_rcp_f32_e32 v31, v30
	v_xor_b32_e32 v30, 0x80000000, v30
	s_delay_alu instid0(TRANS32_DEP_1) | instid1(VALU_DEP_1)
	v_fma_f32 v32, v30, v31, 1.0
	s_delay_alu instid0(VALU_DEP_1) | instskip(NEXT) | instid1(VALU_DEP_1)
	v_fmac_f32_e32 v31, v32, v31
	v_mul_f32_e32 v32, v33, v31
	s_delay_alu instid0(VALU_DEP_1) | instskip(NEXT) | instid1(VALU_DEP_1)
	v_fma_f32 v34, v30, v32, v33
	v_fmac_f32_e32 v32, v34, v31
	s_delay_alu instid0(VALU_DEP_1) | instskip(SKIP_1) | instid1(VALU_DEP_1)
	v_fmac_f32_e32 v33, v30, v32
	s_wait_alu 0xfffd
	v_div_fmas_f32 v30, v33, v31, v32
	v_fma_f32 v31, v0, v8, v1
	s_delay_alu instid0(VALU_DEP_2) | instskip(SKIP_1) | instid1(VALU_DEP_2)
	v_div_fixup_f32 v9, v30, v9, 1.0
	v_fma_f32 v30, v1, v8, -v0
	v_mul_f32_e32 v8, v31, v9
	s_delay_alu instid0(VALU_DEP_2)
	v_mul_f32_e32 v9, v30, v9
.LBB147_89:                             ;   in Loop: Header=BB147_85 Depth=2
	s_wait_alu 0xfffe
	s_and_not1_b32 vcc_lo, exec_lo, s35
	s_wait_alu 0xfffe
	s_cbranch_vccnz .LBB147_91
; %bb.90:                               ;   in Loop: Header=BB147_85 Depth=2
	v_div_scale_f32 v8, null, v2, v2, v3
	v_div_scale_f32 v31, vcc_lo, v3, v2, v3
	s_delay_alu instid0(VALU_DEP_2)
	v_rcp_f32_e32 v9, v8
	v_xor_b32_e32 v8, 0x80000000, v8
	s_delay_alu instid0(TRANS32_DEP_1) | instid1(VALU_DEP_1)
	v_fma_f32 v30, v8, v9, 1.0
	s_delay_alu instid0(VALU_DEP_1) | instskip(NEXT) | instid1(VALU_DEP_1)
	v_fmac_f32_e32 v9, v30, v9
	v_mul_f32_e32 v30, v31, v9
	s_delay_alu instid0(VALU_DEP_1) | instskip(NEXT) | instid1(VALU_DEP_1)
	v_fma_f32 v32, v8, v30, v31
	v_fmac_f32_e32 v30, v32, v9
	s_delay_alu instid0(VALU_DEP_1) | instskip(SKIP_1) | instid1(VALU_DEP_1)
	v_fmac_f32_e32 v31, v8, v30
	s_wait_alu 0xfffd
	v_div_fmas_f32 v8, v31, v9, v30
	s_delay_alu instid0(VALU_DEP_1) | instskip(NEXT) | instid1(VALU_DEP_1)
	v_div_fixup_f32 v8, v8, v2, v3
	v_fmac_f32_e32 v2, v3, v8
	s_delay_alu instid0(VALU_DEP_1) | instskip(SKIP_1) | instid1(VALU_DEP_2)
	v_div_scale_f32 v3, null, v2, v2, 1.0
	v_div_scale_f32 v31, vcc_lo, 1.0, v2, 1.0
	v_rcp_f32_e32 v9, v3
	v_xor_b32_e32 v3, 0x80000000, v3
	s_delay_alu instid0(TRANS32_DEP_1) | instid1(VALU_DEP_1)
	v_fma_f32 v30, v3, v9, 1.0
	s_delay_alu instid0(VALU_DEP_1) | instskip(NEXT) | instid1(VALU_DEP_1)
	v_fmac_f32_e32 v9, v30, v9
	v_mul_f32_e32 v30, v31, v9
	s_delay_alu instid0(VALU_DEP_1) | instskip(NEXT) | instid1(VALU_DEP_1)
	v_fma_f32 v32, v3, v30, v31
	v_fmac_f32_e32 v30, v32, v9
	s_delay_alu instid0(VALU_DEP_1) | instskip(SKIP_1) | instid1(VALU_DEP_1)
	v_fmac_f32_e32 v31, v3, v30
	s_wait_alu 0xfffd
	v_div_fmas_f32 v3, v31, v9, v30
	v_fma_f32 v9, v1, v8, v0
	v_fma_f32 v0, -v0, v8, v1
	s_delay_alu instid0(VALU_DEP_3) | instskip(NEXT) | instid1(VALU_DEP_1)
	v_div_fixup_f32 v2, v3, v2, 1.0
	v_mul_f32_e32 v8, v9, v2
	s_delay_alu instid0(VALU_DEP_3)
	v_mul_f32_e32 v9, v0, v2
.LBB147_91:                             ;   in Loop: Header=BB147_85 Depth=2
	s_lshl_b32 s35, s34, 3
	s_lshl_b32 s34, s21, 3
	s_wait_alu 0xfffe
	s_addk_co_i32 s35, 0xffa0
	ds_store_b64 v20, v[8:9]
	s_wait_alu 0xfffe
	s_add_co_i32 s36, s34, s35
	s_wait_alu 0xfffe
	s_add_co_i32 s36, s36, -8
	s_wait_alu 0xfffe
	v_mov_b32_e32 v0, s36
	s_mov_b32 s36, -1
	ds_load_2addr_b64 v[0:3], v0 offset1:1
	s_wait_dscnt 0x0
	v_dual_mul_f32 v30, v9, v3 :: v_dual_and_b32 v31, 0x7fffffff, v0
	v_dual_mul_f32 v3, v8, v3 :: v_dual_and_b32 v32, 0x7fffffff, v1
	s_delay_alu instid0(VALU_DEP_2) | instskip(NEXT) | instid1(VALU_DEP_2)
	v_fma_f32 v30, v8, v2, -v30
	v_fmac_f32_e32 v3, v9, v2
	s_delay_alu instid0(VALU_DEP_3) | instskip(NEXT) | instid1(VALU_DEP_2)
	v_cmp_ngt_f32_e32 vcc_lo, v31, v32
	v_dual_sub_f32 v2, v10, v30 :: v_dual_sub_f32 v3, v11, v3
                                        ; implicit-def: $vgpr11
	s_cbranch_vccz .LBB147_93
; %bb.92:                               ;   in Loop: Header=BB147_85 Depth=2
	v_div_scale_f32 v10, null, v1, v1, v0
	v_div_scale_f32 v30, vcc_lo, v0, v1, v0
	s_mov_b32 s36, 0
	v_rcp_f32_e32 v11, v10
	v_xor_b32_e32 v10, 0x80000000, v10
	s_delay_alu instid0(TRANS32_DEP_1) | instid1(VALU_DEP_1)
	v_fma_f32 v20, v10, v11, 1.0
	s_delay_alu instid0(VALU_DEP_1) | instskip(NEXT) | instid1(VALU_DEP_1)
	v_fmac_f32_e32 v11, v20, v11
	v_mul_f32_e32 v20, v30, v11
	s_delay_alu instid0(VALU_DEP_1) | instskip(NEXT) | instid1(VALU_DEP_1)
	v_fma_f32 v31, v10, v20, v30
	v_fmac_f32_e32 v20, v31, v11
	s_delay_alu instid0(VALU_DEP_1) | instskip(SKIP_1) | instid1(VALU_DEP_1)
	v_fmac_f32_e32 v30, v10, v20
	s_wait_alu 0xfffd
	v_div_fmas_f32 v10, v30, v11, v20
	s_delay_alu instid0(VALU_DEP_1) | instskip(NEXT) | instid1(VALU_DEP_1)
	v_div_fixup_f32 v10, v10, v1, v0
	v_fma_f32 v11, v0, v10, v1
	s_delay_alu instid0(VALU_DEP_1) | instskip(SKIP_1) | instid1(VALU_DEP_2)
	v_div_scale_f32 v20, null, v11, v11, 1.0
	v_div_scale_f32 v32, vcc_lo, 1.0, v11, 1.0
	v_rcp_f32_e32 v30, v20
	v_xor_b32_e32 v20, 0x80000000, v20
	s_delay_alu instid0(TRANS32_DEP_1) | instid1(VALU_DEP_1)
	v_fma_f32 v31, v20, v30, 1.0
	s_delay_alu instid0(VALU_DEP_1) | instskip(NEXT) | instid1(VALU_DEP_1)
	v_fmac_f32_e32 v30, v31, v30
	v_mul_f32_e32 v31, v32, v30
	s_delay_alu instid0(VALU_DEP_1) | instskip(NEXT) | instid1(VALU_DEP_1)
	v_fma_f32 v33, v20, v31, v32
	v_fmac_f32_e32 v31, v33, v30
	s_delay_alu instid0(VALU_DEP_1) | instskip(SKIP_1) | instid1(VALU_DEP_1)
	v_fmac_f32_e32 v32, v20, v31
	s_wait_alu 0xfffd
	v_div_fmas_f32 v20, v32, v30, v31
	v_fma_f32 v30, v10, v2, v3
	s_delay_alu instid0(VALU_DEP_2) | instskip(SKIP_1) | instid1(VALU_DEP_2)
	v_div_fixup_f32 v11, v20, v11, 1.0
	v_fma_f32 v20, v10, v3, -v2
	v_mul_f32_e32 v10, v30, v11
	s_delay_alu instid0(VALU_DEP_2)
	v_mul_f32_e32 v11, v20, v11
.LBB147_93:                             ;   in Loop: Header=BB147_85 Depth=2
	s_wait_alu 0xfffe
	s_and_not1_b32 vcc_lo, exec_lo, s36
	s_wait_alu 0xfffe
	s_cbranch_vccnz .LBB147_95
; %bb.94:                               ;   in Loop: Header=BB147_85 Depth=2
	v_div_scale_f32 v10, null, v0, v0, v1
	v_div_scale_f32 v30, vcc_lo, v1, v0, v1
	s_delay_alu instid0(VALU_DEP_2)
	v_rcp_f32_e32 v11, v10
	v_xor_b32_e32 v10, 0x80000000, v10
	s_delay_alu instid0(TRANS32_DEP_1) | instid1(VALU_DEP_1)
	v_fma_f32 v20, v10, v11, 1.0
	s_delay_alu instid0(VALU_DEP_1) | instskip(NEXT) | instid1(VALU_DEP_1)
	v_fmac_f32_e32 v11, v20, v11
	v_mul_f32_e32 v20, v30, v11
	s_delay_alu instid0(VALU_DEP_1) | instskip(NEXT) | instid1(VALU_DEP_1)
	v_fma_f32 v31, v10, v20, v30
	v_fmac_f32_e32 v20, v31, v11
	s_delay_alu instid0(VALU_DEP_1) | instskip(SKIP_1) | instid1(VALU_DEP_1)
	v_fmac_f32_e32 v30, v10, v20
	s_wait_alu 0xfffd
	v_div_fmas_f32 v10, v30, v11, v20
	s_delay_alu instid0(VALU_DEP_1) | instskip(NEXT) | instid1(VALU_DEP_1)
	v_div_fixup_f32 v10, v10, v0, v1
	v_fmac_f32_e32 v0, v1, v10
	s_delay_alu instid0(VALU_DEP_1) | instskip(NEXT) | instid1(VALU_DEP_1)
	v_div_scale_f32 v1, null, v0, v0, 1.0
	v_rcp_f32_e32 v11, v1
	v_xor_b32_e32 v1, 0x80000000, v1
	s_delay_alu instid0(TRANS32_DEP_1) | instid1(VALU_DEP_1)
	v_fma_f32 v20, v1, v11, 1.0
	s_delay_alu instid0(VALU_DEP_1) | instskip(SKIP_1) | instid1(VALU_DEP_1)
	v_fmac_f32_e32 v11, v20, v11
	v_div_scale_f32 v30, vcc_lo, 1.0, v0, 1.0
	v_mul_f32_e32 v20, v30, v11
	s_delay_alu instid0(VALU_DEP_1) | instskip(NEXT) | instid1(VALU_DEP_1)
	v_fma_f32 v31, v1, v20, v30
	v_fmac_f32_e32 v20, v31, v11
	s_delay_alu instid0(VALU_DEP_1) | instskip(SKIP_1) | instid1(VALU_DEP_1)
	v_fmac_f32_e32 v30, v1, v20
	s_wait_alu 0xfffd
	v_div_fmas_f32 v1, v30, v11, v20
	v_fma_f32 v11, v10, v3, v2
	s_delay_alu instid0(VALU_DEP_2) | instskip(SKIP_1) | instid1(VALU_DEP_2)
	v_div_fixup_f32 v0, v1, v0, 1.0
	v_fma_f32 v1, -v10, v2, v3
	v_mul_f32_e32 v10, v11, v0
	s_delay_alu instid0(VALU_DEP_2)
	v_mul_f32_e32 v11, v1, v0
.LBB147_95:                             ;   in Loop: Header=BB147_85 Depth=2
	s_addk_co_i32 s35, 0xffa0
	s_wait_alu 0xfffe
	s_add_co_i32 s34, s35, s34
	s_wait_alu 0xfffe
	s_add_co_i32 s35, s34, -16
	s_wait_alu 0xfffe
	v_dual_mov_b32 v0, s34 :: v_dual_mov_b32 v1, s35
	s_mov_b32 s35, -1
	ds_load_b64 v[30:31], v0
	ds_load_2addr_b64 v[0:3], v1 offset1:1
	ds_store_b64 v19, v[10:11]
	s_wait_dscnt 0x1
	v_dual_mul_f32 v20, v9, v31 :: v_dual_and_b32 v33, 0x7fffffff, v0
	v_mul_f32_e32 v31, v8, v31
	v_mul_f32_e32 v32, v11, v3
	;; [unrolled: 1-line block ×3, first 2 shown]
	s_delay_alu instid0(VALU_DEP_4) | instskip(NEXT) | instid1(VALU_DEP_4)
	v_fma_f32 v20, v8, v30, -v20
	v_dual_fmac_f32 v31, v9, v30 :: v_dual_and_b32 v30, 0x7fffffff, v1
	s_delay_alu instid0(VALU_DEP_4) | instskip(NEXT) | instid1(VALU_DEP_3)
	v_fma_f32 v32, v10, v2, -v32
	v_dual_fmac_f32 v3, v11, v2 :: v_dual_sub_f32 v2, v6, v20
	s_delay_alu instid0(VALU_DEP_3) | instskip(NEXT) | instid1(VALU_DEP_4)
	v_sub_f32_e32 v6, v7, v31
	v_cmp_ngt_f32_e32 vcc_lo, v33, v30
	s_delay_alu instid0(VALU_DEP_3) | instskip(NEXT) | instid1(VALU_DEP_3)
	v_sub_f32_e32 v2, v2, v32
	v_sub_f32_e32 v3, v6, v3
                                        ; implicit-def: $vgpr7
	s_cbranch_vccz .LBB147_97
; %bb.96:                               ;   in Loop: Header=BB147_85 Depth=2
	v_div_scale_f32 v6, null, v1, v1, v0
	v_div_scale_f32 v20, vcc_lo, v0, v1, v0
	s_mov_b32 s35, 0
	v_rcp_f32_e32 v7, v6
	v_xor_b32_e32 v6, 0x80000000, v6
	s_delay_alu instid0(TRANS32_DEP_1) | instid1(VALU_DEP_1)
	v_fma_f32 v19, v6, v7, 1.0
	s_delay_alu instid0(VALU_DEP_1) | instskip(NEXT) | instid1(VALU_DEP_1)
	v_fmac_f32_e32 v7, v19, v7
	v_mul_f32_e32 v19, v20, v7
	s_delay_alu instid0(VALU_DEP_1) | instskip(NEXT) | instid1(VALU_DEP_1)
	v_fma_f32 v30, v6, v19, v20
	v_fmac_f32_e32 v19, v30, v7
	s_delay_alu instid0(VALU_DEP_1) | instskip(SKIP_1) | instid1(VALU_DEP_1)
	v_fmac_f32_e32 v20, v6, v19
	s_wait_alu 0xfffd
	v_div_fmas_f32 v6, v20, v7, v19
	s_delay_alu instid0(VALU_DEP_1) | instskip(NEXT) | instid1(VALU_DEP_1)
	v_div_fixup_f32 v6, v6, v1, v0
	v_fma_f32 v7, v0, v6, v1
	s_delay_alu instid0(VALU_DEP_1) | instskip(SKIP_1) | instid1(VALU_DEP_2)
	v_div_scale_f32 v19, null, v7, v7, 1.0
	v_div_scale_f32 v31, vcc_lo, 1.0, v7, 1.0
	v_rcp_f32_e32 v20, v19
	v_xor_b32_e32 v19, 0x80000000, v19
	s_delay_alu instid0(TRANS32_DEP_1) | instid1(VALU_DEP_1)
	v_fma_f32 v30, v19, v20, 1.0
	s_delay_alu instid0(VALU_DEP_1) | instskip(NEXT) | instid1(VALU_DEP_1)
	v_fmac_f32_e32 v20, v30, v20
	v_mul_f32_e32 v30, v31, v20
	s_delay_alu instid0(VALU_DEP_1) | instskip(NEXT) | instid1(VALU_DEP_1)
	v_fma_f32 v32, v19, v30, v31
	v_fmac_f32_e32 v30, v32, v20
	s_delay_alu instid0(VALU_DEP_1) | instskip(SKIP_1) | instid1(VALU_DEP_1)
	v_fmac_f32_e32 v31, v19, v30
	s_wait_alu 0xfffd
	v_div_fmas_f32 v19, v31, v20, v30
	v_fma_f32 v20, v6, v2, v3
	s_delay_alu instid0(VALU_DEP_2) | instskip(SKIP_1) | instid1(VALU_DEP_2)
	v_div_fixup_f32 v7, v19, v7, 1.0
	v_fma_f32 v19, v6, v3, -v2
	v_mul_f32_e32 v6, v20, v7
	s_delay_alu instid0(VALU_DEP_2)
	v_mul_f32_e32 v7, v19, v7
.LBB147_97:                             ;   in Loop: Header=BB147_85 Depth=2
	s_wait_alu 0xfffe
	s_and_not1_b32 vcc_lo, exec_lo, s35
	s_wait_alu 0xfffe
	s_cbranch_vccnz .LBB147_99
; %bb.98:                               ;   in Loop: Header=BB147_85 Depth=2
	v_div_scale_f32 v6, null, v0, v0, v1
	v_div_scale_f32 v20, vcc_lo, v1, v0, v1
	s_delay_alu instid0(VALU_DEP_2)
	v_rcp_f32_e32 v7, v6
	v_xor_b32_e32 v6, 0x80000000, v6
	s_delay_alu instid0(TRANS32_DEP_1) | instid1(VALU_DEP_1)
	v_fma_f32 v19, v6, v7, 1.0
	s_delay_alu instid0(VALU_DEP_1) | instskip(NEXT) | instid1(VALU_DEP_1)
	v_fmac_f32_e32 v7, v19, v7
	v_mul_f32_e32 v19, v20, v7
	s_delay_alu instid0(VALU_DEP_1) | instskip(NEXT) | instid1(VALU_DEP_1)
	v_fma_f32 v30, v6, v19, v20
	v_fmac_f32_e32 v19, v30, v7
	s_delay_alu instid0(VALU_DEP_1) | instskip(SKIP_1) | instid1(VALU_DEP_1)
	v_fmac_f32_e32 v20, v6, v19
	s_wait_alu 0xfffd
	v_div_fmas_f32 v6, v20, v7, v19
	s_delay_alu instid0(VALU_DEP_1) | instskip(NEXT) | instid1(VALU_DEP_1)
	v_div_fixup_f32 v6, v6, v0, v1
	v_fmac_f32_e32 v0, v1, v6
	s_delay_alu instid0(VALU_DEP_1) | instskip(SKIP_1) | instid1(VALU_DEP_2)
	v_div_scale_f32 v1, null, v0, v0, 1.0
	v_div_scale_f32 v20, vcc_lo, 1.0, v0, 1.0
	v_rcp_f32_e32 v7, v1
	v_xor_b32_e32 v1, 0x80000000, v1
	s_delay_alu instid0(TRANS32_DEP_1) | instid1(VALU_DEP_1)
	v_fma_f32 v19, v1, v7, 1.0
	s_delay_alu instid0(VALU_DEP_1) | instskip(NEXT) | instid1(VALU_DEP_1)
	v_fmac_f32_e32 v7, v19, v7
	v_mul_f32_e32 v19, v20, v7
	s_delay_alu instid0(VALU_DEP_1) | instskip(NEXT) | instid1(VALU_DEP_1)
	v_fma_f32 v30, v1, v19, v20
	v_fmac_f32_e32 v19, v30, v7
	s_delay_alu instid0(VALU_DEP_1) | instskip(SKIP_1) | instid1(VALU_DEP_1)
	v_fmac_f32_e32 v20, v1, v19
	s_wait_alu 0xfffd
	v_div_fmas_f32 v1, v20, v7, v19
	v_fma_f32 v7, v6, v3, v2
	s_delay_alu instid0(VALU_DEP_2) | instskip(SKIP_1) | instid1(VALU_DEP_2)
	v_div_fixup_f32 v0, v1, v0, 1.0
	v_fma_f32 v1, -v6, v2, v3
	v_mul_f32_e32 v6, v7, v0
	s_delay_alu instid0(VALU_DEP_2)
	v_mul_f32_e32 v7, v1, v0
.LBB147_99:                             ;   in Loop: Header=BB147_85 Depth=2
	s_add_co_i32 s35, s34, 0xffffff98
	s_addk_co_i32 s34, 0xff88
	s_wait_alu 0xfffe
	v_dual_mov_b32 v0, s35 :: v_dual_mov_b32 v1, s34
	s_mov_b32 s34, -1
	ds_load_2addr_b64 v[30:33], v0 offset1:1
	ds_load_2addr_b64 v[0:3], v1 offset1:1
	ds_store_b64 v18, v[6:7]
	s_wait_dscnt 0x1
	v_dual_mul_f32 v19, v9, v33 :: v_dual_mul_f32 v34, v7, v3
	v_dual_mul_f32 v20, v8, v33 :: v_dual_mul_f32 v33, v11, v31
	v_mul_f32_e32 v31, v10, v31
	s_delay_alu instid0(VALU_DEP_3) | instskip(NEXT) | instid1(VALU_DEP_3)
	v_fma_f32 v8, v8, v32, -v19
	v_dual_mul_f32 v3, v6, v3 :: v_dual_fmac_f32 v20, v9, v32
	s_delay_alu instid0(VALU_DEP_4) | instskip(NEXT) | instid1(VALU_DEP_3)
	v_fma_f32 v10, v10, v30, -v33
	v_dual_fmac_f32 v31, v11, v30 :: v_dual_sub_f32 v4, v4, v8
	v_and_b32_e32 v9, 0x7fffffff, v0
	v_fma_f32 v11, v6, v2, -v34
	v_dual_fmac_f32 v3, v7, v2 :: v_dual_and_b32 v8, 0x7fffffff, v1
	s_delay_alu instid0(VALU_DEP_4) | instskip(NEXT) | instid1(VALU_DEP_2)
	v_dual_sub_f32 v2, v4, v10 :: v_dual_sub_f32 v5, v5, v20
	v_cmp_ngt_f32_e32 vcc_lo, v9, v8
	s_delay_alu instid0(VALU_DEP_2) | instskip(NEXT) | instid1(VALU_DEP_3)
	v_sub_f32_e32 v4, v2, v11
	v_sub_f32_e32 v5, v5, v31
	s_delay_alu instid0(VALU_DEP_1)
	v_sub_f32_e32 v5, v5, v3
                                        ; implicit-def: $vgpr3
	s_cbranch_vccz .LBB147_101
; %bb.100:                              ;   in Loop: Header=BB147_85 Depth=2
	v_div_scale_f32 v2, null, v1, v1, v0
	v_div_scale_f32 v7, vcc_lo, v0, v1, v0
	s_mov_b32 s34, 0
	v_rcp_f32_e32 v3, v2
	v_xor_b32_e32 v2, 0x80000000, v2
	s_delay_alu instid0(TRANS32_DEP_1) | instid1(VALU_DEP_1)
	v_fma_f32 v6, v2, v3, 1.0
	s_delay_alu instid0(VALU_DEP_1) | instskip(NEXT) | instid1(VALU_DEP_1)
	v_fmac_f32_e32 v3, v6, v3
	v_mul_f32_e32 v6, v7, v3
	s_delay_alu instid0(VALU_DEP_1) | instskip(NEXT) | instid1(VALU_DEP_1)
	v_fma_f32 v8, v2, v6, v7
	v_fmac_f32_e32 v6, v8, v3
	s_delay_alu instid0(VALU_DEP_1) | instskip(SKIP_1) | instid1(VALU_DEP_1)
	v_fmac_f32_e32 v7, v2, v6
	s_wait_alu 0xfffd
	v_div_fmas_f32 v2, v7, v3, v6
	s_delay_alu instid0(VALU_DEP_1) | instskip(NEXT) | instid1(VALU_DEP_1)
	v_div_fixup_f32 v2, v2, v1, v0
	v_fma_f32 v3, v0, v2, v1
	s_delay_alu instid0(VALU_DEP_1) | instskip(SKIP_1) | instid1(VALU_DEP_2)
	v_div_scale_f32 v6, null, v3, v3, 1.0
	v_div_scale_f32 v9, vcc_lo, 1.0, v3, 1.0
	v_rcp_f32_e32 v7, v6
	v_xor_b32_e32 v6, 0x80000000, v6
	s_delay_alu instid0(TRANS32_DEP_1) | instid1(VALU_DEP_1)
	v_fma_f32 v8, v6, v7, 1.0
	s_delay_alu instid0(VALU_DEP_1) | instskip(NEXT) | instid1(VALU_DEP_1)
	v_fmac_f32_e32 v7, v8, v7
	v_mul_f32_e32 v8, v9, v7
	s_delay_alu instid0(VALU_DEP_1) | instskip(NEXT) | instid1(VALU_DEP_1)
	v_fma_f32 v10, v6, v8, v9
	v_fmac_f32_e32 v8, v10, v7
	s_delay_alu instid0(VALU_DEP_1) | instskip(SKIP_1) | instid1(VALU_DEP_1)
	v_fmac_f32_e32 v9, v6, v8
	s_wait_alu 0xfffd
	v_div_fmas_f32 v6, v9, v7, v8
	v_fma_f32 v7, v2, v4, v5
	s_delay_alu instid0(VALU_DEP_2) | instskip(SKIP_1) | instid1(VALU_DEP_2)
	v_div_fixup_f32 v3, v6, v3, 1.0
	v_fma_f32 v6, v2, v5, -v4
	v_mul_f32_e32 v2, v7, v3
	s_delay_alu instid0(VALU_DEP_2)
	v_mul_f32_e32 v3, v6, v3
.LBB147_101:                            ;   in Loop: Header=BB147_85 Depth=2
	s_wait_alu 0xfffe
	s_and_not1_b32 vcc_lo, exec_lo, s34
	s_wait_alu 0xfffe
	s_cbranch_vccnz .LBB147_103
; %bb.102:                              ;   in Loop: Header=BB147_85 Depth=2
	v_div_scale_f32 v2, null, v0, v0, v1
	v_div_scale_f32 v7, vcc_lo, v1, v0, v1
	s_delay_alu instid0(VALU_DEP_2)
	v_rcp_f32_e32 v3, v2
	v_xor_b32_e32 v2, 0x80000000, v2
	s_delay_alu instid0(TRANS32_DEP_1) | instid1(VALU_DEP_1)
	v_fma_f32 v6, v2, v3, 1.0
	s_delay_alu instid0(VALU_DEP_1) | instskip(NEXT) | instid1(VALU_DEP_1)
	v_fmac_f32_e32 v3, v6, v3
	v_mul_f32_e32 v6, v7, v3
	s_delay_alu instid0(VALU_DEP_1) | instskip(NEXT) | instid1(VALU_DEP_1)
	v_fma_f32 v8, v2, v6, v7
	v_fmac_f32_e32 v6, v8, v3
	s_delay_alu instid0(VALU_DEP_1) | instskip(SKIP_1) | instid1(VALU_DEP_1)
	v_fmac_f32_e32 v7, v2, v6
	s_wait_alu 0xfffd
	v_div_fmas_f32 v2, v7, v3, v6
	s_delay_alu instid0(VALU_DEP_1) | instskip(NEXT) | instid1(VALU_DEP_1)
	v_div_fixup_f32 v2, v2, v0, v1
	v_fmac_f32_e32 v0, v1, v2
	s_delay_alu instid0(VALU_DEP_1) | instskip(SKIP_1) | instid1(VALU_DEP_2)
	v_div_scale_f32 v1, null, v0, v0, 1.0
	v_div_scale_f32 v7, vcc_lo, 1.0, v0, 1.0
	v_rcp_f32_e32 v3, v1
	v_xor_b32_e32 v1, 0x80000000, v1
	s_delay_alu instid0(TRANS32_DEP_1) | instid1(VALU_DEP_1)
	v_fma_f32 v6, v1, v3, 1.0
	s_delay_alu instid0(VALU_DEP_1) | instskip(NEXT) | instid1(VALU_DEP_1)
	v_fmac_f32_e32 v3, v6, v3
	v_mul_f32_e32 v6, v7, v3
	s_delay_alu instid0(VALU_DEP_1) | instskip(NEXT) | instid1(VALU_DEP_1)
	v_fma_f32 v8, v1, v6, v7
	v_fmac_f32_e32 v6, v8, v3
	s_delay_alu instid0(VALU_DEP_1) | instskip(SKIP_1) | instid1(VALU_DEP_1)
	v_fmac_f32_e32 v7, v1, v6
	s_wait_alu 0xfffd
	v_div_fmas_f32 v1, v7, v3, v6
	v_fma_f32 v3, v2, v5, v4
	s_delay_alu instid0(VALU_DEP_2) | instskip(SKIP_1) | instid1(VALU_DEP_2)
	v_div_fixup_f32 v0, v1, v0, 1.0
	v_fma_f32 v1, -v2, v4, v5
	v_mul_f32_e32 v2, v3, v0
	s_delay_alu instid0(VALU_DEP_2)
	v_mul_f32_e32 v3, v1, v0
.LBB147_103:                            ;   in Loop: Header=BB147_85 Depth=2
	s_add_co_i32 s34, s21, -4
	s_addk_co_i32 s20, 0xfe80
	s_cmp_lt_i32 s21, 7
	ds_store_b64 v17, v[2:3]
	s_cbranch_scc1 .LBB147_105
; %bb.104:                              ;   in Loop: Header=BB147_85 Depth=2
	s_wait_alu 0xfffe
	s_mov_b32 s21, s34
	s_branch .LBB147_85
.LBB147_105:                            ;   in Loop: Header=BB147_3 Depth=1
	s_wait_alu 0xfffe
	s_cmp_lt_i32 s34, 0
	s_cbranch_scc1 .LBB147_114
; %bb.106:                              ;   in Loop: Header=BB147_3 Depth=1
	s_mul_i32 s20, s34, 0x60
	s_wait_alu 0xfffe
	s_add_co_i32 s20, s33, s20
	s_branch .LBB147_108
.LBB147_107:                            ;   in Loop: Header=BB147_108 Depth=2
	v_sub_co_u32 v1, s21, s34, 1
	s_and_b32 vcc_lo, exec_lo, s21
	s_addk_co_i32 s20, 0xffa0
	ds_store_b64 v0, v[5:6]
	v_readfirstlane_b32 s34, v1
	s_wait_alu 0xfffe
	s_cbranch_vccnz .LBB147_114
.LBB147_108:                            ;   Parent Loop BB147_3 Depth=1
                                        ; =>  This Loop Header: Depth=2
                                        ;       Child Loop BB147_109 Depth 3
	s_wait_alu 0xf1ff
	v_mad_co_u64_u32 v[0:1], null, 0x60, s34, v[14:15]
	v_mov_b32_e32 v3, v27
	s_cmp_le_i32 s25, s34
	s_wait_alu 0xfffe
	s_mov_b32 s21, s20
	s_mov_b32 s35, s25
	ds_load_b64 v[1:2], v0
	s_cbranch_scc1 .LBB147_110
.LBB147_109:                            ;   Parent Loop BB147_3 Depth=1
                                        ;     Parent Loop BB147_108 Depth=2
                                        ; =>    This Inner Loop Header: Depth=3
	s_wait_alu 0xfffe
	v_mov_b32_e32 v6, s21
	s_add_co_i32 s35, s35, -1
	s_add_co_i32 s21, s21, -8
	s_wait_alu 0xfffe
	s_cmp_le_u32 s35, s34
	ds_load_b64 v[4:5], v3
	ds_load_b64 v[6:7], v6
	s_wait_dscnt 0x0
	v_dual_mul_f32 v8, v7, v5 :: v_dual_add_nc_u32 v3, 0xffffffa0, v3
	v_mul_f32_e32 v5, v6, v5
	s_delay_alu instid0(VALU_DEP_2) | instskip(NEXT) | instid1(VALU_DEP_2)
	v_fma_f32 v6, v6, v4, -v8
	v_fmac_f32_e32 v5, v7, v4
	s_delay_alu instid0(VALU_DEP_1)
	v_dual_sub_f32 v1, v1, v6 :: v_dual_sub_f32 v2, v2, v5
	s_cbranch_scc0 .LBB147_109
.LBB147_110:                            ;   in Loop: Header=BB147_108 Depth=2
	s_mul_i32 s21, s34, 0x68
	s_wait_alu 0xfffe
	v_mov_b32_e32 v3, s21
	s_mov_b32 s21, -1
	ds_load_b64 v[3:4], v3
	s_wait_dscnt 0x0
	v_and_b32_e32 v5, 0x7fffffff, v3
	v_and_b32_e32 v6, 0x7fffffff, v4
	s_delay_alu instid0(VALU_DEP_1)
	v_cmp_ngt_f32_e32 vcc_lo, v5, v6
                                        ; implicit-def: $vgpr5
	s_cbranch_vccz .LBB147_112
; %bb.111:                              ;   in Loop: Header=BB147_108 Depth=2
	v_div_scale_f32 v5, null, v4, v4, v3
	v_div_scale_f32 v8, vcc_lo, v3, v4, v3
	s_mov_b32 s21, 0
	v_rcp_f32_e32 v6, v5
	v_xor_b32_e32 v5, 0x80000000, v5
	s_delay_alu instid0(TRANS32_DEP_1) | instid1(VALU_DEP_1)
	v_fma_f32 v7, v5, v6, 1.0
	s_delay_alu instid0(VALU_DEP_1) | instskip(NEXT) | instid1(VALU_DEP_1)
	v_fmac_f32_e32 v6, v7, v6
	v_mul_f32_e32 v7, v8, v6
	s_delay_alu instid0(VALU_DEP_1) | instskip(NEXT) | instid1(VALU_DEP_1)
	v_fma_f32 v9, v5, v7, v8
	v_fmac_f32_e32 v7, v9, v6
	s_delay_alu instid0(VALU_DEP_1) | instskip(SKIP_1) | instid1(VALU_DEP_1)
	v_fmac_f32_e32 v8, v5, v7
	s_wait_alu 0xfffd
	v_div_fmas_f32 v5, v8, v6, v7
	s_delay_alu instid0(VALU_DEP_1) | instskip(NEXT) | instid1(VALU_DEP_1)
	v_div_fixup_f32 v5, v5, v4, v3
	v_fma_f32 v6, v3, v5, v4
	s_delay_alu instid0(VALU_DEP_1) | instskip(SKIP_1) | instid1(VALU_DEP_2)
	v_div_scale_f32 v7, null, v6, v6, 1.0
	v_div_scale_f32 v10, vcc_lo, 1.0, v6, 1.0
	v_rcp_f32_e32 v8, v7
	v_xor_b32_e32 v7, 0x80000000, v7
	s_delay_alu instid0(TRANS32_DEP_1) | instid1(VALU_DEP_1)
	v_fma_f32 v9, v7, v8, 1.0
	s_delay_alu instid0(VALU_DEP_1) | instskip(NEXT) | instid1(VALU_DEP_1)
	v_fmac_f32_e32 v8, v9, v8
	v_mul_f32_e32 v9, v10, v8
	s_delay_alu instid0(VALU_DEP_1) | instskip(NEXT) | instid1(VALU_DEP_1)
	v_fma_f32 v11, v7, v9, v10
	v_fmac_f32_e32 v9, v11, v8
	s_delay_alu instid0(VALU_DEP_1) | instskip(SKIP_1) | instid1(VALU_DEP_1)
	v_fmac_f32_e32 v10, v7, v9
	s_wait_alu 0xfffd
	v_div_fmas_f32 v7, v10, v8, v9
	v_fma_f32 v8, v1, v5, v2
	s_delay_alu instid0(VALU_DEP_2) | instskip(SKIP_1) | instid1(VALU_DEP_2)
	v_div_fixup_f32 v6, v7, v6, 1.0
	v_fma_f32 v7, v2, v5, -v1
	v_mul_f32_e32 v5, v8, v6
	s_delay_alu instid0(VALU_DEP_2)
	v_mul_f32_e32 v6, v7, v6
.LBB147_112:                            ;   in Loop: Header=BB147_108 Depth=2
	s_wait_alu 0xfffe
	s_and_not1_b32 vcc_lo, exec_lo, s21
	s_wait_alu 0xfffe
	s_cbranch_vccnz .LBB147_107
; %bb.113:                              ;   in Loop: Header=BB147_108 Depth=2
	v_div_scale_f32 v5, null, v3, v3, v4
	v_div_scale_f32 v8, vcc_lo, v4, v3, v4
	s_delay_alu instid0(VALU_DEP_2)
	v_rcp_f32_e32 v6, v5
	v_xor_b32_e32 v5, 0x80000000, v5
	s_delay_alu instid0(TRANS32_DEP_1) | instid1(VALU_DEP_1)
	v_fma_f32 v7, v5, v6, 1.0
	s_delay_alu instid0(VALU_DEP_1) | instskip(NEXT) | instid1(VALU_DEP_1)
	v_fmac_f32_e32 v6, v7, v6
	v_mul_f32_e32 v7, v8, v6
	s_delay_alu instid0(VALU_DEP_1) | instskip(NEXT) | instid1(VALU_DEP_1)
	v_fma_f32 v9, v5, v7, v8
	v_fmac_f32_e32 v7, v9, v6
	s_delay_alu instid0(VALU_DEP_1) | instskip(SKIP_1) | instid1(VALU_DEP_1)
	v_fmac_f32_e32 v8, v5, v7
	s_wait_alu 0xfffd
	v_div_fmas_f32 v5, v8, v6, v7
	s_delay_alu instid0(VALU_DEP_1) | instskip(NEXT) | instid1(VALU_DEP_1)
	v_div_fixup_f32 v5, v5, v3, v4
	v_fmac_f32_e32 v3, v4, v5
	s_delay_alu instid0(VALU_DEP_1) | instskip(SKIP_1) | instid1(VALU_DEP_2)
	v_div_scale_f32 v4, null, v3, v3, 1.0
	v_div_scale_f32 v8, vcc_lo, 1.0, v3, 1.0
	v_rcp_f32_e32 v6, v4
	v_xor_b32_e32 v4, 0x80000000, v4
	s_delay_alu instid0(TRANS32_DEP_1) | instid1(VALU_DEP_1)
	v_fma_f32 v7, v4, v6, 1.0
	s_delay_alu instid0(VALU_DEP_1) | instskip(NEXT) | instid1(VALU_DEP_1)
	v_fmac_f32_e32 v6, v7, v6
	v_mul_f32_e32 v7, v8, v6
	s_delay_alu instid0(VALU_DEP_1) | instskip(NEXT) | instid1(VALU_DEP_1)
	v_fma_f32 v9, v4, v7, v8
	v_fmac_f32_e32 v7, v9, v6
	s_delay_alu instid0(VALU_DEP_1) | instskip(SKIP_1) | instid1(VALU_DEP_1)
	v_fmac_f32_e32 v8, v4, v7
	s_wait_alu 0xfffd
	v_div_fmas_f32 v4, v8, v6, v7
	v_fma_f32 v6, v2, v5, v1
	v_fma_f32 v1, -v1, v5, v2
	s_delay_alu instid0(VALU_DEP_3) | instskip(NEXT) | instid1(VALU_DEP_1)
	v_div_fixup_f32 v3, v4, v3, 1.0
	v_mul_f32_e32 v5, v6, v3
	s_delay_alu instid0(VALU_DEP_3)
	v_mul_f32_e32 v6, v1, v3
	s_branch .LBB147_107
.LBB147_114:                            ;   in Loop: Header=BB147_3 Depth=1
	s_mov_b32 s20, 0
.LBB147_115:                            ;   in Loop: Header=BB147_3 Depth=1
	s_wait_alu 0xfffe
	s_and_not1_b32 vcc_lo, exec_lo, s20
	s_wait_alu 0xfffe
	s_cbranch_vccnz .LBB147_147
; %bb.116:                              ;   in Loop: Header=BB147_3 Depth=1
	s_and_not1_b32 vcc_lo, exec_lo, s22
	s_mov_b32 s34, 0
	s_wait_alu 0xfffe
	s_cbranch_vccnz .LBB147_138
; %bb.117:                              ;   in Loop: Header=BB147_3 Depth=1
	s_mov_b32 s20, 0
	s_mov_b32 s21, 0
.LBB147_118:                            ;   Parent Loop BB147_3 Depth=1
                                        ; =>  This Loop Header: Depth=2
                                        ;       Child Loop BB147_119 Depth 3
	s_wait_alu 0xfffe
	s_mul_i32 s34, s21, 12
	v_mov_b32_e32 v8, v14
	s_wait_alu 0xfffe
	v_lshl_add_u32 v19, s34, 3, v14
	s_cmp_eq_u32 s21, 0
	s_mov_b32 s35, s20
	s_mov_b32 s36, s21
	ds_load_2addr_b64 v[4:7], v19 offset1:12
	ds_load_2addr_b64 v[0:3], v19 offset0:24 offset1:36
	s_cbranch_scc1 .LBB147_120
.LBB147_119:                            ;   Parent Loop BB147_3 Depth=1
                                        ;     Parent Loop BB147_118 Depth=2
                                        ; =>    This Inner Loop Header: Depth=3
	s_wait_alu 0xfffe
	v_mov_b32_e32 v11, s35
	s_add_co_i32 s36, s36, -1
	s_add_co_i32 s35, s35, 8
	s_wait_alu 0xfffe
	s_cmp_eq_u32 s36, 0
	ds_load_b64 v[9:10], v8
	ds_load_2addr_b64 v[30:33], v11 offset1:12
	ds_load_2addr_b64 v[34:37], v11 offset0:24 offset1:36
	s_wait_dscnt 0x1
	v_dual_mul_f32 v11, v31, v10 :: v_dual_add_nc_u32 v8, 0x60, v8
	v_mul_f32_e32 v20, v33, v9
	v_mul_f32_e32 v18, v33, v10
	s_wait_dscnt 0x0
	v_mul_f32_e32 v33, v35, v10
	v_mul_f32_e32 v35, v35, v9
	v_fma_f32 v11, v30, v9, -v11
	v_mul_f32_e32 v17, v30, v10
	v_fma_f32 v18, v32, v9, -v18
	v_fma_f32 v30, v34, v9, -v33
	s_delay_alu instid0(VALU_DEP_4) | instskip(NEXT) | instid1(VALU_DEP_4)
	v_dual_fmac_f32 v35, v34, v10 :: v_dual_sub_f32 v4, v4, v11
	v_dual_mul_f32 v38, v37, v10 :: v_dual_fmac_f32 v17, v31, v9
	v_dual_mul_f32 v37, v37, v9 :: v_dual_fmac_f32 v20, v32, v10
	v_sub_f32_e32 v6, v6, v18
	s_delay_alu instid0(VALU_DEP_3) | instskip(NEXT) | instid1(VALU_DEP_4)
	v_fma_f32 v9, v36, v9, -v38
	v_sub_f32_e32 v5, v5, v17
	s_delay_alu instid0(VALU_DEP_4) | instskip(SKIP_1) | instid1(VALU_DEP_4)
	v_fmac_f32_e32 v37, v36, v10
	v_dual_sub_f32 v7, v7, v20 :: v_dual_sub_f32 v0, v0, v30
	v_dual_sub_f32 v1, v1, v35 :: v_dual_sub_f32 v2, v2, v9
	s_delay_alu instid0(VALU_DEP_3)
	v_sub_f32_e32 v3, v3, v37
	s_cbranch_scc0 .LBB147_119
.LBB147_120:                            ;   in Loop: Header=BB147_118 Depth=2
	s_mul_i32 s35, s21, 0x68
                                        ; implicit-def: $vgpr18
	s_wait_alu 0xfffe
	v_mov_b32_e32 v8, s35
	s_mov_b32 s35, -1
	ds_load_b64 v[8:9], v8
	s_wait_dscnt 0x0
	v_and_b32_e32 v10, 0x7fffffff, v8
	v_and_b32_e32 v11, 0x7fffffff, v9
	s_delay_alu instid0(VALU_DEP_1)
	v_cmp_ngt_f32_e32 vcc_lo, v10, v11
	s_cbranch_vccz .LBB147_122
; %bb.121:                              ;   in Loop: Header=BB147_118 Depth=2
	v_div_scale_f32 v10, null, v9, v9, v8
	v_div_scale_f32 v18, vcc_lo, v8, v9, v8
	s_mov_b32 s35, 0
	v_rcp_f32_e32 v11, v10
	v_xor_b32_e32 v10, 0x80000000, v10
	s_delay_alu instid0(TRANS32_DEP_1) | instid1(VALU_DEP_1)
	v_fma_f32 v17, v10, v11, 1.0
	s_delay_alu instid0(VALU_DEP_1) | instskip(NEXT) | instid1(VALU_DEP_1)
	v_fmac_f32_e32 v11, v17, v11
	v_mul_f32_e32 v17, v18, v11
	s_delay_alu instid0(VALU_DEP_1) | instskip(NEXT) | instid1(VALU_DEP_1)
	v_fma_f32 v20, v10, v17, v18
	v_fmac_f32_e32 v17, v20, v11
	s_delay_alu instid0(VALU_DEP_1) | instskip(SKIP_1) | instid1(VALU_DEP_1)
	v_fmac_f32_e32 v18, v10, v17
	s_wait_alu 0xfffd
	v_div_fmas_f32 v10, v18, v11, v17
	s_delay_alu instid0(VALU_DEP_1) | instskip(NEXT) | instid1(VALU_DEP_1)
	v_div_fixup_f32 v10, v10, v9, v8
	v_fma_f32 v11, v8, v10, v9
	s_delay_alu instid0(VALU_DEP_1) | instskip(SKIP_1) | instid1(VALU_DEP_2)
	v_div_scale_f32 v17, null, v11, v11, 1.0
	v_div_scale_f32 v30, vcc_lo, 1.0, v11, 1.0
	v_rcp_f32_e32 v18, v17
	v_xor_b32_e32 v17, 0x80000000, v17
	s_delay_alu instid0(TRANS32_DEP_1) | instid1(VALU_DEP_1)
	v_fma_f32 v20, v17, v18, 1.0
	s_delay_alu instid0(VALU_DEP_1) | instskip(NEXT) | instid1(VALU_DEP_1)
	v_fmac_f32_e32 v18, v20, v18
	v_mul_f32_e32 v20, v30, v18
	s_delay_alu instid0(VALU_DEP_1) | instskip(NEXT) | instid1(VALU_DEP_1)
	v_fma_f32 v31, v17, v20, v30
	v_fmac_f32_e32 v20, v31, v18
	s_delay_alu instid0(VALU_DEP_1) | instskip(SKIP_1) | instid1(VALU_DEP_1)
	v_fmac_f32_e32 v30, v17, v20
	s_wait_alu 0xfffd
	v_div_fmas_f32 v17, v30, v18, v20
	v_fma_f32 v18, v4, v10, v5
	v_fma_f32 v10, v5, v10, -v4
	s_delay_alu instid0(VALU_DEP_3) | instskip(NEXT) | instid1(VALU_DEP_1)
	v_div_fixup_f32 v11, v17, v11, 1.0
	v_mul_f32_e32 v17, v18, v11
	s_delay_alu instid0(VALU_DEP_3)
	v_mul_f32_e32 v18, v10, v11
.LBB147_122:                            ;   in Loop: Header=BB147_118 Depth=2
	s_wait_alu 0xfffe
	s_and_not1_b32 vcc_lo, exec_lo, s35
	s_wait_alu 0xfffe
	s_cbranch_vccnz .LBB147_124
; %bb.123:                              ;   in Loop: Header=BB147_118 Depth=2
	v_div_scale_f32 v10, null, v8, v8, v9
	v_div_scale_f32 v18, vcc_lo, v9, v8, v9
	s_delay_alu instid0(VALU_DEP_2)
	v_rcp_f32_e32 v11, v10
	v_xor_b32_e32 v10, 0x80000000, v10
	s_delay_alu instid0(TRANS32_DEP_1) | instid1(VALU_DEP_1)
	v_fma_f32 v17, v10, v11, 1.0
	s_delay_alu instid0(VALU_DEP_1) | instskip(NEXT) | instid1(VALU_DEP_1)
	v_fmac_f32_e32 v11, v17, v11
	v_mul_f32_e32 v17, v18, v11
	s_delay_alu instid0(VALU_DEP_1) | instskip(NEXT) | instid1(VALU_DEP_1)
	v_fma_f32 v20, v10, v17, v18
	v_fmac_f32_e32 v17, v20, v11
	s_delay_alu instid0(VALU_DEP_1) | instskip(SKIP_1) | instid1(VALU_DEP_1)
	v_fmac_f32_e32 v18, v10, v17
	s_wait_alu 0xfffd
	v_div_fmas_f32 v10, v18, v11, v17
	s_delay_alu instid0(VALU_DEP_1) | instskip(NEXT) | instid1(VALU_DEP_1)
	v_div_fixup_f32 v10, v10, v8, v9
	v_fmac_f32_e32 v8, v9, v10
	s_delay_alu instid0(VALU_DEP_1) | instskip(SKIP_1) | instid1(VALU_DEP_2)
	v_div_scale_f32 v9, null, v8, v8, 1.0
	v_div_scale_f32 v18, vcc_lo, 1.0, v8, 1.0
	v_rcp_f32_e32 v11, v9
	v_xor_b32_e32 v9, 0x80000000, v9
	s_delay_alu instid0(TRANS32_DEP_1) | instid1(VALU_DEP_1)
	v_fma_f32 v17, v9, v11, 1.0
	s_delay_alu instid0(VALU_DEP_1) | instskip(NEXT) | instid1(VALU_DEP_1)
	v_fmac_f32_e32 v11, v17, v11
	v_mul_f32_e32 v17, v18, v11
	s_delay_alu instid0(VALU_DEP_1) | instskip(NEXT) | instid1(VALU_DEP_1)
	v_fma_f32 v20, v9, v17, v18
	v_fmac_f32_e32 v17, v20, v11
	s_delay_alu instid0(VALU_DEP_1) | instskip(SKIP_1) | instid1(VALU_DEP_1)
	v_fmac_f32_e32 v18, v9, v17
	s_wait_alu 0xfffd
	v_div_fmas_f32 v9, v18, v11, v17
	v_fma_f32 v11, v5, v10, v4
	v_fma_f32 v4, -v4, v10, v5
	s_delay_alu instid0(VALU_DEP_3) | instskip(NEXT) | instid1(VALU_DEP_1)
	v_div_fixup_f32 v8, v9, v8, 1.0
	v_mul_f32_e32 v17, v11, v8
	s_delay_alu instid0(VALU_DEP_3)
	v_mul_f32_e32 v18, v4, v8
.LBB147_124:                            ;   in Loop: Header=BB147_118 Depth=2
	s_lshl_b32 s35, s34, 3
	s_lshl_b32 s34, s21, 3
	s_wait_alu 0xfffe
	s_addk_co_i32 s35, 0x60
	ds_store_b64 v19, v[17:18]
	s_wait_alu 0xfffe
	s_add_co_i32 s36, s35, s34
	s_wait_alu 0xfffe
	v_mov_b32_e32 v4, s36
	s_mov_b32 s36, -1
	ds_load_b128 v[8:11], v4
	s_wait_dscnt 0x0
	v_mul_f32_e32 v4, v18, v9
	v_mul_f32_e32 v5, v17, v9
	v_and_b32_e32 v9, 0x7fffffff, v10
	v_and_b32_e32 v20, 0x7fffffff, v11
	s_delay_alu instid0(VALU_DEP_4) | instskip(NEXT) | instid1(VALU_DEP_4)
	v_fma_f32 v4, v17, v8, -v4
	v_fmac_f32_e32 v5, v18, v8
	s_delay_alu instid0(VALU_DEP_3) | instskip(NEXT) | instid1(VALU_DEP_2)
	v_cmp_ngt_f32_e32 vcc_lo, v9, v20
                                        ; implicit-def: $vgpr9
	v_dual_sub_f32 v4, v6, v4 :: v_dual_sub_f32 v5, v7, v5
	s_cbranch_vccz .LBB147_126
; %bb.125:                              ;   in Loop: Header=BB147_118 Depth=2
	v_div_scale_f32 v6, null, v11, v11, v10
	v_div_scale_f32 v9, vcc_lo, v10, v11, v10
	s_mov_b32 s36, 0
	v_rcp_f32_e32 v7, v6
	v_xor_b32_e32 v6, 0x80000000, v6
	s_delay_alu instid0(TRANS32_DEP_1) | instid1(VALU_DEP_1)
	v_fma_f32 v8, v6, v7, 1.0
	s_delay_alu instid0(VALU_DEP_1) | instskip(NEXT) | instid1(VALU_DEP_1)
	v_fmac_f32_e32 v7, v8, v7
	v_mul_f32_e32 v8, v9, v7
	s_delay_alu instid0(VALU_DEP_1) | instskip(NEXT) | instid1(VALU_DEP_1)
	v_fma_f32 v20, v6, v8, v9
	v_fmac_f32_e32 v8, v20, v7
	s_delay_alu instid0(VALU_DEP_1) | instskip(SKIP_1) | instid1(VALU_DEP_1)
	v_fmac_f32_e32 v9, v6, v8
	s_wait_alu 0xfffd
	v_div_fmas_f32 v6, v9, v7, v8
	s_delay_alu instid0(VALU_DEP_1) | instskip(NEXT) | instid1(VALU_DEP_1)
	v_div_fixup_f32 v6, v6, v11, v10
	v_fma_f32 v7, v10, v6, v11
	s_delay_alu instid0(VALU_DEP_1) | instskip(SKIP_1) | instid1(VALU_DEP_2)
	v_div_scale_f32 v8, null, v7, v7, 1.0
	v_div_scale_f32 v30, vcc_lo, 1.0, v7, 1.0
	v_rcp_f32_e32 v9, v8
	v_xor_b32_e32 v8, 0x80000000, v8
	s_delay_alu instid0(TRANS32_DEP_1) | instid1(VALU_DEP_1)
	v_fma_f32 v20, v8, v9, 1.0
	s_delay_alu instid0(VALU_DEP_1) | instskip(NEXT) | instid1(VALU_DEP_1)
	v_fmac_f32_e32 v9, v20, v9
	v_mul_f32_e32 v20, v30, v9
	s_delay_alu instid0(VALU_DEP_1) | instskip(NEXT) | instid1(VALU_DEP_1)
	v_fma_f32 v31, v8, v20, v30
	v_fmac_f32_e32 v20, v31, v9
	s_delay_alu instid0(VALU_DEP_1) | instskip(SKIP_1) | instid1(VALU_DEP_1)
	v_fmac_f32_e32 v30, v8, v20
	s_wait_alu 0xfffd
	v_div_fmas_f32 v8, v30, v9, v20
	v_fma_f32 v9, v6, v4, v5
	v_fma_f32 v6, v6, v5, -v4
	s_delay_alu instid0(VALU_DEP_3) | instskip(NEXT) | instid1(VALU_DEP_1)
	v_div_fixup_f32 v7, v8, v7, 1.0
	v_mul_f32_e32 v8, v9, v7
	s_delay_alu instid0(VALU_DEP_3)
	v_mul_f32_e32 v9, v6, v7
.LBB147_126:                            ;   in Loop: Header=BB147_118 Depth=2
	s_wait_alu 0xfffe
	s_and_not1_b32 vcc_lo, exec_lo, s36
	s_wait_alu 0xfffe
	s_cbranch_vccnz .LBB147_128
; %bb.127:                              ;   in Loop: Header=BB147_118 Depth=2
	v_div_scale_f32 v6, null, v10, v10, v11
	v_div_scale_f32 v9, vcc_lo, v11, v10, v11
	s_delay_alu instid0(VALU_DEP_2)
	v_rcp_f32_e32 v7, v6
	v_xor_b32_e32 v6, 0x80000000, v6
	s_delay_alu instid0(TRANS32_DEP_1) | instid1(VALU_DEP_1)
	v_fma_f32 v8, v6, v7, 1.0
	s_delay_alu instid0(VALU_DEP_1) | instskip(NEXT) | instid1(VALU_DEP_1)
	v_fmac_f32_e32 v7, v8, v7
	v_mul_f32_e32 v8, v9, v7
	s_delay_alu instid0(VALU_DEP_1) | instskip(NEXT) | instid1(VALU_DEP_1)
	v_fma_f32 v20, v6, v8, v9
	v_fmac_f32_e32 v8, v20, v7
	s_delay_alu instid0(VALU_DEP_1) | instskip(SKIP_1) | instid1(VALU_DEP_1)
	v_fmac_f32_e32 v9, v6, v8
	s_wait_alu 0xfffd
	v_div_fmas_f32 v6, v9, v7, v8
	s_delay_alu instid0(VALU_DEP_1) | instskip(NEXT) | instid1(VALU_DEP_1)
	v_div_fixup_f32 v6, v6, v10, v11
	v_fmac_f32_e32 v10, v11, v6
	s_delay_alu instid0(VALU_DEP_1) | instskip(SKIP_1) | instid1(VALU_DEP_2)
	v_div_scale_f32 v7, null, v10, v10, 1.0
	v_div_scale_f32 v11, vcc_lo, 1.0, v10, 1.0
	v_rcp_f32_e32 v8, v7
	v_xor_b32_e32 v7, 0x80000000, v7
	s_delay_alu instid0(TRANS32_DEP_1) | instid1(VALU_DEP_1)
	v_fma_f32 v9, v7, v8, 1.0
	s_delay_alu instid0(VALU_DEP_1) | instskip(NEXT) | instid1(VALU_DEP_1)
	v_fmac_f32_e32 v8, v9, v8
	v_mul_f32_e32 v9, v11, v8
	s_delay_alu instid0(VALU_DEP_1) | instskip(NEXT) | instid1(VALU_DEP_1)
	v_fma_f32 v20, v7, v9, v11
	v_fmac_f32_e32 v9, v20, v8
	s_delay_alu instid0(VALU_DEP_1) | instskip(SKIP_1) | instid1(VALU_DEP_1)
	v_fmac_f32_e32 v11, v7, v9
	s_wait_alu 0xfffd
	v_div_fmas_f32 v7, v11, v8, v9
	v_fma_f32 v8, v6, v5, v4
	v_fma_f32 v4, -v6, v4, v5
	s_delay_alu instid0(VALU_DEP_3) | instskip(NEXT) | instid1(VALU_DEP_1)
	v_div_fixup_f32 v7, v7, v10, 1.0
	v_mul_f32_e32 v8, v8, v7
	s_delay_alu instid0(VALU_DEP_3)
	v_mul_f32_e32 v9, v4, v7
.LBB147_128:                            ;   in Loop: Header=BB147_118 Depth=2
	s_addk_co_i32 s35, 0x60
	s_wait_alu 0xfffe
	s_add_co_i32 s34, s35, s34
	s_mov_b32 s35, -1
	s_wait_alu 0xfffe
	v_mov_b32_e32 v4, s34
	ds_load_b128 v[30:33], v4
	ds_load_b64 v[4:5], v4 offset:16
	ds_store_b64 v19, v[8:9] offset:96
	s_wait_dscnt 0x2
	v_dual_mul_f32 v6, v18, v31 :: v_dual_mul_f32 v11, v8, v33
	v_mul_f32_e32 v7, v17, v31
	v_mul_f32_e32 v10, v9, v33
	s_delay_alu instid0(VALU_DEP_3) | instskip(NEXT) | instid1(VALU_DEP_4)
	v_fma_f32 v6, v17, v30, -v6
	v_fmac_f32_e32 v11, v9, v32
	s_wait_dscnt 0x1
	v_dual_fmac_f32 v7, v18, v30 :: v_dual_and_b32 v20, 0x7fffffff, v4
	v_and_b32_e32 v30, 0x7fffffff, v5
	v_fma_f32 v10, v8, v32, -v10
	s_delay_alu instid0(VALU_DEP_3) | instskip(NEXT) | instid1(VALU_DEP_3)
	v_dual_sub_f32 v1, v1, v7 :: v_dual_sub_f32 v0, v0, v6
	v_cmp_ngt_f32_e32 vcc_lo, v20, v30
	s_delay_alu instid0(VALU_DEP_2)
	v_dual_sub_f32 v7, v1, v11 :: v_dual_sub_f32 v6, v0, v10
                                        ; implicit-def: $vgpr1
	s_cbranch_vccz .LBB147_130
; %bb.129:                              ;   in Loop: Header=BB147_118 Depth=2
	v_div_scale_f32 v0, null, v5, v5, v4
	v_div_scale_f32 v11, vcc_lo, v4, v5, v4
	s_mov_b32 s35, 0
	v_rcp_f32_e32 v1, v0
	v_xor_b32_e32 v0, 0x80000000, v0
	s_delay_alu instid0(TRANS32_DEP_1) | instid1(VALU_DEP_1)
	v_fma_f32 v10, v0, v1, 1.0
	s_delay_alu instid0(VALU_DEP_1) | instskip(NEXT) | instid1(VALU_DEP_1)
	v_fmac_f32_e32 v1, v10, v1
	v_mul_f32_e32 v10, v11, v1
	s_delay_alu instid0(VALU_DEP_1) | instskip(NEXT) | instid1(VALU_DEP_1)
	v_fma_f32 v20, v0, v10, v11
	v_fmac_f32_e32 v10, v20, v1
	s_delay_alu instid0(VALU_DEP_1) | instskip(SKIP_1) | instid1(VALU_DEP_1)
	v_fmac_f32_e32 v11, v0, v10
	s_wait_alu 0xfffd
	v_div_fmas_f32 v0, v11, v1, v10
	s_delay_alu instid0(VALU_DEP_1) | instskip(NEXT) | instid1(VALU_DEP_1)
	v_div_fixup_f32 v0, v0, v5, v4
	v_fma_f32 v1, v4, v0, v5
	s_delay_alu instid0(VALU_DEP_1) | instskip(SKIP_1) | instid1(VALU_DEP_2)
	v_div_scale_f32 v10, null, v1, v1, 1.0
	v_div_scale_f32 v30, vcc_lo, 1.0, v1, 1.0
	v_rcp_f32_e32 v11, v10
	v_xor_b32_e32 v10, 0x80000000, v10
	s_delay_alu instid0(TRANS32_DEP_1) | instid1(VALU_DEP_1)
	v_fma_f32 v20, v10, v11, 1.0
	s_delay_alu instid0(VALU_DEP_1) | instskip(NEXT) | instid1(VALU_DEP_1)
	v_fmac_f32_e32 v11, v20, v11
	v_mul_f32_e32 v20, v30, v11
	s_delay_alu instid0(VALU_DEP_1) | instskip(NEXT) | instid1(VALU_DEP_1)
	v_fma_f32 v31, v10, v20, v30
	v_fmac_f32_e32 v20, v31, v11
	s_delay_alu instid0(VALU_DEP_1) | instskip(SKIP_1) | instid1(VALU_DEP_1)
	v_fmac_f32_e32 v30, v10, v20
	s_wait_alu 0xfffd
	v_div_fmas_f32 v10, v30, v11, v20
	v_fma_f32 v11, v0, v6, v7
	s_delay_alu instid0(VALU_DEP_2) | instskip(SKIP_1) | instid1(VALU_DEP_2)
	v_div_fixup_f32 v1, v10, v1, 1.0
	v_fma_f32 v10, v0, v7, -v6
	v_mul_f32_e32 v0, v11, v1
	s_delay_alu instid0(VALU_DEP_2)
	v_mul_f32_e32 v1, v10, v1
.LBB147_130:                            ;   in Loop: Header=BB147_118 Depth=2
	s_wait_alu 0xfffe
	s_and_not1_b32 vcc_lo, exec_lo, s35
	s_wait_alu 0xfffe
	s_cbranch_vccnz .LBB147_132
; %bb.131:                              ;   in Loop: Header=BB147_118 Depth=2
	v_div_scale_f32 v0, null, v4, v4, v5
	v_div_scale_f32 v11, vcc_lo, v5, v4, v5
	s_delay_alu instid0(VALU_DEP_2)
	v_rcp_f32_e32 v1, v0
	v_xor_b32_e32 v0, 0x80000000, v0
	s_delay_alu instid0(TRANS32_DEP_1) | instid1(VALU_DEP_1)
	v_fma_f32 v10, v0, v1, 1.0
	s_delay_alu instid0(VALU_DEP_1) | instskip(NEXT) | instid1(VALU_DEP_1)
	v_fmac_f32_e32 v1, v10, v1
	v_mul_f32_e32 v10, v11, v1
	s_delay_alu instid0(VALU_DEP_1) | instskip(NEXT) | instid1(VALU_DEP_1)
	v_fma_f32 v20, v0, v10, v11
	v_fmac_f32_e32 v10, v20, v1
	s_delay_alu instid0(VALU_DEP_1) | instskip(SKIP_1) | instid1(VALU_DEP_1)
	v_fmac_f32_e32 v11, v0, v10
	s_wait_alu 0xfffd
	v_div_fmas_f32 v0, v11, v1, v10
	s_delay_alu instid0(VALU_DEP_1) | instskip(NEXT) | instid1(VALU_DEP_1)
	v_div_fixup_f32 v0, v0, v4, v5
	v_fmac_f32_e32 v4, v5, v0
	s_delay_alu instid0(VALU_DEP_1) | instskip(SKIP_1) | instid1(VALU_DEP_2)
	v_div_scale_f32 v1, null, v4, v4, 1.0
	v_div_scale_f32 v11, vcc_lo, 1.0, v4, 1.0
	v_rcp_f32_e32 v5, v1
	v_xor_b32_e32 v1, 0x80000000, v1
	s_delay_alu instid0(TRANS32_DEP_1) | instid1(VALU_DEP_1)
	v_fma_f32 v10, v1, v5, 1.0
	s_delay_alu instid0(VALU_DEP_1) | instskip(NEXT) | instid1(VALU_DEP_1)
	v_fmac_f32_e32 v5, v10, v5
	v_mul_f32_e32 v10, v11, v5
	s_delay_alu instid0(VALU_DEP_1) | instskip(NEXT) | instid1(VALU_DEP_1)
	v_fma_f32 v20, v1, v10, v11
	v_fmac_f32_e32 v10, v20, v5
	s_delay_alu instid0(VALU_DEP_1) | instskip(SKIP_1) | instid1(VALU_DEP_1)
	v_fmac_f32_e32 v11, v1, v10
	s_wait_alu 0xfffd
	v_div_fmas_f32 v1, v11, v5, v10
	v_fma_f32 v5, v0, v7, v6
	s_delay_alu instid0(VALU_DEP_2) | instskip(SKIP_1) | instid1(VALU_DEP_2)
	v_div_fixup_f32 v1, v1, v4, 1.0
	v_fma_f32 v4, -v0, v6, v7
	v_mul_f32_e32 v0, v5, v1
	s_delay_alu instid0(VALU_DEP_2)
	v_mul_f32_e32 v1, v4, v1
.LBB147_132:                            ;   in Loop: Header=BB147_118 Depth=2
	v_mov_b32_e32 v4, s34
	s_mov_b32 s34, -1
	ds_load_b128 v[30:33], v4 offset:96
	ds_load_b128 v[4:7], v4 offset:112
	ds_store_b64 v19, v[0:1] offset:192
	s_wait_dscnt 0x2
	v_mul_f32_e32 v10, v18, v31
	v_mul_f32_e32 v11, v17, v31
	;; [unrolled: 1-line block ×4, first 2 shown]
	s_delay_alu instid0(VALU_DEP_4)
	v_fma_f32 v10, v17, v30, -v10
	s_wait_dscnt 0x1
	v_mul_f32_e32 v33, v1, v5
	v_fmac_f32_e32 v11, v18, v30
	v_fma_f32 v8, v8, v32, -v20
	v_and_b32_e32 v17, 0x7fffffff, v6
	v_dual_sub_f32 v2, v2, v10 :: v_dual_mul_f32 v5, v0, v5
	s_delay_alu instid0(VALU_DEP_4) | instskip(SKIP_1) | instid1(VALU_DEP_3)
	v_sub_f32_e32 v3, v3, v11
	v_fma_f32 v10, v0, v4, -v33
	v_sub_f32_e32 v2, v2, v8
	v_fmac_f32_e32 v31, v9, v32
	v_and_b32_e32 v9, 0x7fffffff, v7
	v_fmac_f32_e32 v5, v1, v4
                                        ; implicit-def: $vgpr1
	s_delay_alu instid0(VALU_DEP_3) | instskip(NEXT) | instid1(VALU_DEP_3)
	v_dual_sub_f32 v2, v2, v10 :: v_dual_sub_f32 v3, v3, v31
	v_cmp_ngt_f32_e32 vcc_lo, v17, v9
	s_delay_alu instid0(VALU_DEP_2)
	v_sub_f32_e32 v3, v3, v5
	s_cbranch_vccz .LBB147_134
; %bb.133:                              ;   in Loop: Header=BB147_118 Depth=2
	v_div_scale_f32 v0, null, v7, v7, v6
	v_div_scale_f32 v5, vcc_lo, v6, v7, v6
	s_mov_b32 s34, 0
	v_rcp_f32_e32 v1, v0
	v_xor_b32_e32 v0, 0x80000000, v0
	s_delay_alu instid0(TRANS32_DEP_1) | instid1(VALU_DEP_1)
	v_fma_f32 v4, v0, v1, 1.0
	s_delay_alu instid0(VALU_DEP_1) | instskip(NEXT) | instid1(VALU_DEP_1)
	v_fmac_f32_e32 v1, v4, v1
	v_mul_f32_e32 v4, v5, v1
	s_delay_alu instid0(VALU_DEP_1) | instskip(NEXT) | instid1(VALU_DEP_1)
	v_fma_f32 v8, v0, v4, v5
	v_fmac_f32_e32 v4, v8, v1
	s_delay_alu instid0(VALU_DEP_1) | instskip(SKIP_1) | instid1(VALU_DEP_1)
	v_fmac_f32_e32 v5, v0, v4
	s_wait_alu 0xfffd
	v_div_fmas_f32 v0, v5, v1, v4
	s_delay_alu instid0(VALU_DEP_1) | instskip(NEXT) | instid1(VALU_DEP_1)
	v_div_fixup_f32 v0, v0, v7, v6
	v_fma_f32 v1, v6, v0, v7
	s_delay_alu instid0(VALU_DEP_1) | instskip(SKIP_1) | instid1(VALU_DEP_2)
	v_div_scale_f32 v4, null, v1, v1, 1.0
	v_div_scale_f32 v9, vcc_lo, 1.0, v1, 1.0
	v_rcp_f32_e32 v5, v4
	v_xor_b32_e32 v4, 0x80000000, v4
	s_delay_alu instid0(TRANS32_DEP_1) | instid1(VALU_DEP_1)
	v_fma_f32 v8, v4, v5, 1.0
	s_delay_alu instid0(VALU_DEP_1) | instskip(NEXT) | instid1(VALU_DEP_1)
	v_fmac_f32_e32 v5, v8, v5
	v_mul_f32_e32 v8, v9, v5
	s_delay_alu instid0(VALU_DEP_1) | instskip(NEXT) | instid1(VALU_DEP_1)
	v_fma_f32 v10, v4, v8, v9
	v_fmac_f32_e32 v8, v10, v5
	s_delay_alu instid0(VALU_DEP_1) | instskip(SKIP_1) | instid1(VALU_DEP_1)
	v_fmac_f32_e32 v9, v4, v8
	s_wait_alu 0xfffd
	v_div_fmas_f32 v4, v9, v5, v8
	v_fma_f32 v5, v0, v2, v3
	s_delay_alu instid0(VALU_DEP_2) | instskip(SKIP_1) | instid1(VALU_DEP_2)
	v_div_fixup_f32 v1, v4, v1, 1.0
	v_fma_f32 v4, v0, v3, -v2
	v_mul_f32_e32 v0, v5, v1
	s_delay_alu instid0(VALU_DEP_2)
	v_mul_f32_e32 v1, v4, v1
.LBB147_134:                            ;   in Loop: Header=BB147_118 Depth=2
	s_wait_alu 0xfffe
	s_and_not1_b32 vcc_lo, exec_lo, s34
	s_wait_alu 0xfffe
	s_cbranch_vccnz .LBB147_136
; %bb.135:                              ;   in Loop: Header=BB147_118 Depth=2
	v_div_scale_f32 v0, null, v6, v6, v7
	v_div_scale_f32 v5, vcc_lo, v7, v6, v7
	s_delay_alu instid0(VALU_DEP_2)
	v_rcp_f32_e32 v1, v0
	v_xor_b32_e32 v0, 0x80000000, v0
	s_delay_alu instid0(TRANS32_DEP_1) | instid1(VALU_DEP_1)
	v_fma_f32 v4, v0, v1, 1.0
	s_delay_alu instid0(VALU_DEP_1) | instskip(NEXT) | instid1(VALU_DEP_1)
	v_fmac_f32_e32 v1, v4, v1
	v_mul_f32_e32 v4, v5, v1
	s_delay_alu instid0(VALU_DEP_1) | instskip(NEXT) | instid1(VALU_DEP_1)
	v_fma_f32 v8, v0, v4, v5
	v_fmac_f32_e32 v4, v8, v1
	s_delay_alu instid0(VALU_DEP_1) | instskip(SKIP_1) | instid1(VALU_DEP_1)
	v_fmac_f32_e32 v5, v0, v4
	s_wait_alu 0xfffd
	v_div_fmas_f32 v0, v5, v1, v4
	s_delay_alu instid0(VALU_DEP_1) | instskip(NEXT) | instid1(VALU_DEP_1)
	v_div_fixup_f32 v0, v0, v6, v7
	v_fmac_f32_e32 v6, v7, v0
	s_delay_alu instid0(VALU_DEP_1) | instskip(SKIP_1) | instid1(VALU_DEP_2)
	v_div_scale_f32 v1, null, v6, v6, 1.0
	v_div_scale_f32 v7, vcc_lo, 1.0, v6, 1.0
	v_rcp_f32_e32 v4, v1
	v_xor_b32_e32 v1, 0x80000000, v1
	s_delay_alu instid0(TRANS32_DEP_1) | instid1(VALU_DEP_1)
	v_fma_f32 v5, v1, v4, 1.0
	s_delay_alu instid0(VALU_DEP_1) | instskip(NEXT) | instid1(VALU_DEP_1)
	v_fmac_f32_e32 v4, v5, v4
	v_mul_f32_e32 v5, v7, v4
	s_delay_alu instid0(VALU_DEP_1) | instskip(NEXT) | instid1(VALU_DEP_1)
	v_fma_f32 v8, v1, v5, v7
	v_fmac_f32_e32 v5, v8, v4
	s_delay_alu instid0(VALU_DEP_1) | instskip(SKIP_1) | instid1(VALU_DEP_1)
	v_fmac_f32_e32 v7, v1, v5
	s_wait_alu 0xfffd
	v_div_fmas_f32 v1, v7, v4, v5
	v_fma_f32 v4, v0, v3, v2
	v_fma_f32 v2, -v0, v2, v3
	s_delay_alu instid0(VALU_DEP_3) | instskip(NEXT) | instid1(VALU_DEP_1)
	v_div_fixup_f32 v1, v1, v6, 1.0
	v_mul_f32_e32 v0, v4, v1
	s_delay_alu instid0(VALU_DEP_3)
	v_mul_f32_e32 v1, v2, v1
.LBB147_136:                            ;   in Loop: Header=BB147_118 Depth=2
	s_add_co_i32 s34, s21, 4
	s_add_co_i32 s21, s21, 7
	s_addk_co_i32 s20, 0x180
	s_wait_alu 0xfffe
	s_cmp_ge_i32 s21, s24
	ds_store_b64 v19, v[0:1] offset:288
	s_cbranch_scc1 .LBB147_138
; %bb.137:                              ;   in Loop: Header=BB147_118 Depth=2
	s_mov_b32 s21, s34
	s_branch .LBB147_118
.LBB147_138:                            ;   in Loop: Header=BB147_3 Depth=1
	s_cmp_ge_i32 s34, s24
	s_cbranch_scc1 .LBB147_147
; %bb.139:                              ;   in Loop: Header=BB147_3 Depth=1
	s_mul_i32 s20, s34, 0x60
	s_branch .LBB147_141
.LBB147_140:                            ;   in Loop: Header=BB147_141 Depth=2
	s_add_co_i32 s34, s34, 1
	s_addk_co_i32 s20, 0x60
	s_wait_alu 0xfffe
	s_cmp_ge_i32 s34, s24
	ds_store_b64 v0, v[5:6]
	s_cbranch_scc1 .LBB147_147
.LBB147_141:                            ;   Parent Loop BB147_3 Depth=1
                                        ; =>  This Loop Header: Depth=2
                                        ;       Child Loop BB147_142 Depth 3
	v_mad_co_u64_u32 v[0:1], null, 0x60, s34, v[14:15]
	v_mov_b32_e32 v3, v14
	s_cmp_eq_u32 s34, 0
	s_wait_alu 0xfffe
	s_mov_b32 s21, s20
	s_mov_b32 s35, s34
	ds_load_b64 v[1:2], v0
	s_cbranch_scc1 .LBB147_143
.LBB147_142:                            ;   Parent Loop BB147_3 Depth=1
                                        ;     Parent Loop BB147_141 Depth=2
                                        ; =>    This Inner Loop Header: Depth=3
	s_wait_alu 0xfffe
	v_mov_b32_e32 v6, s21
	s_add_co_i32 s35, s35, -1
	s_add_co_i32 s21, s21, 8
	s_wait_alu 0xfffe
	s_cmp_eq_u32 s35, 0
	ds_load_b64 v[4:5], v3
	ds_load_b64 v[6:7], v6
	s_wait_dscnt 0x0
	v_dual_mul_f32 v8, v7, v5 :: v_dual_add_nc_u32 v3, 0x60, v3
	v_mul_f32_e32 v5, v6, v5
	s_delay_alu instid0(VALU_DEP_2) | instskip(NEXT) | instid1(VALU_DEP_2)
	v_fma_f32 v6, v6, v4, -v8
	v_fmac_f32_e32 v5, v7, v4
	s_delay_alu instid0(VALU_DEP_1)
	v_dual_sub_f32 v1, v1, v6 :: v_dual_sub_f32 v2, v2, v5
	s_cbranch_scc0 .LBB147_142
.LBB147_143:                            ;   in Loop: Header=BB147_141 Depth=2
	s_mul_i32 s21, s34, 0x68
	s_wait_alu 0xfffe
	v_mov_b32_e32 v3, s21
	s_mov_b32 s21, -1
	ds_load_b64 v[3:4], v3
	s_wait_dscnt 0x0
	v_and_b32_e32 v5, 0x7fffffff, v3
	v_and_b32_e32 v6, 0x7fffffff, v4
	s_delay_alu instid0(VALU_DEP_1)
	v_cmp_ngt_f32_e32 vcc_lo, v5, v6
                                        ; implicit-def: $vgpr5
	s_cbranch_vccz .LBB147_145
; %bb.144:                              ;   in Loop: Header=BB147_141 Depth=2
	v_div_scale_f32 v5, null, v4, v4, v3
	v_div_scale_f32 v8, vcc_lo, v3, v4, v3
	s_mov_b32 s21, 0
	v_rcp_f32_e32 v6, v5
	v_xor_b32_e32 v5, 0x80000000, v5
	s_delay_alu instid0(TRANS32_DEP_1) | instid1(VALU_DEP_1)
	v_fma_f32 v7, v5, v6, 1.0
	s_delay_alu instid0(VALU_DEP_1) | instskip(NEXT) | instid1(VALU_DEP_1)
	v_fmac_f32_e32 v6, v7, v6
	v_mul_f32_e32 v7, v8, v6
	s_delay_alu instid0(VALU_DEP_1) | instskip(NEXT) | instid1(VALU_DEP_1)
	v_fma_f32 v9, v5, v7, v8
	v_fmac_f32_e32 v7, v9, v6
	s_delay_alu instid0(VALU_DEP_1) | instskip(SKIP_1) | instid1(VALU_DEP_1)
	v_fmac_f32_e32 v8, v5, v7
	s_wait_alu 0xfffd
	v_div_fmas_f32 v5, v8, v6, v7
	s_delay_alu instid0(VALU_DEP_1) | instskip(NEXT) | instid1(VALU_DEP_1)
	v_div_fixup_f32 v5, v5, v4, v3
	v_fma_f32 v6, v3, v5, v4
	s_delay_alu instid0(VALU_DEP_1) | instskip(SKIP_1) | instid1(VALU_DEP_2)
	v_div_scale_f32 v7, null, v6, v6, 1.0
	v_div_scale_f32 v10, vcc_lo, 1.0, v6, 1.0
	v_rcp_f32_e32 v8, v7
	v_xor_b32_e32 v7, 0x80000000, v7
	s_delay_alu instid0(TRANS32_DEP_1) | instid1(VALU_DEP_1)
	v_fma_f32 v9, v7, v8, 1.0
	s_delay_alu instid0(VALU_DEP_1) | instskip(NEXT) | instid1(VALU_DEP_1)
	v_fmac_f32_e32 v8, v9, v8
	v_mul_f32_e32 v9, v10, v8
	s_delay_alu instid0(VALU_DEP_1) | instskip(NEXT) | instid1(VALU_DEP_1)
	v_fma_f32 v11, v7, v9, v10
	v_fmac_f32_e32 v9, v11, v8
	s_delay_alu instid0(VALU_DEP_1) | instskip(SKIP_1) | instid1(VALU_DEP_1)
	v_fmac_f32_e32 v10, v7, v9
	s_wait_alu 0xfffd
	v_div_fmas_f32 v7, v10, v8, v9
	v_fma_f32 v8, v1, v5, v2
	s_delay_alu instid0(VALU_DEP_2) | instskip(SKIP_1) | instid1(VALU_DEP_2)
	v_div_fixup_f32 v6, v7, v6, 1.0
	v_fma_f32 v7, v2, v5, -v1
	v_mul_f32_e32 v5, v8, v6
	s_delay_alu instid0(VALU_DEP_2)
	v_mul_f32_e32 v6, v7, v6
.LBB147_145:                            ;   in Loop: Header=BB147_141 Depth=2
	s_wait_alu 0xfffe
	s_and_not1_b32 vcc_lo, exec_lo, s21
	s_wait_alu 0xfffe
	s_cbranch_vccnz .LBB147_140
; %bb.146:                              ;   in Loop: Header=BB147_141 Depth=2
	v_div_scale_f32 v5, null, v3, v3, v4
	v_div_scale_f32 v8, vcc_lo, v4, v3, v4
	s_delay_alu instid0(VALU_DEP_2)
	v_rcp_f32_e32 v6, v5
	v_xor_b32_e32 v5, 0x80000000, v5
	s_delay_alu instid0(TRANS32_DEP_1) | instid1(VALU_DEP_1)
	v_fma_f32 v7, v5, v6, 1.0
	s_delay_alu instid0(VALU_DEP_1) | instskip(NEXT) | instid1(VALU_DEP_1)
	v_fmac_f32_e32 v6, v7, v6
	v_mul_f32_e32 v7, v8, v6
	s_delay_alu instid0(VALU_DEP_1) | instskip(NEXT) | instid1(VALU_DEP_1)
	v_fma_f32 v9, v5, v7, v8
	v_fmac_f32_e32 v7, v9, v6
	s_delay_alu instid0(VALU_DEP_1) | instskip(SKIP_1) | instid1(VALU_DEP_1)
	v_fmac_f32_e32 v8, v5, v7
	s_wait_alu 0xfffd
	v_div_fmas_f32 v5, v8, v6, v7
	s_delay_alu instid0(VALU_DEP_1) | instskip(NEXT) | instid1(VALU_DEP_1)
	v_div_fixup_f32 v5, v5, v3, v4
	v_fmac_f32_e32 v3, v4, v5
	s_delay_alu instid0(VALU_DEP_1) | instskip(SKIP_1) | instid1(VALU_DEP_2)
	v_div_scale_f32 v4, null, v3, v3, 1.0
	v_div_scale_f32 v8, vcc_lo, 1.0, v3, 1.0
	v_rcp_f32_e32 v6, v4
	v_xor_b32_e32 v4, 0x80000000, v4
	s_delay_alu instid0(TRANS32_DEP_1) | instid1(VALU_DEP_1)
	v_fma_f32 v7, v4, v6, 1.0
	s_delay_alu instid0(VALU_DEP_1) | instskip(NEXT) | instid1(VALU_DEP_1)
	v_fmac_f32_e32 v6, v7, v6
	v_mul_f32_e32 v7, v8, v6
	s_delay_alu instid0(VALU_DEP_1) | instskip(NEXT) | instid1(VALU_DEP_1)
	v_fma_f32 v9, v4, v7, v8
	v_fmac_f32_e32 v7, v9, v6
	s_delay_alu instid0(VALU_DEP_1) | instskip(SKIP_1) | instid1(VALU_DEP_1)
	v_fmac_f32_e32 v8, v4, v7
	s_wait_alu 0xfffd
	v_div_fmas_f32 v4, v8, v6, v7
	v_fma_f32 v6, v2, v5, v1
	v_fma_f32 v1, -v1, v5, v2
	s_delay_alu instid0(VALU_DEP_3) | instskip(NEXT) | instid1(VALU_DEP_1)
	v_div_fixup_f32 v3, v4, v3, 1.0
	v_mul_f32_e32 v5, v6, v3
	s_delay_alu instid0(VALU_DEP_3)
	v_mul_f32_e32 v6, v1, v3
	s_branch .LBB147_140
.LBB147_147:                            ;   in Loop: Header=BB147_3 Depth=1
	s_and_saveexec_b32 s20, s23
	s_cbranch_execz .LBB147_2
; %bb.148:                              ;   in Loop: Header=BB147_3 Depth=1
	v_add_co_u32 v0, vcc_lo, v15, s6
	s_wait_alu 0xfffd
	v_add_co_ci_u32_e64 v1, null, s7, v16, vcc_lo
	v_mov_b32_e32 v2, v14
	s_delay_alu instid0(VALU_DEP_3) | instskip(SKIP_1) | instid1(VALU_DEP_3)
	v_add_co_u32 v0, vcc_lo, v0, s12
	s_wait_alu 0xfffd
	v_add_co_ci_u32_e64 v1, null, s13, v1, vcc_lo
	s_mov_b32 s21, s16
	v_add_co_u32 v0, vcc_lo, v0, v29
	s_wait_alu 0xfffd
	v_add_co_ci_u32_e64 v1, null, 0, v1, vcc_lo
.LBB147_149:                            ;   Parent Loop BB147_3 Depth=1
                                        ; =>  This Inner Loop Header: Depth=2
	ds_load_b64 v[3:4], v2
	v_add_nc_u32_e32 v2, 0x60, v2
	s_wait_alu 0xfffe
	s_add_co_i32 s21, s21, -1
	s_wait_alu 0xfffe
	s_cmp_lg_u32 s21, 0
	s_wait_dscnt 0x0
	flat_store_b64 v[0:1], v[3:4]
	v_add_co_u32 v0, vcc_lo, v0, s14
	s_wait_alu 0xfffd
	v_add_co_ci_u32_e64 v1, null, s15, v1, vcc_lo
	s_cbranch_scc1 .LBB147_149
	s_branch .LBB147_2
.LBB147_150:
	s_endpgm
	.section	.rodata,"a",@progbits
	.p2align	6, 0x0
	.amdhsa_kernel _ZL31rocblas_trsm_small_right_deviceI19rocblas_complex_numIfES1_PKPKS1_PKPS1_Li12EEv13rocblas_fill_18rocblas_operation_17rocblas_diagonal_iiT0_T1_lilT2_lili
		.amdhsa_group_segment_fixed_size 2304
		.amdhsa_private_segment_fixed_size 0
		.amdhsa_kernarg_size 360
		.amdhsa_user_sgpr_count 2
		.amdhsa_user_sgpr_dispatch_ptr 0
		.amdhsa_user_sgpr_queue_ptr 0
		.amdhsa_user_sgpr_kernarg_segment_ptr 1
		.amdhsa_user_sgpr_dispatch_id 0
		.amdhsa_user_sgpr_private_segment_size 0
		.amdhsa_wavefront_size32 1
		.amdhsa_uses_dynamic_stack 0
		.amdhsa_enable_private_segment 0
		.amdhsa_system_sgpr_workgroup_id_x 1
		.amdhsa_system_sgpr_workgroup_id_y 0
		.amdhsa_system_sgpr_workgroup_id_z 1
		.amdhsa_system_sgpr_workgroup_info 0
		.amdhsa_system_vgpr_workitem_id 0
		.amdhsa_next_free_vgpr 42
		.amdhsa_next_free_sgpr 40
		.amdhsa_reserve_vcc 1
		.amdhsa_float_round_mode_32 0
		.amdhsa_float_round_mode_16_64 0
		.amdhsa_float_denorm_mode_32 3
		.amdhsa_float_denorm_mode_16_64 3
		.amdhsa_fp16_overflow 0
		.amdhsa_workgroup_processor_mode 1
		.amdhsa_memory_ordered 1
		.amdhsa_forward_progress 1
		.amdhsa_inst_pref_size 123
		.amdhsa_round_robin_scheduling 0
		.amdhsa_exception_fp_ieee_invalid_op 0
		.amdhsa_exception_fp_denorm_src 0
		.amdhsa_exception_fp_ieee_div_zero 0
		.amdhsa_exception_fp_ieee_overflow 0
		.amdhsa_exception_fp_ieee_underflow 0
		.amdhsa_exception_fp_ieee_inexact 0
		.amdhsa_exception_int_div_zero 0
	.end_amdhsa_kernel
	.section	.text._ZL31rocblas_trsm_small_right_deviceI19rocblas_complex_numIfES1_PKPKS1_PKPS1_Li12EEv13rocblas_fill_18rocblas_operation_17rocblas_diagonal_iiT0_T1_lilT2_lili,"axG",@progbits,_ZL31rocblas_trsm_small_right_deviceI19rocblas_complex_numIfES1_PKPKS1_PKPS1_Li12EEv13rocblas_fill_18rocblas_operation_17rocblas_diagonal_iiT0_T1_lilT2_lili,comdat
.Lfunc_end147:
	.size	_ZL31rocblas_trsm_small_right_deviceI19rocblas_complex_numIfES1_PKPKS1_PKPS1_Li12EEv13rocblas_fill_18rocblas_operation_17rocblas_diagonal_iiT0_T1_lilT2_lili, .Lfunc_end147-_ZL31rocblas_trsm_small_right_deviceI19rocblas_complex_numIfES1_PKPKS1_PKPS1_Li12EEv13rocblas_fill_18rocblas_operation_17rocblas_diagonal_iiT0_T1_lilT2_lili
                                        ; -- End function
	.set _ZL31rocblas_trsm_small_right_deviceI19rocblas_complex_numIfES1_PKPKS1_PKPS1_Li12EEv13rocblas_fill_18rocblas_operation_17rocblas_diagonal_iiT0_T1_lilT2_lili.num_vgpr, 42
	.set _ZL31rocblas_trsm_small_right_deviceI19rocblas_complex_numIfES1_PKPKS1_PKPS1_Li12EEv13rocblas_fill_18rocblas_operation_17rocblas_diagonal_iiT0_T1_lilT2_lili.num_agpr, 0
	.set _ZL31rocblas_trsm_small_right_deviceI19rocblas_complex_numIfES1_PKPKS1_PKPS1_Li12EEv13rocblas_fill_18rocblas_operation_17rocblas_diagonal_iiT0_T1_lilT2_lili.numbered_sgpr, 40
	.set _ZL31rocblas_trsm_small_right_deviceI19rocblas_complex_numIfES1_PKPKS1_PKPS1_Li12EEv13rocblas_fill_18rocblas_operation_17rocblas_diagonal_iiT0_T1_lilT2_lili.num_named_barrier, 0
	.set _ZL31rocblas_trsm_small_right_deviceI19rocblas_complex_numIfES1_PKPKS1_PKPS1_Li12EEv13rocblas_fill_18rocblas_operation_17rocblas_diagonal_iiT0_T1_lilT2_lili.private_seg_size, 0
	.set _ZL31rocblas_trsm_small_right_deviceI19rocblas_complex_numIfES1_PKPKS1_PKPS1_Li12EEv13rocblas_fill_18rocblas_operation_17rocblas_diagonal_iiT0_T1_lilT2_lili.uses_vcc, 1
	.set _ZL31rocblas_trsm_small_right_deviceI19rocblas_complex_numIfES1_PKPKS1_PKPS1_Li12EEv13rocblas_fill_18rocblas_operation_17rocblas_diagonal_iiT0_T1_lilT2_lili.uses_flat_scratch, 0
	.set _ZL31rocblas_trsm_small_right_deviceI19rocblas_complex_numIfES1_PKPKS1_PKPS1_Li12EEv13rocblas_fill_18rocblas_operation_17rocblas_diagonal_iiT0_T1_lilT2_lili.has_dyn_sized_stack, 0
	.set _ZL31rocblas_trsm_small_right_deviceI19rocblas_complex_numIfES1_PKPKS1_PKPS1_Li12EEv13rocblas_fill_18rocblas_operation_17rocblas_diagonal_iiT0_T1_lilT2_lili.has_recursion, 0
	.set _ZL31rocblas_trsm_small_right_deviceI19rocblas_complex_numIfES1_PKPKS1_PKPS1_Li12EEv13rocblas_fill_18rocblas_operation_17rocblas_diagonal_iiT0_T1_lilT2_lili.has_indirect_call, 0
	.section	.AMDGPU.csdata,"",@progbits
; Kernel info:
; codeLenInByte = 15728
; TotalNumSgprs: 42
; NumVgprs: 42
; ScratchSize: 0
; MemoryBound: 0
; FloatMode: 240
; IeeeMode: 1
; LDSByteSize: 2304 bytes/workgroup (compile time only)
; SGPRBlocks: 0
; VGPRBlocks: 5
; NumSGPRsForWavesPerEU: 42
; NumVGPRsForWavesPerEU: 42
; Occupancy: 14
; WaveLimiterHint : 0
; COMPUTE_PGM_RSRC2:SCRATCH_EN: 0
; COMPUTE_PGM_RSRC2:USER_SGPR: 2
; COMPUTE_PGM_RSRC2:TRAP_HANDLER: 0
; COMPUTE_PGM_RSRC2:TGID_X_EN: 1
; COMPUTE_PGM_RSRC2:TGID_Y_EN: 0
; COMPUTE_PGM_RSRC2:TGID_Z_EN: 1
; COMPUTE_PGM_RSRC2:TIDIG_COMP_CNT: 0
	.section	.text._ZL38rocblas_trsm_small_left_device_sharedBILi16ELi16ELb0E19rocblas_complex_numIfES1_PKPKS1_PKPS1_Ev13rocblas_fill_18rocblas_operation_17rocblas_diagonal_iiT3_T4_lilT5_lili,"axG",@progbits,_ZL38rocblas_trsm_small_left_device_sharedBILi16ELi16ELb0E19rocblas_complex_numIfES1_PKPKS1_PKPS1_Ev13rocblas_fill_18rocblas_operation_17rocblas_diagonal_iiT3_T4_lilT5_lili,comdat
	.globl	_ZL38rocblas_trsm_small_left_device_sharedBILi16ELi16ELb0E19rocblas_complex_numIfES1_PKPKS1_PKPS1_Ev13rocblas_fill_18rocblas_operation_17rocblas_diagonal_iiT3_T4_lilT5_lili ; -- Begin function _ZL38rocblas_trsm_small_left_device_sharedBILi16ELi16ELb0E19rocblas_complex_numIfES1_PKPKS1_PKPS1_Ev13rocblas_fill_18rocblas_operation_17rocblas_diagonal_iiT3_T4_lilT5_lili
	.p2align	8
	.type	_ZL38rocblas_trsm_small_left_device_sharedBILi16ELi16ELb0E19rocblas_complex_numIfES1_PKPKS1_PKPS1_Ev13rocblas_fill_18rocblas_operation_17rocblas_diagonal_iiT3_T4_lilT5_lili,@function
_ZL38rocblas_trsm_small_left_device_sharedBILi16ELi16ELb0E19rocblas_complex_numIfES1_PKPKS1_PKPS1_Ev13rocblas_fill_18rocblas_operation_17rocblas_diagonal_iiT3_T4_lilT5_lili: ; @_ZL38rocblas_trsm_small_left_device_sharedBILi16ELi16ELb0E19rocblas_complex_numIfES1_PKPKS1_PKPS1_Ev13rocblas_fill_18rocblas_operation_17rocblas_diagonal_iiT3_T4_lilT5_lili
; %bb.0:
	s_load_b32 s22, s[0:1], 0x60
	s_lshr_b32 s2, ttmp7, 16
	s_wait_kmcnt 0x0
	s_cmp_ge_u32 s2, s22
	s_cbranch_scc1 .LBB148_66
; %bb.1:
	s_clause 0x6
	s_load_b32 s20, s[0:1], 0x30
	s_load_b32 s30, s[0:1], 0x50
	s_load_b128 s[12:15], s[0:1], 0x4
	s_load_b32 s3, s[0:1], 0x68
	s_load_b128 s[4:7], s[0:1], 0x20
	s_load_b128 s[8:11], s[0:1], 0x40
	s_load_b64 s[16:17], s[0:1], 0x14
	v_dual_mov_b32 v1, 0 :: v_dual_lshlrev_b32 v10, 3, v0
	v_lshlrev_b32_e32 v6, 7, v0
	s_mov_b32 s19, 0
	s_delay_alu instid0(VALU_DEP_2) | instskip(NEXT) | instid1(VALU_DEP_2)
	v_or_b32_e32 v11, 0x800, v10
	v_add_nc_u32_e32 v16, v10, v6
	s_wait_kmcnt 0x0
	s_ashr_i32 s21, s20, 31
	s_ashr_i32 s31, s30, 31
	s_cmp_lg_u32 s12, 0x71
	v_mad_co_i64_i32 v[2:3], null, s30, v0, 0
	s_cselect_b32 s1, -1, 0
	s_min_i32 s23, s14, 16
	s_lshl_b32 s28, ttmp9, 4
	s_add_co_i32 s3, s3, -1
	s_add_co_i32 s24, s23, -1
	s_sub_co_i32 s0, s15, s28
	s_cmp_ge_u32 ttmp9, s3
	v_lshlrev_b64_e32 v[2:3], 3, v[2:3]
	s_cselect_b32 s0, s0, 16
	s_ashr_i32 s29, s28, 31
	s_cmp_lg_u32 s13, 0x84
	v_cmp_gt_i32_e32 vcc_lo, s0, v0
	s_cselect_b32 s25, -1, 0
	s_cmp_gt_i32 s14, 0
	v_cmp_gt_i32_e64 s0, s23, v0
	s_cselect_b32 s3, -1, 0
	s_cmp_lg_u32 s12, 0x6f
	s_mul_u64 s[14:15], s[30:31], s[28:29]
	s_cselect_b32 s26, -1, 0
	s_lshl_b64 s[12:13], s[28:29], 3
	s_lshl_b64 s[28:29], s[6:7], 3
	v_or_b32_e32 v0, s12, v10
	s_lshl_b64 s[6:7], s[10:11], 3
	s_and_b32 s27, vcc_lo, s3
	s_lshl_b64 s[10:11], s[20:21], 3
	s_delay_alu instid0(VALU_DEP_1) | instskip(SKIP_2) | instid1(VALU_DEP_1)
	v_mul_lo_u32 v7, v0, s31
	v_mad_co_u64_u32 v[4:5], null, v0, s30, s[6:7]
	v_add_co_u32 v0, s3, s28, v10
	v_add_co_ci_u32_e64 v12, null, s29, 0, s3
	s_mul_i32 s3, s13, s30
	v_or_b32_e32 v13, 4, v0
	s_wait_alu 0xfffe
	v_add3_u32 v14, s3, v5, v7
	v_or_b32_e32 v15, 4, v4
	v_mov_b32_e32 v0, 1.0
	s_lshl_b32 s3, s23, 7
	s_or_b32 s28, 0, 4
	s_wait_alu 0xfffe
	s_add_co_i32 s20, s3, 0xffffff80
	s_lshl_b64 s[12:13], s[14:15], 3
	s_branch .LBB148_3
.LBB148_2:                              ;   in Loop: Header=BB148_3 Depth=1
	s_wait_alu 0xfffe
	s_or_b32 exec_lo, exec_lo, s3
	s_add_co_i32 s2, s2, 0x10000
	s_wait_alu 0xfffe
	s_cmp_lt_u32 s2, s22
	s_cbranch_scc0 .LBB148_66
.LBB148_3:                              ; =>This Loop Header: Depth=1
                                        ;     Child Loop BB148_6 Depth 2
                                        ;     Child Loop BB148_20 Depth 2
                                        ;     Child Loop BB148_24 Depth 2
                                        ;       Child Loop BB148_27 Depth 3
                                        ;         Child Loop BB148_28 Depth 4
                                        ;         Child Loop BB148_31 Depth 4
                                        ;           Child Loop BB148_32 Depth 5
                                        ;         Child Loop BB148_36 Depth 4
                                        ;           Child Loop BB148_38 Depth 5
                                        ;     Child Loop BB148_46 Depth 2
                                        ;       Child Loop BB148_49 Depth 3
                                        ;         Child Loop BB148_50 Depth 4
                                        ;         Child Loop BB148_52 Depth 4
                                        ;           Child Loop BB148_53 Depth 5
                                        ;         Child Loop BB148_57 Depth 4
                                        ;           Child Loop BB148_59 Depth 5
                                        ;     Child Loop BB148_65 Depth 2
	s_mov_b32 s3, s19
	s_wait_alu 0xfffe
	s_lshl_b64 s[14:15], s[2:3], 3
	s_delay_alu instid0(SALU_CYCLE_1)
	s_add_nc_u64 s[30:31], s[8:9], s[14:15]
	global_load_b64 v[4:5], v1, s[30:31]
	s_and_saveexec_b32 s3, s0
	s_cbranch_execz .LBB148_18
; %bb.4:                                ;   in Loop: Header=BB148_3 Depth=1
	s_add_nc_u64 s[14:15], s[4:5], s[14:15]
	v_mov_b32_e32 v17, v10
	global_load_b64 v[6:7], v1, s[14:15]
	s_mov_b32 s14, s23
	s_wait_loadcnt 0x0
	v_add_co_u32 v6, vcc_lo, v6, v13
	s_wait_alu 0xfffd
	v_add_co_ci_u32_e64 v7, null, v7, v12, vcc_lo
	s_branch .LBB148_6
.LBB148_5:                              ;   in Loop: Header=BB148_6 Depth=2
	flat_load_b32 v8, v[6:7] offset:-4
	v_add_co_u32 v6, vcc_lo, v6, s10
	s_wait_alu 0xfffd
	v_add_co_ci_u32_e64 v7, null, s11, v7, vcc_lo
	s_add_co_i32 s14, s14, -1
	s_delay_alu instid0(SALU_CYCLE_1)
	s_cmp_eq_u32 s14, 0
	s_wait_loadcnt_dscnt 0x0
	ds_store_b64 v17, v[8:9]
	v_add_nc_u32_e32 v17, 0x80, v17
	s_cbranch_scc1 .LBB148_10
.LBB148_6:                              ;   Parent Loop BB148_3 Depth=1
                                        ; =>  This Inner Loop Header: Depth=2
	s_and_b32 vcc_lo, exec_lo, s1
	s_mov_b32 s15, -1
                                        ; implicit-def: $vgpr9
	s_wait_alu 0xfffe
	s_cbranch_vccz .LBB148_8
; %bb.7:                                ;   in Loop: Header=BB148_6 Depth=2
	flat_load_b32 v9, v[6:7]
	s_mov_b32 s15, 0
.LBB148_8:                              ;   in Loop: Header=BB148_6 Depth=2
	s_delay_alu instid0(SALU_CYCLE_1)
	s_and_not1_b32 vcc_lo, exec_lo, s15
	s_wait_alu 0xfffe
	s_cbranch_vccnz .LBB148_5
; %bb.9:                                ;   in Loop: Header=BB148_6 Depth=2
	flat_load_b32 v8, v[6:7]
	s_wait_loadcnt_dscnt 0x0
	v_xor_b32_e32 v9, 0x80000000, v8
	s_branch .LBB148_5
.LBB148_10:                             ;   in Loop: Header=BB148_3 Depth=1
	s_and_b32 vcc_lo, exec_lo, s25
	s_mov_b32 s14, -1
	s_wait_alu 0xfffe
	s_cbranch_vccz .LBB148_16
; %bb.11:                               ;   in Loop: Header=BB148_3 Depth=1
	ds_load_b64 v[6:7], v16
                                        ; implicit-def: $vgpr8
	s_wait_dscnt 0x0
	v_cmp_ngt_f32_e64 s14, |v6|, |v7|
	s_and_saveexec_b32 s15, s14
	s_delay_alu instid0(SALU_CYCLE_1)
	s_xor_b32 s14, exec_lo, s15
	s_cbranch_execz .LBB148_13
; %bb.12:                               ;   in Loop: Header=BB148_3 Depth=1
	v_div_scale_f32 v8, null, v7, v7, v6
	v_div_scale_f32 v18, vcc_lo, v6, v7, v6
	s_delay_alu instid0(VALU_DEP_2) | instskip(NEXT) | instid1(TRANS32_DEP_1)
	v_rcp_f32_e32 v9, v8
	v_fma_f32 v17, -v8, v9, 1.0
	s_delay_alu instid0(VALU_DEP_1) | instskip(NEXT) | instid1(VALU_DEP_1)
	v_fmac_f32_e32 v9, v17, v9
	v_mul_f32_e32 v17, v18, v9
	s_delay_alu instid0(VALU_DEP_1) | instskip(NEXT) | instid1(VALU_DEP_1)
	v_fma_f32 v19, -v8, v17, v18
	v_fmac_f32_e32 v17, v19, v9
	s_delay_alu instid0(VALU_DEP_1) | instskip(SKIP_1) | instid1(VALU_DEP_1)
	v_fma_f32 v8, -v8, v17, v18
	s_wait_alu 0xfffd
	v_div_fmas_f32 v8, v8, v9, v17
	s_delay_alu instid0(VALU_DEP_1) | instskip(NEXT) | instid1(VALU_DEP_1)
	v_div_fixup_f32 v8, v8, v7, v6
	v_fmac_f32_e32 v7, v6, v8
	s_delay_alu instid0(VALU_DEP_1) | instskip(SKIP_1) | instid1(VALU_DEP_2)
	v_div_scale_f32 v6, null, v7, v7, 1.0
	v_div_scale_f32 v18, vcc_lo, 1.0, v7, 1.0
	v_rcp_f32_e32 v9, v6
	s_delay_alu instid0(TRANS32_DEP_1) | instskip(NEXT) | instid1(VALU_DEP_1)
	v_fma_f32 v17, -v6, v9, 1.0
	v_fmac_f32_e32 v9, v17, v9
	s_delay_alu instid0(VALU_DEP_1) | instskip(NEXT) | instid1(VALU_DEP_1)
	v_mul_f32_e32 v17, v18, v9
	v_fma_f32 v19, -v6, v17, v18
	s_delay_alu instid0(VALU_DEP_1) | instskip(NEXT) | instid1(VALU_DEP_1)
	v_fmac_f32_e32 v17, v19, v9
	v_fma_f32 v6, -v6, v17, v18
	s_wait_alu 0xfffd
	s_delay_alu instid0(VALU_DEP_1) | instskip(SKIP_1) | instid1(VALU_DEP_2)
	v_div_fmas_f32 v6, v6, v9, v17
	v_add_f32_e32 v9, 0, v8
	v_div_fixup_f32 v6, v6, v7, 1.0
	v_fma_f32 v7, v8, 0, -1.0
	s_delay_alu instid0(VALU_DEP_2) | instskip(NEXT) | instid1(VALU_DEP_2)
	v_mul_f32_e32 v8, v9, v6
	v_mul_f32_e32 v9, v7, v6
                                        ; implicit-def: $vgpr6_vgpr7
.LBB148_13:                             ;   in Loop: Header=BB148_3 Depth=1
	s_and_not1_saveexec_b32 s14, s14
	s_cbranch_execz .LBB148_15
; %bb.14:                               ;   in Loop: Header=BB148_3 Depth=1
	v_div_scale_f32 v8, null, v6, v6, v7
	v_div_scale_f32 v18, vcc_lo, v7, v6, v7
	s_delay_alu instid0(VALU_DEP_2) | instskip(NEXT) | instid1(TRANS32_DEP_1)
	v_rcp_f32_e32 v9, v8
	v_fma_f32 v17, -v8, v9, 1.0
	s_delay_alu instid0(VALU_DEP_1) | instskip(NEXT) | instid1(VALU_DEP_1)
	v_fmac_f32_e32 v9, v17, v9
	v_mul_f32_e32 v17, v18, v9
	s_delay_alu instid0(VALU_DEP_1) | instskip(NEXT) | instid1(VALU_DEP_1)
	v_fma_f32 v19, -v8, v17, v18
	v_fmac_f32_e32 v17, v19, v9
	s_delay_alu instid0(VALU_DEP_1) | instskip(SKIP_1) | instid1(VALU_DEP_1)
	v_fma_f32 v8, -v8, v17, v18
	s_wait_alu 0xfffd
	v_div_fmas_f32 v8, v8, v9, v17
	s_delay_alu instid0(VALU_DEP_1) | instskip(NEXT) | instid1(VALU_DEP_1)
	v_div_fixup_f32 v9, v8, v6, v7
	v_fmac_f32_e32 v6, v7, v9
	s_delay_alu instid0(VALU_DEP_1) | instskip(SKIP_1) | instid1(VALU_DEP_2)
	v_div_scale_f32 v7, null, v6, v6, 1.0
	v_div_scale_f32 v18, vcc_lo, 1.0, v6, 1.0
	v_rcp_f32_e32 v8, v7
	s_delay_alu instid0(TRANS32_DEP_1) | instskip(NEXT) | instid1(VALU_DEP_1)
	v_fma_f32 v17, -v7, v8, 1.0
	v_fmac_f32_e32 v8, v17, v8
	s_delay_alu instid0(VALU_DEP_1) | instskip(NEXT) | instid1(VALU_DEP_1)
	v_mul_f32_e32 v17, v18, v8
	v_fma_f32 v19, -v7, v17, v18
	s_delay_alu instid0(VALU_DEP_1) | instskip(NEXT) | instid1(VALU_DEP_1)
	v_fmac_f32_e32 v17, v19, v8
	v_fma_f32 v7, -v7, v17, v18
	s_wait_alu 0xfffd
	s_delay_alu instid0(VALU_DEP_1) | instskip(SKIP_1) | instid1(VALU_DEP_2)
	v_div_fmas_f32 v7, v7, v8, v17
	v_fma_f32 v8, v9, 0, 1.0
	v_div_fixup_f32 v6, v7, v6, 1.0
	s_delay_alu instid0(VALU_DEP_1)
	v_mul_f32_e32 v8, v8, v6
	v_mul_f32_e64 v9, -v9, v6
.LBB148_15:                             ;   in Loop: Header=BB148_3 Depth=1
	s_or_b32 exec_lo, exec_lo, s14
	s_mov_b32 s14, 0
	ds_store_b64 v16, v[8:9]
.LBB148_16:                             ;   in Loop: Header=BB148_3 Depth=1
	s_and_b32 vcc_lo, exec_lo, s14
	s_wait_alu 0xfffe
	s_cbranch_vccz .LBB148_18
; %bb.17:                               ;   in Loop: Header=BB148_3 Depth=1
	ds_store_b64 v16, v[0:1]
.LBB148_18:                             ;   in Loop: Header=BB148_3 Depth=1
	s_wait_alu 0xfffe
	s_or_b32 exec_lo, exec_lo, s3
	s_and_saveexec_b32 s3, s27
	s_cbranch_execz .LBB148_21
; %bb.19:                               ;   in Loop: Header=BB148_3 Depth=1
	s_wait_loadcnt 0x0
	v_add_co_u32 v6, vcc_lo, v4, v15
	s_wait_alu 0xfffd
	v_add_co_ci_u32_e64 v7, null, v5, v14, vcc_lo
	v_mov_b32_e32 v8, v11
	s_mov_b32 s14, s23
.LBB148_20:                             ;   Parent Loop BB148_3 Depth=1
                                        ; =>  This Inner Loop Header: Depth=2
	flat_load_b64 v[17:18], v[6:7] offset:-4
	v_add_co_u32 v6, vcc_lo, v6, 8
	s_wait_alu 0xfffd
	v_add_co_ci_u32_e64 v7, null, 0, v7, vcc_lo
	s_add_co_i32 s14, s14, -1
	s_delay_alu instid0(SALU_CYCLE_1) | instskip(SKIP_3) | instid1(VALU_DEP_2)
	s_cmp_lg_u32 s14, 0
	s_wait_loadcnt_dscnt 0x0
	v_mul_f32_e32 v9, s17, v18
	v_mul_f32_e32 v19, s16, v18
	v_fma_f32 v18, s16, v17, -v9
	s_delay_alu instid0(VALU_DEP_2)
	v_fmac_f32_e32 v19, s17, v17
	ds_store_b64 v8, v[18:19]
	v_add_nc_u32_e32 v8, 0x80, v8
	s_cbranch_scc1 .LBB148_20
.LBB148_21:                             ;   in Loop: Header=BB148_3 Depth=1
	s_wait_alu 0xfffe
	s_or_b32 exec_lo, exec_lo, s3
	s_delay_alu instid0(SALU_CYCLE_1)
	s_and_not1_b32 vcc_lo, exec_lo, s26
	s_mov_b32 s3, -1
	; wave barrier
	s_wait_loadcnt_dscnt 0x0
	global_inv scope:SCOPE_SE
	s_wait_alu 0xfffe
	s_cbranch_vccnz .LBB148_43
; %bb.22:                               ;   in Loop: Header=BB148_3 Depth=1
	s_mov_b32 s18, 0
	s_delay_alu instid0(SALU_CYCLE_1)
	s_mov_b32 s3, s18
	s_branch .LBB148_24
.LBB148_23:                             ;   in Loop: Header=BB148_24 Depth=2
	s_cmp_lt_i32 s3, s23
	s_cselect_b32 s14, -1, 0
	s_add_co_i32 s15, s18, 1
	s_cmp_lt_u32 s18, 2
	s_cselect_b32 s18, -1, 0
	s_delay_alu instid0(SALU_CYCLE_1)
	s_and_b32 s14, s14, s18
	s_mov_b32 s18, s15
	s_and_b32 vcc_lo, exec_lo, s14
	s_wait_alu 0xfffe
	s_cbranch_vccz .LBB148_42
.LBB148_24:                             ;   Parent Loop BB148_3 Depth=1
                                        ; =>  This Loop Header: Depth=2
                                        ;       Child Loop BB148_27 Depth 3
                                        ;         Child Loop BB148_28 Depth 4
                                        ;         Child Loop BB148_31 Depth 4
                                        ;           Child Loop BB148_32 Depth 5
                                        ;         Child Loop BB148_36 Depth 4
                                        ;           Child Loop BB148_38 Depth 5
	s_getpc_b64 s[14:15]
	s_sext_i32_i16 s15, s15
	s_add_co_u32 s14, s14, __const._ZL38rocblas_trsm_small_left_device_sharedBILi16ELi16ELb0E19rocblas_complex_numIfES1_PKPKS1_PKPS1_Ev13rocblas_fill_18rocblas_operation_17rocblas_diagonal_iiT3_T4_lilT5_lili.step_sizes@rel32@lo+8
	s_add_co_ci_u32 s15, s15, __const._ZL38rocblas_trsm_small_left_device_sharedBILi16ELi16ELb0E19rocblas_complex_numIfES1_PKPKS1_PKPS1_Ev13rocblas_fill_18rocblas_operation_17rocblas_diagonal_iiT3_T4_lilT5_lili.step_sizes@rel32@hi+16
	s_lshl_b64 s[30:31], s[18:19], 2
	s_wait_alu 0xfffe
	s_add_nc_u64 s[14:15], s[14:15], s[30:31]
	s_load_b32 s14, s[14:15], 0x0
	s_wait_kmcnt 0x0
	s_add_co_i32 s15, s14, -1
	s_delay_alu instid0(SALU_CYCLE_1)
	s_add_co_i32 s21, s15, s3
	s_wait_alu 0xfffe
	s_cmp_ge_i32 s21, s23
	s_cbranch_scc1 .LBB148_23
; %bb.25:                               ;   in Loop: Header=BB148_24 Depth=2
	s_lshl_b32 s21, s3, 7
	s_max_i32 s29, s14, 1
	s_wait_alu 0xfffe
	v_add_nc_u32_e32 v8, s21, v11
	s_lshl_b32 s30, s14, 7
	s_mul_i32 s31, s3, 0x88
	s_mul_i32 s33, s14, 0x88
	s_branch .LBB148_27
.LBB148_26:                             ;   in Loop: Header=BB148_27 Depth=3
	s_add_co_i32 s3, s3, s14
	v_add_nc_u32_e32 v8, s30, v8
	s_wait_alu 0xfffe
	s_add_co_i32 s34, s15, s3
	s_add_co_i32 s21, s21, s30
	;; [unrolled: 1-line block ×3, first 2 shown]
	s_wait_alu 0xfffe
	s_cmp_ge_i32 s34, s23
	s_cbranch_scc1 .LBB148_23
.LBB148_27:                             ;   Parent Loop BB148_3 Depth=1
                                        ;     Parent Loop BB148_24 Depth=2
                                        ; =>    This Loop Header: Depth=3
                                        ;         Child Loop BB148_28 Depth 4
                                        ;         Child Loop BB148_31 Depth 4
                                        ;           Child Loop BB148_32 Depth 5
                                        ;         Child Loop BB148_36 Depth 4
                                        ;           Child Loop BB148_38 Depth 5
	v_mov_b32_e32 v6, v8
	s_mov_b32 s34, 0
	s_wait_alu 0xfffe
	s_mov_b32 s35, s29
.LBB148_28:                             ;   Parent Loop BB148_3 Depth=1
                                        ;     Parent Loop BB148_24 Depth=2
                                        ;       Parent Loop BB148_27 Depth=3
                                        ; =>      This Inner Loop Header: Depth=4
	ds_load_b64 v[17:18], v6
	v_add_nc_u32_e32 v6, 0x80, v6
	s_wait_alu 0xfffe
	s_add_co_i32 s35, s35, -1
	s_wait_dscnt 0x0
	scratch_store_b64 off, v[17:18], s34
	s_add_co_i32 s34, s34, 8
	s_wait_alu 0xfffe
	s_cmp_eq_u32 s35, 0
	s_cbranch_scc0 .LBB148_28
; %bb.29:                               ;   in Loop: Header=BB148_27 Depth=3
	s_cmp_lt_i32 s3, 1
	s_cbranch_scc1 .LBB148_34
; %bb.30:                               ;   in Loop: Header=BB148_27 Depth=3
	s_mov_b32 s34, 0
	s_mov_b32 s35, s21
.LBB148_31:                             ;   Parent Loop BB148_3 Depth=1
                                        ;     Parent Loop BB148_24 Depth=2
                                        ;       Parent Loop BB148_27 Depth=3
                                        ; =>      This Loop Header: Depth=4
                                        ;           Child Loop BB148_32 Depth 5
	s_wait_alu 0xfffe
	v_lshl_add_u32 v6, s34, 7, v11
	s_mov_b32 s36, s28
	s_mov_b32 s37, s35
	;; [unrolled: 1-line block ×3, first 2 shown]
	ds_load_b64 v[6:7], v6
.LBB148_32:                             ;   Parent Loop BB148_3 Depth=1
                                        ;     Parent Loop BB148_24 Depth=2
                                        ;       Parent Loop BB148_27 Depth=3
                                        ;         Parent Loop BB148_31 Depth=4
                                        ; =>        This Inner Loop Header: Depth=5
	scratch_load_b64 v[17:18], off, s36 offset:-4
	s_wait_alu 0xfffe
	v_mov_b32_e32 v9, s37
	s_add_co_i32 s38, s38, -1
	s_addk_co_i32 s37, 0x80
	ds_load_b64 v[19:20], v9
	s_wait_dscnt 0x0
	v_mul_f32_e32 v9, v20, v7
	v_mul_f32_e32 v20, v20, v6
	s_delay_alu instid0(VALU_DEP_1) | instskip(SKIP_1) | instid1(VALU_DEP_1)
	v_fmac_f32_e32 v20, v19, v7
	s_wait_loadcnt 0x0
	v_sub_f32_e32 v18, v18, v20
	v_fma_f32 v9, v19, v6, -v9
	s_delay_alu instid0(VALU_DEP_1)
	v_sub_f32_e32 v17, v17, v9
	scratch_store_b64 off, v[17:18], s36 offset:-4
	s_add_co_i32 s36, s36, 8
	s_wait_alu 0xfffe
	s_cmp_eq_u32 s38, 0
	s_cbranch_scc0 .LBB148_32
; %bb.33:                               ;   in Loop: Header=BB148_31 Depth=4
	s_add_co_i32 s34, s34, 1
	s_add_co_i32 s35, s35, 8
	s_wait_alu 0xfffe
	s_cmp_eq_u32 s34, s3
	s_cbranch_scc0 .LBB148_31
.LBB148_34:                             ;   in Loop: Header=BB148_27 Depth=3
	s_lshl_b32 s34, s3, 7
	s_mov_b32 s35, 0
	s_mov_b32 s36, s31
	s_branch .LBB148_36
.LBB148_35:                             ;   in Loop: Header=BB148_36 Depth=4
	s_wait_alu 0xfffe
	s_mulk_i32 s38, 0x88
	s_addk_co_i32 s36, 0x80
	s_wait_alu 0xfffe
	v_mov_b32_e32 v9, s38
	s_lshl_b32 s38, s35, 3
	s_add_co_i32 s35, s35, 1
	s_wait_alu 0xfffe
	s_cmp_eq_u32 s35, s29
	ds_load_b64 v[17:18], v9
	s_wait_loadcnt_dscnt 0x0
	v_mul_f32_e32 v9, v18, v7
	v_mul_f32_e32 v20, v17, v7
	v_add_nc_u32_e32 v7, s37, v11
	s_delay_alu instid0(VALU_DEP_3) | instskip(NEXT) | instid1(VALU_DEP_3)
	v_fma_f32 v19, v17, v6, -v9
	v_fmac_f32_e32 v20, v18, v6
	scratch_store_b64 off, v[19:20], s38
	ds_store_b64 v7, v[19:20]
	s_cbranch_scc1 .LBB148_26
.LBB148_36:                             ;   Parent Loop BB148_3 Depth=1
                                        ;     Parent Loop BB148_24 Depth=2
                                        ;       Parent Loop BB148_27 Depth=3
                                        ; =>      This Loop Header: Depth=4
                                        ;           Child Loop BB148_38 Depth 5
	s_wait_alu 0xfffe
	s_cmp_lg_u32 s35, 0
	s_cbranch_scc0 .LBB148_40
; %bb.37:                               ;   in Loop: Header=BB148_36 Depth=4
	s_lshl_b32 s39, s35, 3
	s_add_co_i32 s38, s35, s3
	scratch_load_b64 v[6:7], off, s39
	s_wait_alu 0xfffe
	s_lshl_b32 s37, s38, 7
	s_mov_b32 s40, 0
	s_mov_b32 s41, s36
	;; [unrolled: 1-line block ×3, first 2 shown]
.LBB148_38:                             ;   Parent Loop BB148_3 Depth=1
                                        ;     Parent Loop BB148_24 Depth=2
                                        ;       Parent Loop BB148_27 Depth=3
                                        ;         Parent Loop BB148_36 Depth=4
                                        ; =>        This Inner Loop Header: Depth=5
	scratch_load_b64 v[17:18], off, s40
	s_wait_alu 0xfffe
	v_mov_b32_e32 v9, s41
	s_add_co_i32 s42, s42, -1
	s_add_co_i32 s40, s40, 8
	s_add_co_i32 s41, s41, 8
	s_cmp_eq_u32 s42, 0
	ds_load_b64 v[19:20], v9
	s_wait_loadcnt_dscnt 0x0
	v_mul_f32_e32 v9, v20, v18
	v_mul_f32_e32 v18, v19, v18
	s_delay_alu instid0(VALU_DEP_2) | instskip(NEXT) | instid1(VALU_DEP_2)
	v_fma_f32 v9, v19, v17, -v9
	v_fmac_f32_e32 v18, v20, v17
	s_delay_alu instid0(VALU_DEP_1)
	v_dual_sub_f32 v6, v6, v9 :: v_dual_sub_f32 v7, v7, v18
	scratch_store_b64 off, v[6:7], s39
	s_cbranch_scc0 .LBB148_38
; %bb.39:                               ;   in Loop: Header=BB148_36 Depth=4
	s_branch .LBB148_35
.LBB148_40:                             ;   in Loop: Header=BB148_36 Depth=4
                                        ; implicit-def: $vgpr6
                                        ; implicit-def: $sgpr38
                                        ; implicit-def: $sgpr37
	s_cbranch_execz .LBB148_35
; %bb.41:                               ;   in Loop: Header=BB148_36 Depth=4
	scratch_load_b64 v[6:7], off, off
	s_mov_b32 s37, s34
	s_mov_b32 s38, s3
	s_branch .LBB148_35
.LBB148_42:                             ;   in Loop: Header=BB148_3 Depth=1
	s_mov_b32 s3, 0
.LBB148_43:                             ;   in Loop: Header=BB148_3 Depth=1
	s_wait_alu 0xfffe
	s_and_b32 vcc_lo, exec_lo, s3
	s_wait_alu 0xfffe
	s_cbranch_vccz .LBB148_63
; %bb.44:                               ;   in Loop: Header=BB148_3 Depth=1
	s_mov_b32 s18, 0
	s_mov_b32 s3, s24
	s_branch .LBB148_46
.LBB148_45:                             ;   in Loop: Header=BB148_46 Depth=2
	s_cmp_gt_i32 s3, -1
	s_cselect_b32 s14, -1, 0
	s_add_co_i32 s15, s18, 1
	s_cmp_lt_u32 s18, 2
	s_cselect_b32 s18, -1, 0
	s_delay_alu instid0(SALU_CYCLE_1)
	s_and_b32 s14, s14, s18
	s_mov_b32 s18, s15
	s_and_not1_b32 vcc_lo, exec_lo, s14
	s_wait_alu 0xfffe
	s_cbranch_vccnz .LBB148_63
.LBB148_46:                             ;   Parent Loop BB148_3 Depth=1
                                        ; =>  This Loop Header: Depth=2
                                        ;       Child Loop BB148_49 Depth 3
                                        ;         Child Loop BB148_50 Depth 4
                                        ;         Child Loop BB148_52 Depth 4
                                        ;           Child Loop BB148_53 Depth 5
                                        ;         Child Loop BB148_57 Depth 4
                                        ;           Child Loop BB148_59 Depth 5
	s_getpc_b64 s[14:15]
	s_sext_i32_i16 s15, s15
	s_add_co_u32 s14, s14, __const._ZL38rocblas_trsm_small_left_device_sharedBILi16ELi16ELb0E19rocblas_complex_numIfES1_PKPKS1_PKPS1_Ev13rocblas_fill_18rocblas_operation_17rocblas_diagonal_iiT3_T4_lilT5_lili.step_sizes@rel32@lo+8
	s_add_co_ci_u32 s15, s15, __const._ZL38rocblas_trsm_small_left_device_sharedBILi16ELi16ELb0E19rocblas_complex_numIfES1_PKPKS1_PKPS1_Ev13rocblas_fill_18rocblas_operation_17rocblas_diagonal_iiT3_T4_lilT5_lili.step_sizes@rel32@hi+16
	s_lshl_b64 s[30:31], s[18:19], 2
	s_wait_alu 0xfffe
	s_add_nc_u64 s[14:15], s[14:15], s[30:31]
	s_load_b32 s14, s[14:15], 0x0
	s_wait_kmcnt 0x0
	s_add_co_i32 s15, s14, -1
	s_delay_alu instid0(SALU_CYCLE_1)
	s_cmp_lt_i32 s3, s15
	s_cbranch_scc1 .LBB148_45
; %bb.47:                               ;   in Loop: Header=BB148_46 Depth=2
	v_lshl_add_u32 v8, s3, 7, v11
	s_lshl_b32 s29, s14, 7
	s_lshl_b32 s30, s3, 3
	;; [unrolled: 1-line block ×3, first 2 shown]
	s_max_i32 s21, s14, 1
	s_wait_alu 0xfffe
	s_sub_co_i32 s29, 0, s29
	s_add_co_i32 s30, s20, s30
	s_sub_co_i32 s31, 0, s31
	s_mul_i32 s33, s3, 0x88
	s_mul_i32 s34, s14, 0xffffff78
	s_branch .LBB148_49
.LBB148_48:                             ;   in Loop: Header=BB148_49 Depth=3
	v_add_nc_u32_e32 v8, s29, v8
	s_sub_co_i32 s3, s3, s14
	s_add_co_i32 s30, s30, s31
	s_add_co_i32 s33, s33, s34
	s_wait_alu 0xfffe
	s_cmp_lt_i32 s3, s15
	s_cbranch_scc1 .LBB148_45
.LBB148_49:                             ;   Parent Loop BB148_3 Depth=1
                                        ;     Parent Loop BB148_46 Depth=2
                                        ; =>    This Loop Header: Depth=3
                                        ;         Child Loop BB148_50 Depth 4
                                        ;         Child Loop BB148_52 Depth 4
                                        ;           Child Loop BB148_53 Depth 5
                                        ;         Child Loop BB148_57 Depth 4
                                        ;           Child Loop BB148_59 Depth 5
	v_mov_b32_e32 v6, v8
	s_mov_b32 s35, 0
	s_mov_b32 s36, s21
.LBB148_50:                             ;   Parent Loop BB148_3 Depth=1
                                        ;     Parent Loop BB148_46 Depth=2
                                        ;       Parent Loop BB148_49 Depth=3
                                        ; =>      This Inner Loop Header: Depth=4
	ds_load_b64 v[17:18], v6
	v_add_nc_u32_e32 v6, 0xffffff80, v6
	s_wait_alu 0xfffe
	s_add_co_i32 s36, s36, -1
	s_wait_dscnt 0x0
	scratch_store_b64 off, v[17:18], s35
	s_add_co_i32 s35, s35, 8
	s_wait_alu 0xfffe
	s_cmp_eq_u32 s36, 0
	s_cbranch_scc0 .LBB148_50
; %bb.51:                               ;   in Loop: Header=BB148_49 Depth=3
	s_cmp_le_i32 s24, s3
	s_mov_b32 s35, s30
	s_mov_b32 s36, s24
	s_cbranch_scc1 .LBB148_55
.LBB148_52:                             ;   Parent Loop BB148_3 Depth=1
                                        ;     Parent Loop BB148_46 Depth=2
                                        ;       Parent Loop BB148_49 Depth=3
                                        ; =>      This Loop Header: Depth=4
                                        ;           Child Loop BB148_53 Depth 5
	s_wait_alu 0xfffe
	v_lshl_add_u32 v6, s36, 7, v11
	s_mov_b32 s37, s28
	s_mov_b32 s38, s35
	;; [unrolled: 1-line block ×3, first 2 shown]
	ds_load_b64 v[6:7], v6
.LBB148_53:                             ;   Parent Loop BB148_3 Depth=1
                                        ;     Parent Loop BB148_46 Depth=2
                                        ;       Parent Loop BB148_49 Depth=3
                                        ;         Parent Loop BB148_52 Depth=4
                                        ; =>        This Inner Loop Header: Depth=5
	scratch_load_b64 v[17:18], off, s37 offset:-4
	s_wait_alu 0xfffe
	v_mov_b32_e32 v9, s38
	s_add_co_i32 s39, s39, -1
	s_add_co_i32 s38, s38, -8
	ds_load_b64 v[19:20], v9
	s_wait_dscnt 0x0
	v_mul_f32_e32 v9, v20, v7
	v_mul_f32_e32 v20, v20, v6
	s_delay_alu instid0(VALU_DEP_1) | instskip(SKIP_1) | instid1(VALU_DEP_1)
	v_fmac_f32_e32 v20, v19, v7
	s_wait_loadcnt 0x0
	v_sub_f32_e32 v18, v18, v20
	v_fma_f32 v9, v19, v6, -v9
	s_delay_alu instid0(VALU_DEP_1)
	v_sub_f32_e32 v17, v17, v9
	scratch_store_b64 off, v[17:18], s37 offset:-4
	s_add_co_i32 s37, s37, 8
	s_wait_alu 0xfffe
	s_cmp_eq_u32 s39, 0
	s_cbranch_scc0 .LBB148_53
; %bb.54:                               ;   in Loop: Header=BB148_52 Depth=4
	s_add_co_i32 s36, s36, -1
	s_addk_co_i32 s35, 0xff80
	s_wait_alu 0xfffe
	s_cmp_le_i32 s36, s3
	s_cbranch_scc0 .LBB148_52
.LBB148_55:                             ;   in Loop: Header=BB148_49 Depth=3
	s_mov_b32 s35, 0
	s_mov_b32 s36, s33
	s_branch .LBB148_57
.LBB148_56:                             ;   in Loop: Header=BB148_57 Depth=4
	s_wait_alu 0xfffe
	s_mul_i32 s38, s37, 0x88
	s_add_co_i32 s36, s36, -8
	s_wait_alu 0xfffe
	v_mov_b32_e32 v9, s38
	s_lshl_b32 s38, s35, 3
	s_add_co_i32 s35, s35, 1
	s_wait_alu 0xfffe
	s_cmp_eq_u32 s35, s21
	ds_load_b64 v[17:18], v9
	s_wait_loadcnt_dscnt 0x0
	v_mul_f32_e32 v9, v18, v7
	v_mul_f32_e32 v20, v17, v7
	v_lshl_add_u32 v7, s37, 7, v11
	s_delay_alu instid0(VALU_DEP_3) | instskip(NEXT) | instid1(VALU_DEP_3)
	v_fma_f32 v19, v17, v6, -v9
	v_fmac_f32_e32 v20, v18, v6
	scratch_store_b64 off, v[19:20], s38
	ds_store_b64 v7, v[19:20]
	s_cbranch_scc1 .LBB148_48
.LBB148_57:                             ;   Parent Loop BB148_3 Depth=1
                                        ;     Parent Loop BB148_46 Depth=2
                                        ;       Parent Loop BB148_49 Depth=3
                                        ; =>      This Loop Header: Depth=4
                                        ;           Child Loop BB148_59 Depth 5
	s_wait_alu 0xfffe
	s_cmp_lg_u32 s35, 0
	s_cbranch_scc0 .LBB148_61
; %bb.58:                               ;   in Loop: Header=BB148_57 Depth=4
	s_lshl_b32 s38, s35, 3
	s_sub_co_i32 s37, s3, s35
	scratch_load_b64 v[6:7], off, s38
	s_mov_b32 s39, 0
	s_mov_b32 s40, s36
	;; [unrolled: 1-line block ×3, first 2 shown]
.LBB148_59:                             ;   Parent Loop BB148_3 Depth=1
                                        ;     Parent Loop BB148_46 Depth=2
                                        ;       Parent Loop BB148_49 Depth=3
                                        ;         Parent Loop BB148_57 Depth=4
                                        ; =>        This Inner Loop Header: Depth=5
	scratch_load_b64 v[17:18], off, s39
	s_wait_alu 0xfffe
	v_mov_b32_e32 v9, s40
	s_add_co_i32 s41, s41, -1
	s_addk_co_i32 s40, 0xff80
	s_add_co_i32 s39, s39, 8
	s_wait_alu 0xfffe
	s_cmp_eq_u32 s41, 0
	ds_load_b64 v[19:20], v9
	s_wait_loadcnt_dscnt 0x0
	v_mul_f32_e32 v9, v20, v18
	v_mul_f32_e32 v18, v19, v18
	s_delay_alu instid0(VALU_DEP_2) | instskip(NEXT) | instid1(VALU_DEP_2)
	v_fma_f32 v9, v19, v17, -v9
	v_fmac_f32_e32 v18, v20, v17
	s_delay_alu instid0(VALU_DEP_1)
	v_dual_sub_f32 v6, v6, v9 :: v_dual_sub_f32 v7, v7, v18
	scratch_store_b64 off, v[6:7], s38
	s_cbranch_scc0 .LBB148_59
; %bb.60:                               ;   in Loop: Header=BB148_57 Depth=4
	s_branch .LBB148_56
.LBB148_61:                             ;   in Loop: Header=BB148_57 Depth=4
                                        ; implicit-def: $vgpr6
                                        ; implicit-def: $sgpr37
	s_cbranch_execz .LBB148_56
; %bb.62:                               ;   in Loop: Header=BB148_57 Depth=4
	scratch_load_b64 v[6:7], off, off
	s_mov_b32 s37, s3
	s_branch .LBB148_56
.LBB148_63:                             ;   in Loop: Header=BB148_3 Depth=1
	s_wait_storecnt 0x0
	; wave barrier
	s_wait_loadcnt_dscnt 0x0
	global_inv scope:SCOPE_SE
	s_and_saveexec_b32 s3, s27
	s_cbranch_execz .LBB148_2
; %bb.64:                               ;   in Loop: Header=BB148_3 Depth=1
	v_add_co_u32 v4, vcc_lo, v4, s6
	s_wait_alu 0xfffd
	v_add_co_ci_u32_e64 v5, null, s7, v5, vcc_lo
	v_mov_b32_e32 v6, v11
	s_delay_alu instid0(VALU_DEP_3) | instskip(SKIP_1) | instid1(VALU_DEP_3)
	v_add_co_u32 v4, vcc_lo, v4, s12
	s_wait_alu 0xfffd
	v_add_co_ci_u32_e64 v5, null, s13, v5, vcc_lo
	s_mov_b32 s14, s23
	v_add_co_u32 v4, vcc_lo, v4, v2
	s_wait_alu 0xfffd
	v_add_co_ci_u32_e64 v5, null, v5, v3, vcc_lo
.LBB148_65:                             ;   Parent Loop BB148_3 Depth=1
                                        ; =>  This Inner Loop Header: Depth=2
	ds_load_b64 v[7:8], v6
	v_add_nc_u32_e32 v6, 0x80, v6
	s_add_co_i32 s14, s14, -1
	s_delay_alu instid0(SALU_CYCLE_1)
	s_cmp_lg_u32 s14, 0
	s_wait_dscnt 0x0
	flat_store_b64 v[4:5], v[7:8]
	v_add_co_u32 v4, vcc_lo, v4, 8
	s_wait_alu 0xfffd
	v_add_co_ci_u32_e64 v5, null, 0, v5, vcc_lo
	s_cbranch_scc1 .LBB148_65
	s_branch .LBB148_2
.LBB148_66:
	s_endpgm
	.section	.rodata,"a",@progbits
	.p2align	6, 0x0
	.amdhsa_kernel _ZL38rocblas_trsm_small_left_device_sharedBILi16ELi16ELb0E19rocblas_complex_numIfES1_PKPKS1_PKPS1_Ev13rocblas_fill_18rocblas_operation_17rocblas_diagonal_iiT3_T4_lilT5_lili
		.amdhsa_group_segment_fixed_size 4096
		.amdhsa_private_segment_fixed_size 144
		.amdhsa_kernarg_size 360
		.amdhsa_user_sgpr_count 2
		.amdhsa_user_sgpr_dispatch_ptr 0
		.amdhsa_user_sgpr_queue_ptr 0
		.amdhsa_user_sgpr_kernarg_segment_ptr 1
		.amdhsa_user_sgpr_dispatch_id 0
		.amdhsa_user_sgpr_private_segment_size 0
		.amdhsa_wavefront_size32 1
		.amdhsa_uses_dynamic_stack 0
		.amdhsa_enable_private_segment 1
		.amdhsa_system_sgpr_workgroup_id_x 1
		.amdhsa_system_sgpr_workgroup_id_y 0
		.amdhsa_system_sgpr_workgroup_id_z 1
		.amdhsa_system_sgpr_workgroup_info 0
		.amdhsa_system_vgpr_workitem_id 0
		.amdhsa_next_free_vgpr 169
		.amdhsa_next_free_sgpr 43
		.amdhsa_reserve_vcc 1
		.amdhsa_float_round_mode_32 0
		.amdhsa_float_round_mode_16_64 0
		.amdhsa_float_denorm_mode_32 3
		.amdhsa_float_denorm_mode_16_64 3
		.amdhsa_fp16_overflow 0
		.amdhsa_workgroup_processor_mode 1
		.amdhsa_memory_ordered 1
		.amdhsa_forward_progress 1
		.amdhsa_inst_pref_size 24
		.amdhsa_round_robin_scheduling 0
		.amdhsa_exception_fp_ieee_invalid_op 0
		.amdhsa_exception_fp_denorm_src 0
		.amdhsa_exception_fp_ieee_div_zero 0
		.amdhsa_exception_fp_ieee_overflow 0
		.amdhsa_exception_fp_ieee_underflow 0
		.amdhsa_exception_fp_ieee_inexact 0
		.amdhsa_exception_int_div_zero 0
	.end_amdhsa_kernel
	.section	.text._ZL38rocblas_trsm_small_left_device_sharedBILi16ELi16ELb0E19rocblas_complex_numIfES1_PKPKS1_PKPS1_Ev13rocblas_fill_18rocblas_operation_17rocblas_diagonal_iiT3_T4_lilT5_lili,"axG",@progbits,_ZL38rocblas_trsm_small_left_device_sharedBILi16ELi16ELb0E19rocblas_complex_numIfES1_PKPKS1_PKPS1_Ev13rocblas_fill_18rocblas_operation_17rocblas_diagonal_iiT3_T4_lilT5_lili,comdat
.Lfunc_end148:
	.size	_ZL38rocblas_trsm_small_left_device_sharedBILi16ELi16ELb0E19rocblas_complex_numIfES1_PKPKS1_PKPS1_Ev13rocblas_fill_18rocblas_operation_17rocblas_diagonal_iiT3_T4_lilT5_lili, .Lfunc_end148-_ZL38rocblas_trsm_small_left_device_sharedBILi16ELi16ELb0E19rocblas_complex_numIfES1_PKPKS1_PKPS1_Ev13rocblas_fill_18rocblas_operation_17rocblas_diagonal_iiT3_T4_lilT5_lili
                                        ; -- End function
	.set _ZL38rocblas_trsm_small_left_device_sharedBILi16ELi16ELb0E19rocblas_complex_numIfES1_PKPKS1_PKPS1_Ev13rocblas_fill_18rocblas_operation_17rocblas_diagonal_iiT3_T4_lilT5_lili.num_vgpr, 21
	.set _ZL38rocblas_trsm_small_left_device_sharedBILi16ELi16ELb0E19rocblas_complex_numIfES1_PKPKS1_PKPS1_Ev13rocblas_fill_18rocblas_operation_17rocblas_diagonal_iiT3_T4_lilT5_lili.num_agpr, 0
	.set _ZL38rocblas_trsm_small_left_device_sharedBILi16ELi16ELb0E19rocblas_complex_numIfES1_PKPKS1_PKPS1_Ev13rocblas_fill_18rocblas_operation_17rocblas_diagonal_iiT3_T4_lilT5_lili.numbered_sgpr, 43
	.set _ZL38rocblas_trsm_small_left_device_sharedBILi16ELi16ELb0E19rocblas_complex_numIfES1_PKPKS1_PKPS1_Ev13rocblas_fill_18rocblas_operation_17rocblas_diagonal_iiT3_T4_lilT5_lili.num_named_barrier, 0
	.set _ZL38rocblas_trsm_small_left_device_sharedBILi16ELi16ELb0E19rocblas_complex_numIfES1_PKPKS1_PKPS1_Ev13rocblas_fill_18rocblas_operation_17rocblas_diagonal_iiT3_T4_lilT5_lili.private_seg_size, 144
	.set _ZL38rocblas_trsm_small_left_device_sharedBILi16ELi16ELb0E19rocblas_complex_numIfES1_PKPKS1_PKPS1_Ev13rocblas_fill_18rocblas_operation_17rocblas_diagonal_iiT3_T4_lilT5_lili.uses_vcc, 1
	.set _ZL38rocblas_trsm_small_left_device_sharedBILi16ELi16ELb0E19rocblas_complex_numIfES1_PKPKS1_PKPS1_Ev13rocblas_fill_18rocblas_operation_17rocblas_diagonal_iiT3_T4_lilT5_lili.uses_flat_scratch, 0
	.set _ZL38rocblas_trsm_small_left_device_sharedBILi16ELi16ELb0E19rocblas_complex_numIfES1_PKPKS1_PKPS1_Ev13rocblas_fill_18rocblas_operation_17rocblas_diagonal_iiT3_T4_lilT5_lili.has_dyn_sized_stack, 0
	.set _ZL38rocblas_trsm_small_left_device_sharedBILi16ELi16ELb0E19rocblas_complex_numIfES1_PKPKS1_PKPS1_Ev13rocblas_fill_18rocblas_operation_17rocblas_diagonal_iiT3_T4_lilT5_lili.has_recursion, 0
	.set _ZL38rocblas_trsm_small_left_device_sharedBILi16ELi16ELb0E19rocblas_complex_numIfES1_PKPKS1_PKPS1_Ev13rocblas_fill_18rocblas_operation_17rocblas_diagonal_iiT3_T4_lilT5_lili.has_indirect_call, 0
	.section	.AMDGPU.csdata,"",@progbits
; Kernel info:
; codeLenInByte = 3032
; TotalNumSgprs: 45
; NumVgprs: 21
; ScratchSize: 144
; MemoryBound: 0
; FloatMode: 240
; IeeeMode: 1
; LDSByteSize: 4096 bytes/workgroup (compile time only)
; SGPRBlocks: 0
; VGPRBlocks: 21
; NumSGPRsForWavesPerEU: 45
; NumVGPRsForWavesPerEU: 169
; Occupancy: 8
; WaveLimiterHint : 0
; COMPUTE_PGM_RSRC2:SCRATCH_EN: 1
; COMPUTE_PGM_RSRC2:USER_SGPR: 2
; COMPUTE_PGM_RSRC2:TRAP_HANDLER: 0
; COMPUTE_PGM_RSRC2:TGID_X_EN: 1
; COMPUTE_PGM_RSRC2:TGID_Y_EN: 0
; COMPUTE_PGM_RSRC2:TGID_Z_EN: 1
; COMPUTE_PGM_RSRC2:TIDIG_COMP_CNT: 0
	.section	.text._ZL30rocblas_trsm_small_left_deviceILi16ELi16ELb0E19rocblas_complex_numIfES1_PKPKS1_PKPS1_Ev13rocblas_fill_18rocblas_operation_17rocblas_diagonal_iiT3_T4_lilT5_lili,"axG",@progbits,_ZL30rocblas_trsm_small_left_deviceILi16ELi16ELb0E19rocblas_complex_numIfES1_PKPKS1_PKPS1_Ev13rocblas_fill_18rocblas_operation_17rocblas_diagonal_iiT3_T4_lilT5_lili,comdat
	.globl	_ZL30rocblas_trsm_small_left_deviceILi16ELi16ELb0E19rocblas_complex_numIfES1_PKPKS1_PKPS1_Ev13rocblas_fill_18rocblas_operation_17rocblas_diagonal_iiT3_T4_lilT5_lili ; -- Begin function _ZL30rocblas_trsm_small_left_deviceILi16ELi16ELb0E19rocblas_complex_numIfES1_PKPKS1_PKPS1_Ev13rocblas_fill_18rocblas_operation_17rocblas_diagonal_iiT3_T4_lilT5_lili
	.p2align	8
	.type	_ZL30rocblas_trsm_small_left_deviceILi16ELi16ELb0E19rocblas_complex_numIfES1_PKPKS1_PKPS1_Ev13rocblas_fill_18rocblas_operation_17rocblas_diagonal_iiT3_T4_lilT5_lili,@function
_ZL30rocblas_trsm_small_left_deviceILi16ELi16ELb0E19rocblas_complex_numIfES1_PKPKS1_PKPS1_Ev13rocblas_fill_18rocblas_operation_17rocblas_diagonal_iiT3_T4_lilT5_lili: ; @_ZL30rocblas_trsm_small_left_deviceILi16ELi16ELb0E19rocblas_complex_numIfES1_PKPKS1_PKPS1_Ev13rocblas_fill_18rocblas_operation_17rocblas_diagonal_iiT3_T4_lilT5_lili
; %bb.0:
	s_load_b32 s26, s[0:1], 0x60
	s_lshr_b32 s2, ttmp7, 16
	s_wait_kmcnt 0x0
	s_cmp_ge_u32 s2, s26
	s_cbranch_scc1 .LBB149_63
; %bb.1:
	s_clause 0x5
	s_load_b32 s18, s[0:1], 0x30
	s_load_b128 s[12:15], s[0:1], 0x4
	s_load_b32 s3, s[0:1], 0x68
	s_load_b128 s[4:7], s[0:1], 0x20
	s_load_b128 s[8:11], s[0:1], 0x40
	s_load_b32 s20, s[0:1], 0x50
	v_dual_mov_b32 v1, 0 :: v_dual_lshlrev_b32 v10, 3, v0
	v_lshlrev_b32_e32 v2, 7, v0
	s_load_b64 s[16:17], s[0:1], 0x14
	s_mov_b32 s35, 0
                                        ; implicit-def: $sgpr36
                                        ; implicit-def: $sgpr37
	s_delay_alu instid0(VALU_DEP_1)
	v_add_nc_u32_e32 v11, v10, v2
	s_wait_kmcnt 0x0
	s_ashr_i32 s19, s18, 31
	s_cmp_lg_u32 s12, 0x71
	s_cselect_b32 s27, -1, 0
	s_lshl_b32 s0, ttmp9, 4
	s_min_i32 s28, s14, 16
	v_or_b32_e32 v2, s0, v0
	s_add_co_i32 s3, s3, -1
	s_add_co_i32 s29, s28, -1
	s_sub_co_i32 s1, s15, s0
	s_cmp_ge_u32 ttmp9, s3
	v_mad_co_i64_i32 v[2:3], null, s20, v2, 0
	s_wait_alu 0xfffe
	s_cselect_b32 s1, s1, 16
	s_cmp_lg_u32 s13, 0x84
	v_cmp_gt_i32_e64 s0, s28, v0
	s_cselect_b32 s30, -1, 0
	s_cmp_lg_u32 s12, 0x6f
	s_wait_alu 0xfffe
	v_cmp_gt_i32_e64 s1, s1, v0
	v_lshlrev_b64_e32 v[2:3], 3, v[2:3]
	s_cselect_b32 s31, -1, 0
	s_lshl_b64 s[12:13], s[6:7], 3
	s_lshl_b64 s[10:11], s[10:11], 3
	v_add_co_u32 v0, s3, s12, v10
	s_delay_alu instid0(VALU_DEP_2) | instskip(SKIP_1) | instid1(VALU_DEP_3)
	v_add_co_u32 v4, vcc_lo, v2, s10
	v_add_co_ci_u32_e64 v12, null, s13, 0, s3
	v_or_b32_e32 v13, 4, v0
	v_add_co_ci_u32_e64 v14, null, s11, v3, vcc_lo
	s_delay_alu instid0(VALU_DEP_4)
	v_or_b32_e32 v15, 4, v4
	v_mov_b32_e32 v0, 1.0
	s_lshl_b32 s34, s28, 7
	s_or_b32 s33, 0, 4
	s_lshl_b64 s[6:7], s[18:19], 3
	s_addk_co_i32 s34, 0xff80
	s_mov_b32 s13, 0
	s_branch .LBB149_4
.LBB149_2:                              ;   in Loop: Header=BB149_4 Depth=1
	s_add_co_i32 s2, s2, 0x10000
	s_wait_alu 0xfffe
	s_cmp_ge_u32 s2, s26
	s_cselect_b32 s12, -1, 0
	s_and_not1_b32 s37, s37, exec_lo
	s_wait_alu 0xfffe
	s_or_not1_b32 s12, s12, exec_lo
.LBB149_3:                              ;   in Loop: Header=BB149_4 Depth=1
	s_wait_alu 0xfffe
	s_or_b32 exec_lo, exec_lo, s3
	s_delay_alu instid0(SALU_CYCLE_1)
	s_and_b32 s3, exec_lo, s12
	s_wait_alu 0xfffe
	s_or_b32 s35, s3, s35
	s_and_not1_b32 s3, s36, exec_lo
	s_and_b32 s12, s37, exec_lo
	s_wait_alu 0xfffe
	s_or_b32 s36, s3, s12
	s_and_not1_b32 exec_lo, exec_lo, s35
	s_cbranch_execz .LBB149_62
.LBB149_4:                              ; =>This Loop Header: Depth=1
                                        ;     Child Loop BB149_7 Depth 2
                                        ;     Child Loop BB149_23 Depth 2
                                        ;       Child Loop BB149_26 Depth 3
                                        ;         Child Loop BB149_27 Depth 4
                                        ;         Child Loop BB149_30 Depth 4
                                        ;           Child Loop BB149_31 Depth 5
                                        ;         Child Loop BB149_35 Depth 4
                                        ;           Child Loop BB149_37 Depth 5
                                        ;     Child Loop BB149_45 Depth 2
                                        ;       Child Loop BB149_48 Depth 3
                                        ;         Child Loop BB149_49 Depth 4
                                        ;         Child Loop BB149_51 Depth 4
                                        ;           Child Loop BB149_52 Depth 5
                                        ;         Child Loop BB149_56 Depth 4
                                        ;           Child Loop BB149_58 Depth 5
	s_wait_alu 0xfffe
	s_mov_b32 s3, s13
	s_wait_alu 0xfffe
	s_lshl_b64 s[14:15], s[2:3], 3
	s_delay_alu instid0(SALU_CYCLE_1)
	s_add_nc_u64 s[18:19], s[8:9], s[14:15]
	global_load_b64 v[4:5], v1, s[18:19]
	s_and_saveexec_b32 s3, s0
	s_cbranch_execz .LBB149_19
; %bb.5:                                ;   in Loop: Header=BB149_4 Depth=1
	s_add_nc_u64 s[14:15], s[4:5], s[14:15]
	v_mov_b32_e32 v16, v10
	global_load_b64 v[6:7], v1, s[14:15]
	s_mov_b32 s12, s28
	s_wait_loadcnt 0x0
	v_add_co_u32 v6, vcc_lo, v6, v13
	s_wait_alu 0xfffd
	v_add_co_ci_u32_e64 v7, null, v7, v12, vcc_lo
	s_branch .LBB149_7
.LBB149_6:                              ;   in Loop: Header=BB149_7 Depth=2
	flat_load_b32 v8, v[6:7] offset:-4
	v_add_co_u32 v6, vcc_lo, v6, s6
	s_wait_alu 0xfffd
	v_add_co_ci_u32_e64 v7, null, s7, v7, vcc_lo
	s_add_co_i32 s12, s12, -1
	s_wait_alu 0xfffe
	s_cmp_eq_u32 s12, 0
	s_wait_loadcnt_dscnt 0x0
	ds_store_b64 v16, v[8:9]
	v_add_nc_u32_e32 v16, 0x80, v16
	s_cbranch_scc1 .LBB149_11
.LBB149_7:                              ;   Parent Loop BB149_4 Depth=1
                                        ; =>  This Inner Loop Header: Depth=2
	s_and_b32 vcc_lo, exec_lo, s27
	s_mov_b32 s14, -1
                                        ; implicit-def: $vgpr9
	s_wait_alu 0xfffe
	s_cbranch_vccz .LBB149_9
; %bb.8:                                ;   in Loop: Header=BB149_7 Depth=2
	flat_load_b32 v9, v[6:7]
	s_mov_b32 s14, 0
.LBB149_9:                              ;   in Loop: Header=BB149_7 Depth=2
	s_delay_alu instid0(SALU_CYCLE_1)
	s_and_not1_b32 vcc_lo, exec_lo, s14
	s_wait_alu 0xfffe
	s_cbranch_vccnz .LBB149_6
; %bb.10:                               ;   in Loop: Header=BB149_7 Depth=2
	flat_load_b32 v8, v[6:7]
	s_wait_loadcnt_dscnt 0x0
	v_xor_b32_e32 v9, 0x80000000, v8
	s_branch .LBB149_6
.LBB149_11:                             ;   in Loop: Header=BB149_4 Depth=1
	s_and_b32 vcc_lo, exec_lo, s30
	s_mov_b32 s12, -1
	s_wait_alu 0xfffe
	s_cbranch_vccz .LBB149_17
; %bb.12:                               ;   in Loop: Header=BB149_4 Depth=1
	ds_load_b64 v[6:7], v11
                                        ; implicit-def: $vgpr8
	s_wait_dscnt 0x0
	v_cmp_ngt_f32_e64 s12, |v6|, |v7|
	s_and_saveexec_b32 s14, s12
	s_delay_alu instid0(SALU_CYCLE_1)
	s_xor_b32 s12, exec_lo, s14
	s_cbranch_execz .LBB149_14
; %bb.13:                               ;   in Loop: Header=BB149_4 Depth=1
	v_div_scale_f32 v8, null, v7, v7, v6
	v_div_scale_f32 v17, vcc_lo, v6, v7, v6
	s_delay_alu instid0(VALU_DEP_2) | instskip(NEXT) | instid1(TRANS32_DEP_1)
	v_rcp_f32_e32 v9, v8
	v_fma_f32 v16, -v8, v9, 1.0
	s_delay_alu instid0(VALU_DEP_1) | instskip(NEXT) | instid1(VALU_DEP_1)
	v_fmac_f32_e32 v9, v16, v9
	v_mul_f32_e32 v16, v17, v9
	s_delay_alu instid0(VALU_DEP_1) | instskip(NEXT) | instid1(VALU_DEP_1)
	v_fma_f32 v18, -v8, v16, v17
	v_fmac_f32_e32 v16, v18, v9
	s_delay_alu instid0(VALU_DEP_1) | instskip(SKIP_1) | instid1(VALU_DEP_1)
	v_fma_f32 v8, -v8, v16, v17
	s_wait_alu 0xfffd
	v_div_fmas_f32 v8, v8, v9, v16
	s_delay_alu instid0(VALU_DEP_1) | instskip(NEXT) | instid1(VALU_DEP_1)
	v_div_fixup_f32 v8, v8, v7, v6
	v_fmac_f32_e32 v7, v6, v8
	s_delay_alu instid0(VALU_DEP_1) | instskip(SKIP_1) | instid1(VALU_DEP_2)
	v_div_scale_f32 v6, null, v7, v7, 1.0
	v_div_scale_f32 v17, vcc_lo, 1.0, v7, 1.0
	v_rcp_f32_e32 v9, v6
	s_delay_alu instid0(TRANS32_DEP_1) | instskip(NEXT) | instid1(VALU_DEP_1)
	v_fma_f32 v16, -v6, v9, 1.0
	v_fmac_f32_e32 v9, v16, v9
	s_delay_alu instid0(VALU_DEP_1) | instskip(NEXT) | instid1(VALU_DEP_1)
	v_mul_f32_e32 v16, v17, v9
	v_fma_f32 v18, -v6, v16, v17
	s_delay_alu instid0(VALU_DEP_1) | instskip(NEXT) | instid1(VALU_DEP_1)
	v_fmac_f32_e32 v16, v18, v9
	v_fma_f32 v6, -v6, v16, v17
	s_wait_alu 0xfffd
	s_delay_alu instid0(VALU_DEP_1) | instskip(SKIP_1) | instid1(VALU_DEP_2)
	v_div_fmas_f32 v6, v6, v9, v16
	v_add_f32_e32 v9, 0, v8
	v_div_fixup_f32 v6, v6, v7, 1.0
	v_fma_f32 v7, v8, 0, -1.0
	s_delay_alu instid0(VALU_DEP_2) | instskip(NEXT) | instid1(VALU_DEP_2)
	v_mul_f32_e32 v8, v9, v6
	v_mul_f32_e32 v9, v7, v6
                                        ; implicit-def: $vgpr6_vgpr7
.LBB149_14:                             ;   in Loop: Header=BB149_4 Depth=1
	s_wait_alu 0xfffe
	s_and_not1_saveexec_b32 s12, s12
	s_cbranch_execz .LBB149_16
; %bb.15:                               ;   in Loop: Header=BB149_4 Depth=1
	v_div_scale_f32 v8, null, v6, v6, v7
	v_div_scale_f32 v17, vcc_lo, v7, v6, v7
	s_delay_alu instid0(VALU_DEP_2) | instskip(NEXT) | instid1(TRANS32_DEP_1)
	v_rcp_f32_e32 v9, v8
	v_fma_f32 v16, -v8, v9, 1.0
	s_delay_alu instid0(VALU_DEP_1) | instskip(NEXT) | instid1(VALU_DEP_1)
	v_fmac_f32_e32 v9, v16, v9
	v_mul_f32_e32 v16, v17, v9
	s_delay_alu instid0(VALU_DEP_1) | instskip(NEXT) | instid1(VALU_DEP_1)
	v_fma_f32 v18, -v8, v16, v17
	v_fmac_f32_e32 v16, v18, v9
	s_delay_alu instid0(VALU_DEP_1) | instskip(SKIP_1) | instid1(VALU_DEP_1)
	v_fma_f32 v8, -v8, v16, v17
	s_wait_alu 0xfffd
	v_div_fmas_f32 v8, v8, v9, v16
	s_delay_alu instid0(VALU_DEP_1) | instskip(NEXT) | instid1(VALU_DEP_1)
	v_div_fixup_f32 v9, v8, v6, v7
	v_fmac_f32_e32 v6, v7, v9
	s_delay_alu instid0(VALU_DEP_1) | instskip(SKIP_1) | instid1(VALU_DEP_2)
	v_div_scale_f32 v7, null, v6, v6, 1.0
	v_div_scale_f32 v17, vcc_lo, 1.0, v6, 1.0
	v_rcp_f32_e32 v8, v7
	s_delay_alu instid0(TRANS32_DEP_1) | instskip(NEXT) | instid1(VALU_DEP_1)
	v_fma_f32 v16, -v7, v8, 1.0
	v_fmac_f32_e32 v8, v16, v8
	s_delay_alu instid0(VALU_DEP_1) | instskip(NEXT) | instid1(VALU_DEP_1)
	v_mul_f32_e32 v16, v17, v8
	v_fma_f32 v18, -v7, v16, v17
	s_delay_alu instid0(VALU_DEP_1) | instskip(NEXT) | instid1(VALU_DEP_1)
	v_fmac_f32_e32 v16, v18, v8
	v_fma_f32 v7, -v7, v16, v17
	s_wait_alu 0xfffd
	s_delay_alu instid0(VALU_DEP_1) | instskip(SKIP_1) | instid1(VALU_DEP_2)
	v_div_fmas_f32 v7, v7, v8, v16
	v_fma_f32 v8, v9, 0, 1.0
	v_div_fixup_f32 v6, v7, v6, 1.0
	s_delay_alu instid0(VALU_DEP_1)
	v_mul_f32_e32 v8, v8, v6
	v_mul_f32_e64 v9, -v9, v6
.LBB149_16:                             ;   in Loop: Header=BB149_4 Depth=1
	s_wait_alu 0xfffe
	s_or_b32 exec_lo, exec_lo, s12
	s_mov_b32 s12, 0
	ds_store_b64 v11, v[8:9]
.LBB149_17:                             ;   in Loop: Header=BB149_4 Depth=1
	s_wait_alu 0xfffe
	s_and_b32 vcc_lo, exec_lo, s12
	s_wait_alu 0xfffe
	s_cbranch_vccz .LBB149_19
; %bb.18:                               ;   in Loop: Header=BB149_4 Depth=1
	ds_store_b64 v11, v[0:1]
.LBB149_19:                             ;   in Loop: Header=BB149_4 Depth=1
	s_wait_alu 0xfffe
	s_or_b32 exec_lo, exec_lo, s3
	s_mov_b32 s12, -1
	s_or_b32 s37, s37, exec_lo
	; wave barrier
	s_wait_loadcnt_dscnt 0x0
	global_inv scope:SCOPE_SE
	s_and_saveexec_b32 s3, s1
	s_cbranch_execz .LBB149_3
; %bb.20:                               ;   in Loop: Header=BB149_4 Depth=1
	v_add_co_u32 v6, vcc_lo, v4, s10
	s_wait_alu 0xfffd
	v_add_co_ci_u32_e64 v7, null, s11, v5, vcc_lo
	s_delay_alu instid0(VALU_DEP_2) | instskip(SKIP_1) | instid1(VALU_DEP_2)
	v_add_co_u32 v16, vcc_lo, v6, v2
	s_wait_alu 0xfffd
	v_add_co_ci_u32_e64 v17, null, v7, v3, vcc_lo
	s_and_not1_b32 vcc_lo, exec_lo, s31
	s_wait_alu 0xfffe
	s_cbranch_vccnz .LBB149_42
; %bb.21:                               ;   in Loop: Header=BB149_4 Depth=1
	v_add_co_u32 v18, vcc_lo, v4, v15
	s_wait_alu 0xfffd
	v_add_co_ci_u32_e64 v19, null, v5, v14, vcc_lo
	s_mov_b32 s18, 0
	s_mov_b32 s14, 0
	s_branch .LBB149_23
.LBB149_22:                             ;   in Loop: Header=BB149_23 Depth=2
	s_cmp_lt_i32 s14, s28
	s_cselect_b32 s12, -1, 0
	s_add_co_i32 s15, s18, 1
	s_cmp_lt_u32 s18, 2
	s_cselect_b32 s18, -1, 0
	s_wait_alu 0xfffe
	s_and_b32 s12, s12, s18
	s_mov_b32 s18, s15
	s_wait_alu 0xfffe
	s_and_b32 vcc_lo, exec_lo, s12
	s_wait_alu 0xfffe
	s_cbranch_vccz .LBB149_41
.LBB149_23:                             ;   Parent Loop BB149_4 Depth=1
                                        ; =>  This Loop Header: Depth=2
                                        ;       Child Loop BB149_26 Depth 3
                                        ;         Child Loop BB149_27 Depth 4
                                        ;         Child Loop BB149_30 Depth 4
                                        ;           Child Loop BB149_31 Depth 5
                                        ;         Child Loop BB149_35 Depth 4
                                        ;           Child Loop BB149_37 Depth 5
	s_mov_b32 s19, s13
	s_getpc_b64 s[20:21]
	s_wait_alu 0xfffe
	s_sext_i32_i16 s21, s21
	s_add_co_u32 s20, s20, __const._ZL30rocblas_trsm_small_left_deviceILi16ELi16ELb0E19rocblas_complex_numIfES1_PKPKS1_PKPS1_Ev13rocblas_fill_18rocblas_operation_17rocblas_diagonal_iiT3_T4_lilT5_lili.step_sizes@rel32@lo+12
	s_wait_alu 0xfffe
	s_add_co_ci_u32 s21, s21, __const._ZL30rocblas_trsm_small_left_deviceILi16ELi16ELb0E19rocblas_complex_numIfES1_PKPKS1_PKPS1_Ev13rocblas_fill_18rocblas_operation_17rocblas_diagonal_iiT3_T4_lilT5_lili.step_sizes@rel32@hi+24
	s_lshl_b64 s[22:23], s[18:19], 2
	s_wait_alu 0xfffe
	s_add_nc_u64 s[20:21], s[20:21], s[22:23]
	s_load_b32 s20, s[20:21], 0x0
	s_wait_kmcnt 0x0
	s_add_co_i32 s19, s20, -1
	s_wait_alu 0xfffe
	s_add_co_i32 s12, s19, s14
	s_wait_alu 0xfffe
	s_cmp_ge_i32 s12, s28
	s_cbranch_scc1 .LBB149_22
; %bb.24:                               ;   in Loop: Header=BB149_23 Depth=2
	s_ashr_i32 s15, s14, 31
	s_ashr_i32 s21, s20, 31
	s_lshl_b64 s[22:23], s[14:15], 3
	s_max_i32 s38, s20, 1
	s_wait_alu 0xfffe
	v_add_co_u32 v6, vcc_lo, v18, s22
	s_wait_alu 0xfffd
	v_add_co_ci_u32_e64 v7, null, s23, v19, vcc_lo
	s_lshl_b64 s[22:23], s[20:21], 3
	s_lshl_b32 s15, s14, 7
	s_lshl_b32 s21, s20, 7
	s_mul_i32 s39, s14, 0x88
	s_mul_i32 s40, s20, 0x88
	s_branch .LBB149_26
.LBB149_25:                             ;   in Loop: Header=BB149_26 Depth=3
	v_add_co_u32 v6, vcc_lo, v6, s22
	s_add_co_i32 s14, s14, s20
	s_wait_alu 0xfffd
	v_add_co_ci_u32_e64 v7, null, s23, v7, vcc_lo
	s_add_co_i32 s12, s19, s14
	s_add_co_i32 s15, s15, s21
	;; [unrolled: 1-line block ×3, first 2 shown]
	s_wait_alu 0xfffe
	s_cmp_ge_i32 s12, s28
	s_cbranch_scc1 .LBB149_22
.LBB149_26:                             ;   Parent Loop BB149_4 Depth=1
                                        ;     Parent Loop BB149_23 Depth=2
                                        ; =>    This Loop Header: Depth=3
                                        ;         Child Loop BB149_27 Depth 4
                                        ;         Child Loop BB149_30 Depth 4
                                        ;           Child Loop BB149_31 Depth 5
                                        ;         Child Loop BB149_35 Depth 4
                                        ;           Child Loop BB149_37 Depth 5
	v_dual_mov_b32 v9, v7 :: v_dual_mov_b32 v8, v6
	s_mov_b32 s12, 4
	s_mov_b32 s24, s38
.LBB149_27:                             ;   Parent Loop BB149_4 Depth=1
                                        ;     Parent Loop BB149_23 Depth=2
                                        ;       Parent Loop BB149_26 Depth=3
                                        ; =>      This Inner Loop Header: Depth=4
	flat_load_b64 v[20:21], v[8:9] offset:-4
	v_add_co_u32 v8, vcc_lo, v8, 8
	s_wait_alu 0xfffd
	v_add_co_ci_u32_e64 v9, null, 0, v9, vcc_lo
	s_wait_alu 0xfffe
	s_add_co_i32 s24, s24, -1
	s_mov_b32 s25, s12
	s_add_co_i32 s12, s12, 8
	s_wait_alu 0xfffe
	s_cmp_eq_u32 s24, 0
	s_wait_loadcnt_dscnt 0x0
	v_mul_f32_e32 v22, s16, v21
	s_delay_alu instid0(VALU_DEP_1) | instskip(NEXT) | instid1(VALU_DEP_1)
	v_dual_mul_f32 v23, s17, v21 :: v_dual_fmac_f32 v22, s17, v20
	v_fma_f32 v21, v20, s16, -v23
	scratch_store_b64 off, v[21:22], s25 offset:-4
	s_cbranch_scc0 .LBB149_27
; %bb.28:                               ;   in Loop: Header=BB149_26 Depth=3
	s_cmp_lt_i32 s14, 1
	s_cbranch_scc1 .LBB149_33
; %bb.29:                               ;   in Loop: Header=BB149_26 Depth=3
	s_mov_b32 s12, 0
	s_mov_b32 s24, s15
.LBB149_30:                             ;   Parent Loop BB149_4 Depth=1
                                        ;     Parent Loop BB149_23 Depth=2
                                        ;       Parent Loop BB149_26 Depth=3
                                        ; =>      This Loop Header: Depth=4
                                        ;           Child Loop BB149_31 Depth 5
	s_wait_alu 0xfffe
	s_lshl_b64 s[42:43], s[12:13], 3
	s_mov_b32 s25, s33
	s_wait_alu 0xfffe
	v_add_co_u32 v8, vcc_lo, v16, s42
	s_wait_alu 0xfffd
	v_add_co_ci_u32_e64 v9, null, s43, v17, vcc_lo
	s_mov_b32 s41, s24
	s_mov_b32 s42, s38
	flat_load_b64 v[8:9], v[8:9]
.LBB149_31:                             ;   Parent Loop BB149_4 Depth=1
                                        ;     Parent Loop BB149_23 Depth=2
                                        ;       Parent Loop BB149_26 Depth=3
                                        ;         Parent Loop BB149_30 Depth=4
                                        ; =>        This Inner Loop Header: Depth=5
	scratch_load_b64 v[20:21], off, s25 offset:-4
	s_wait_alu 0xfffe
	v_mov_b32_e32 v22, s41
	s_add_co_i32 s42, s42, -1
	s_addk_co_i32 s41, 0x80
	ds_load_b64 v[22:23], v22
	s_wait_loadcnt_dscnt 0x100
	v_mul_f32_e32 v24, v23, v9
	v_mul_f32_e32 v23, v23, v8
	s_delay_alu instid0(VALU_DEP_1) | instskip(SKIP_1) | instid1(VALU_DEP_1)
	v_fmac_f32_e32 v23, v22, v9
	s_wait_loadcnt 0x0
	v_sub_f32_e32 v21, v21, v23
	v_fma_f32 v24, v22, v8, -v24
	s_delay_alu instid0(VALU_DEP_1)
	v_sub_f32_e32 v20, v20, v24
	scratch_store_b64 off, v[20:21], s25 offset:-4
	s_add_co_i32 s25, s25, 8
	s_wait_alu 0xfffe
	s_cmp_eq_u32 s42, 0
	s_cbranch_scc0 .LBB149_31
; %bb.32:                               ;   in Loop: Header=BB149_30 Depth=4
	s_add_co_i32 s12, s12, 1
	s_add_co_i32 s24, s24, 8
	s_wait_alu 0xfffe
	s_cmp_eq_u32 s12, s14
	s_cbranch_scc0 .LBB149_30
.LBB149_33:                             ;   in Loop: Header=BB149_26 Depth=3
	s_mov_b32 s12, 0
	s_mov_b32 s41, s39
	s_branch .LBB149_35
.LBB149_34:                             ;   in Loop: Header=BB149_35 Depth=4
	s_wait_alu 0xfffe
	s_mul_i32 s25, s24, 0x88
	s_lshl_b32 s42, s12, 3
	s_wait_alu 0xfffe
	v_mov_b32_e32 v20, s25
	s_ashr_i32 s25, s24, 31
	s_add_co_i32 s12, s12, 1
	s_wait_alu 0xfffe
	s_lshl_b64 s[24:25], s[24:25], 3
	s_addk_co_i32 s41, 0x80
	ds_load_b64 v[20:21], v20
	s_cmp_eq_u32 s12, s38
	s_wait_loadcnt_dscnt 0x0
	v_mul_f32_e32 v22, v21, v9
	v_mul_f32_e32 v23, v20, v9
	s_delay_alu instid0(VALU_DEP_2) | instskip(NEXT) | instid1(VALU_DEP_2)
	v_fma_f32 v22, v20, v8, -v22
	v_fmac_f32_e32 v23, v21, v8
	s_wait_alu 0xfffe
	v_add_co_u32 v8, vcc_lo, v16, s24
	s_wait_alu 0xfffd
	v_add_co_ci_u32_e64 v9, null, s25, v17, vcc_lo
	scratch_store_b64 off, v[22:23], s42
	flat_store_b64 v[8:9], v[22:23]
	s_cbranch_scc1 .LBB149_25
.LBB149_35:                             ;   Parent Loop BB149_4 Depth=1
                                        ;     Parent Loop BB149_23 Depth=2
                                        ;       Parent Loop BB149_26 Depth=3
                                        ; =>      This Loop Header: Depth=4
                                        ;           Child Loop BB149_37 Depth 5
	s_wait_alu 0xfffe
	s_cmp_lg_u32 s12, 0
	s_cbranch_scc0 .LBB149_39
; %bb.36:                               ;   in Loop: Header=BB149_35 Depth=4
	s_lshl_b32 s25, s12, 3
	s_add_co_i32 s24, s12, s14
	scratch_load_b64 v[8:9], off, s25
	s_mov_b32 s42, 0
	s_mov_b32 s43, s41
	;; [unrolled: 1-line block ×3, first 2 shown]
.LBB149_37:                             ;   Parent Loop BB149_4 Depth=1
                                        ;     Parent Loop BB149_23 Depth=2
                                        ;       Parent Loop BB149_26 Depth=3
                                        ;         Parent Loop BB149_35 Depth=4
                                        ; =>        This Inner Loop Header: Depth=5
	scratch_load_b64 v[20:21], off, s42
	s_wait_alu 0xfffe
	v_mov_b32_e32 v22, s43
	s_add_co_i32 s44, s44, -1
	s_add_co_i32 s42, s42, 8
	s_add_co_i32 s43, s43, 8
	s_cmp_eq_u32 s44, 0
	ds_load_b64 v[22:23], v22
	s_wait_loadcnt_dscnt 0x0
	v_mul_f32_e32 v24, v23, v21
	v_mul_f32_e32 v21, v22, v21
	s_delay_alu instid0(VALU_DEP_2) | instskip(NEXT) | instid1(VALU_DEP_1)
	v_fma_f32 v22, v22, v20, -v24
	v_dual_sub_f32 v8, v8, v22 :: v_dual_fmac_f32 v21, v23, v20
	s_delay_alu instid0(VALU_DEP_1)
	v_sub_f32_e32 v9, v9, v21
	scratch_store_b64 off, v[8:9], s25
	s_cbranch_scc0 .LBB149_37
; %bb.38:                               ;   in Loop: Header=BB149_35 Depth=4
	s_branch .LBB149_34
.LBB149_39:                             ;   in Loop: Header=BB149_35 Depth=4
                                        ; implicit-def: $vgpr8
                                        ; implicit-def: $sgpr24
	s_cbranch_execz .LBB149_34
; %bb.40:                               ;   in Loop: Header=BB149_35 Depth=4
	scratch_load_b64 v[8:9], off, off
	s_mov_b32 s24, s14
	s_branch .LBB149_34
.LBB149_41:                             ;   in Loop: Header=BB149_4 Depth=1
	s_mov_b32 s12, 0
.LBB149_42:                             ;   in Loop: Header=BB149_4 Depth=1
	s_wait_alu 0xfffe
	s_and_b32 vcc_lo, exec_lo, s12
	s_wait_alu 0xfffe
	s_cbranch_vccz .LBB149_2
; %bb.43:                               ;   in Loop: Header=BB149_4 Depth=1
	v_add_co_u32 v6, vcc_lo, v4, v15
	s_wait_alu 0xfffd
	v_add_co_ci_u32_e64 v7, null, v5, v14, vcc_lo
	s_mov_b32 s12, 0
	s_mov_b32 s14, s29
	s_branch .LBB149_45
.LBB149_44:                             ;   in Loop: Header=BB149_45 Depth=2
	s_cmp_gt_i32 s14, -1
	s_cselect_b32 s15, -1, 0
	s_add_co_i32 s18, s12, 1
	s_cmp_lt_u32 s12, 2
	s_cselect_b32 s12, -1, 0
	s_wait_alu 0xfffe
	s_and_b32 s12, s15, s12
	s_wait_alu 0xfffe
	s_and_not1_b32 vcc_lo, exec_lo, s12
	s_mov_b32 s12, s18
	s_wait_alu 0xfffe
	s_cbranch_vccnz .LBB149_2
.LBB149_45:                             ;   Parent Loop BB149_4 Depth=1
                                        ; =>  This Loop Header: Depth=2
                                        ;       Child Loop BB149_48 Depth 3
                                        ;         Child Loop BB149_49 Depth 4
                                        ;         Child Loop BB149_51 Depth 4
                                        ;           Child Loop BB149_52 Depth 5
                                        ;         Child Loop BB149_56 Depth 4
                                        ;           Child Loop BB149_58 Depth 5
	s_getpc_b64 s[18:19]
	s_wait_alu 0xfffe
	s_sext_i32_i16 s19, s19
	s_add_co_u32 s18, s18, __const._ZL30rocblas_trsm_small_left_deviceILi16ELi16ELb0E19rocblas_complex_numIfES1_PKPKS1_PKPS1_Ev13rocblas_fill_18rocblas_operation_17rocblas_diagonal_iiT3_T4_lilT5_lili.step_sizes@rel32@lo+12
	s_wait_alu 0xfffe
	s_add_co_ci_u32 s19, s19, __const._ZL30rocblas_trsm_small_left_deviceILi16ELi16ELb0E19rocblas_complex_numIfES1_PKPKS1_PKPS1_Ev13rocblas_fill_18rocblas_operation_17rocblas_diagonal_iiT3_T4_lilT5_lili.step_sizes@rel32@hi+24
	s_lshl_b64 s[20:21], s[12:13], 2
	s_wait_alu 0xfffe
	s_add_nc_u64 s[18:19], s[18:19], s[20:21]
	s_load_b32 s22, s[18:19], 0x0
	s_wait_kmcnt 0x0
	s_add_co_i32 s23, s22, -1
	s_wait_alu 0xfffe
	s_cmp_lt_i32 s14, s23
	s_cbranch_scc1 .LBB149_44
; %bb.46:                               ;   in Loop: Header=BB149_45 Depth=2
	s_lshl_b32 s15, s14, 3
	s_lshl_b32 s18, s22, 3
	s_max_i32 s24, s22, 1
	s_add_co_i32 s25, s34, s15
	s_wait_alu 0xfffe
	s_sub_co_i32 s38, 0, s18
	s_mul_i32 s39, s14, 0x88
	s_mul_i32 s40, s22, 0xffffff78
	s_branch .LBB149_48
.LBB149_47:                             ;   in Loop: Header=BB149_48 Depth=3
	s_sub_co_i32 s14, s14, s22
	s_add_co_i32 s25, s25, s38
	s_add_co_i32 s39, s39, s40
	s_cmp_lt_i32 s14, s23
	s_cbranch_scc1 .LBB149_44
.LBB149_48:                             ;   Parent Loop BB149_4 Depth=1
                                        ;     Parent Loop BB149_45 Depth=2
                                        ; =>    This Loop Header: Depth=3
                                        ;         Child Loop BB149_49 Depth 4
                                        ;         Child Loop BB149_51 Depth 4
                                        ;           Child Loop BB149_52 Depth 5
                                        ;         Child Loop BB149_56 Depth 4
                                        ;           Child Loop BB149_58 Depth 5
	s_ashr_i32 s15, s14, 31
	s_delay_alu instid0(SALU_CYCLE_1)
	s_lshl_b64 s[18:19], s[14:15], 3
	s_wait_alu 0xfffe
	v_add_co_u32 v4, vcc_lo, v6, s18
	s_wait_alu 0xfffd
	v_add_co_ci_u32_e64 v5, null, s19, v7, vcc_lo
	s_mov_b32 s18, 4
	s_mov_b32 s19, s24
.LBB149_49:                             ;   Parent Loop BB149_4 Depth=1
                                        ;     Parent Loop BB149_45 Depth=2
                                        ;       Parent Loop BB149_48 Depth=3
                                        ; =>      This Inner Loop Header: Depth=4
	flat_load_b64 v[8:9], v[4:5] offset:-4
	v_add_co_u32 v4, vcc_lo, v4, -8
	s_wait_alu 0xfffd
	v_add_co_ci_u32_e64 v5, null, -1, v5, vcc_lo
	s_wait_alu 0xfffe
	s_add_co_i32 s19, s19, -1
	s_mov_b32 s20, s18
	s_add_co_i32 s18, s18, 8
	s_wait_alu 0xfffe
	s_cmp_eq_u32 s19, 0
	s_wait_loadcnt_dscnt 0x0
	v_mul_f32_e32 v19, s16, v9
	s_delay_alu instid0(VALU_DEP_1) | instskip(NEXT) | instid1(VALU_DEP_1)
	v_dual_mul_f32 v18, s17, v9 :: v_dual_fmac_f32 v19, s17, v8
	v_fma_f32 v18, v8, s16, -v18
	scratch_store_b64 off, v[18:19], s20 offset:-4
	s_cbranch_scc0 .LBB149_49
; %bb.50:                               ;   in Loop: Header=BB149_48 Depth=3
	s_cmp_le_i32 s29, s14
	s_mov_b32 s20, s25
	s_mov_b32 s18, s29
	s_cbranch_scc1 .LBB149_54
.LBB149_51:                             ;   Parent Loop BB149_4 Depth=1
                                        ;     Parent Loop BB149_45 Depth=2
                                        ;       Parent Loop BB149_48 Depth=3
                                        ; =>      This Loop Header: Depth=4
                                        ;           Child Loop BB149_52 Depth 5
	s_wait_alu 0xfffe
	s_ashr_i32 s19, s18, 31
	s_mov_b32 s21, s20
	s_wait_alu 0xfffe
	s_lshl_b64 s[42:43], s[18:19], 3
	s_mov_b32 s19, s33
	s_wait_alu 0xfffe
	v_add_co_u32 v4, vcc_lo, v16, s42
	s_wait_alu 0xfffd
	v_add_co_ci_u32_e64 v5, null, s43, v17, vcc_lo
	s_mov_b32 s41, s24
	flat_load_b64 v[4:5], v[4:5]
.LBB149_52:                             ;   Parent Loop BB149_4 Depth=1
                                        ;     Parent Loop BB149_45 Depth=2
                                        ;       Parent Loop BB149_48 Depth=3
                                        ;         Parent Loop BB149_51 Depth=4
                                        ; =>        This Inner Loop Header: Depth=5
	scratch_load_b64 v[8:9], off, s19 offset:-4
	v_mov_b32_e32 v18, s21
	s_wait_alu 0xfffe
	s_add_co_i32 s41, s41, -1
	s_add_co_i32 s21, s21, -8
	ds_load_b64 v[18:19], v18
	s_wait_loadcnt_dscnt 0x100
	v_mul_f32_e32 v20, v19, v5
	v_mul_f32_e32 v19, v19, v4
	s_delay_alu instid0(VALU_DEP_1) | instskip(SKIP_1) | instid1(VALU_DEP_1)
	v_fmac_f32_e32 v19, v18, v5
	s_wait_loadcnt 0x0
	v_sub_f32_e32 v9, v9, v19
	v_fma_f32 v20, v18, v4, -v20
	s_delay_alu instid0(VALU_DEP_1)
	v_sub_f32_e32 v8, v8, v20
	scratch_store_b64 off, v[8:9], s19 offset:-4
	s_add_co_i32 s19, s19, 8
	s_wait_alu 0xfffe
	s_cmp_eq_u32 s41, 0
	s_cbranch_scc0 .LBB149_52
; %bb.53:                               ;   in Loop: Header=BB149_51 Depth=4
	s_add_co_i32 s18, s18, -1
	s_addk_co_i32 s20, 0xff80
	s_wait_alu 0xfffe
	s_cmp_le_i32 s18, s14
	s_cbranch_scc0 .LBB149_51
.LBB149_54:                             ;   in Loop: Header=BB149_48 Depth=3
	s_mov_b32 s41, 0
	s_mov_b32 s42, s39
	s_branch .LBB149_56
.LBB149_55:                             ;   in Loop: Header=BB149_56 Depth=4
	s_wait_alu 0xfffe
	s_mulk_i32 s20, 0x88
	s_lshl_b64 s[18:19], s[18:19], 3
	s_wait_alu 0xfffe
	v_mov_b32_e32 v8, s20
	s_lshl_b32 s20, s41, 3
	s_add_co_i32 s41, s41, 1
	s_add_co_i32 s42, s42, -8
	s_wait_alu 0xfffe
	s_cmp_eq_u32 s41, s24
	ds_load_b64 v[8:9], v8
	s_wait_loadcnt_dscnt 0x0
	v_mul_f32_e32 v18, v9, v5
	v_mul_f32_e32 v19, v8, v5
	s_delay_alu instid0(VALU_DEP_2) | instskip(NEXT) | instid1(VALU_DEP_2)
	v_fma_f32 v18, v8, v4, -v18
	v_fmac_f32_e32 v19, v9, v4
	v_add_co_u32 v4, vcc_lo, v16, s18
	s_wait_alu 0xfffd
	v_add_co_ci_u32_e64 v5, null, s19, v17, vcc_lo
	scratch_store_b64 off, v[18:19], s20
	flat_store_b64 v[4:5], v[18:19]
	s_cbranch_scc1 .LBB149_47
.LBB149_56:                             ;   Parent Loop BB149_4 Depth=1
                                        ;     Parent Loop BB149_45 Depth=2
                                        ;       Parent Loop BB149_48 Depth=3
                                        ; =>      This Loop Header: Depth=4
                                        ;           Child Loop BB149_58 Depth 5
	s_wait_alu 0xfffe
	s_cmp_lg_u32 s41, 0
	s_cbranch_scc0 .LBB149_60
; %bb.57:                               ;   in Loop: Header=BB149_56 Depth=4
	s_lshl_b32 s18, s41, 3
	s_mov_b32 s19, 0
	scratch_load_b64 v[4:5], off, s18
	s_mov_b32 s20, s42
	s_mov_b32 s21, s41
.LBB149_58:                             ;   Parent Loop BB149_4 Depth=1
                                        ;     Parent Loop BB149_45 Depth=2
                                        ;       Parent Loop BB149_48 Depth=3
                                        ;         Parent Loop BB149_56 Depth=4
                                        ; =>        This Inner Loop Header: Depth=5
	scratch_load_b64 v[8:9], off, s19
	s_wait_alu 0xfffe
	v_mov_b32_e32 v18, s20
	s_add_co_i32 s21, s21, -1
	s_addk_co_i32 s20, 0xff80
	s_add_co_i32 s19, s19, 8
	s_wait_alu 0xfffe
	s_cmp_eq_u32 s21, 0
	ds_load_b64 v[18:19], v18
	s_wait_loadcnt_dscnt 0x0
	v_mul_f32_e32 v20, v19, v9
	v_mul_f32_e32 v9, v18, v9
	s_delay_alu instid0(VALU_DEP_2) | instskip(NEXT) | instid1(VALU_DEP_1)
	v_fma_f32 v18, v18, v8, -v20
	v_dual_sub_f32 v4, v4, v18 :: v_dual_fmac_f32 v9, v19, v8
	s_delay_alu instid0(VALU_DEP_1)
	v_sub_f32_e32 v5, v5, v9
	scratch_store_b64 off, v[4:5], s18
	s_cbranch_scc0 .LBB149_58
; %bb.59:                               ;   in Loop: Header=BB149_56 Depth=4
	s_sub_co_i32 s20, s14, s41
	s_wait_alu 0xfffe
	s_ashr_i32 s21, s20, 31
	s_wait_alu 0xfffe
	s_mov_b64 s[18:19], s[20:21]
	s_branch .LBB149_55
.LBB149_60:                             ;   in Loop: Header=BB149_56 Depth=4
                                        ; implicit-def: $vgpr4
                                        ; implicit-def: $sgpr20
                                        ; implicit-def: $sgpr18_sgpr19
	s_cbranch_execz .LBB149_55
; %bb.61:                               ;   in Loop: Header=BB149_56 Depth=4
	scratch_load_b64 v[4:5], off, off
	s_mov_b64 s[18:19], s[14:15]
	s_mov_b32 s20, s14
	s_branch .LBB149_55
.LBB149_62:
	s_or_b32 exec_lo, exec_lo, s35
	s_and_saveexec_b32 s0, s36
	s_wait_alu 0xfffe
	s_xor_b32 s0, exec_lo, s0
.LBB149_63:
	s_endpgm
	.section	.rodata,"a",@progbits
	.p2align	6, 0x0
	.amdhsa_kernel _ZL30rocblas_trsm_small_left_deviceILi16ELi16ELb0E19rocblas_complex_numIfES1_PKPKS1_PKPS1_Ev13rocblas_fill_18rocblas_operation_17rocblas_diagonal_iiT3_T4_lilT5_lili
		.amdhsa_group_segment_fixed_size 2048
		.amdhsa_private_segment_fixed_size 144
		.amdhsa_kernarg_size 360
		.amdhsa_user_sgpr_count 2
		.amdhsa_user_sgpr_dispatch_ptr 0
		.amdhsa_user_sgpr_queue_ptr 0
		.amdhsa_user_sgpr_kernarg_segment_ptr 1
		.amdhsa_user_sgpr_dispatch_id 0
		.amdhsa_user_sgpr_private_segment_size 0
		.amdhsa_wavefront_size32 1
		.amdhsa_uses_dynamic_stack 0
		.amdhsa_enable_private_segment 1
		.amdhsa_system_sgpr_workgroup_id_x 1
		.amdhsa_system_sgpr_workgroup_id_y 0
		.amdhsa_system_sgpr_workgroup_id_z 1
		.amdhsa_system_sgpr_workgroup_info 0
		.amdhsa_system_vgpr_workitem_id 0
		.amdhsa_next_free_vgpr 25
		.amdhsa_next_free_sgpr 45
		.amdhsa_reserve_vcc 1
		.amdhsa_float_round_mode_32 0
		.amdhsa_float_round_mode_16_64 0
		.amdhsa_float_denorm_mode_32 3
		.amdhsa_float_denorm_mode_16_64 3
		.amdhsa_fp16_overflow 0
		.amdhsa_workgroup_processor_mode 1
		.amdhsa_memory_ordered 1
		.amdhsa_forward_progress 1
		.amdhsa_inst_pref_size 25
		.amdhsa_round_robin_scheduling 0
		.amdhsa_exception_fp_ieee_invalid_op 0
		.amdhsa_exception_fp_denorm_src 0
		.amdhsa_exception_fp_ieee_div_zero 0
		.amdhsa_exception_fp_ieee_overflow 0
		.amdhsa_exception_fp_ieee_underflow 0
		.amdhsa_exception_fp_ieee_inexact 0
		.amdhsa_exception_int_div_zero 0
	.end_amdhsa_kernel
	.section	.text._ZL30rocblas_trsm_small_left_deviceILi16ELi16ELb0E19rocblas_complex_numIfES1_PKPKS1_PKPS1_Ev13rocblas_fill_18rocblas_operation_17rocblas_diagonal_iiT3_T4_lilT5_lili,"axG",@progbits,_ZL30rocblas_trsm_small_left_deviceILi16ELi16ELb0E19rocblas_complex_numIfES1_PKPKS1_PKPS1_Ev13rocblas_fill_18rocblas_operation_17rocblas_diagonal_iiT3_T4_lilT5_lili,comdat
.Lfunc_end149:
	.size	_ZL30rocblas_trsm_small_left_deviceILi16ELi16ELb0E19rocblas_complex_numIfES1_PKPKS1_PKPS1_Ev13rocblas_fill_18rocblas_operation_17rocblas_diagonal_iiT3_T4_lilT5_lili, .Lfunc_end149-_ZL30rocblas_trsm_small_left_deviceILi16ELi16ELb0E19rocblas_complex_numIfES1_PKPKS1_PKPS1_Ev13rocblas_fill_18rocblas_operation_17rocblas_diagonal_iiT3_T4_lilT5_lili
                                        ; -- End function
	.set _ZL30rocblas_trsm_small_left_deviceILi16ELi16ELb0E19rocblas_complex_numIfES1_PKPKS1_PKPS1_Ev13rocblas_fill_18rocblas_operation_17rocblas_diagonal_iiT3_T4_lilT5_lili.num_vgpr, 25
	.set _ZL30rocblas_trsm_small_left_deviceILi16ELi16ELb0E19rocblas_complex_numIfES1_PKPKS1_PKPS1_Ev13rocblas_fill_18rocblas_operation_17rocblas_diagonal_iiT3_T4_lilT5_lili.num_agpr, 0
	.set _ZL30rocblas_trsm_small_left_deviceILi16ELi16ELb0E19rocblas_complex_numIfES1_PKPKS1_PKPS1_Ev13rocblas_fill_18rocblas_operation_17rocblas_diagonal_iiT3_T4_lilT5_lili.numbered_sgpr, 45
	.set _ZL30rocblas_trsm_small_left_deviceILi16ELi16ELb0E19rocblas_complex_numIfES1_PKPKS1_PKPS1_Ev13rocblas_fill_18rocblas_operation_17rocblas_diagonal_iiT3_T4_lilT5_lili.num_named_barrier, 0
	.set _ZL30rocblas_trsm_small_left_deviceILi16ELi16ELb0E19rocblas_complex_numIfES1_PKPKS1_PKPS1_Ev13rocblas_fill_18rocblas_operation_17rocblas_diagonal_iiT3_T4_lilT5_lili.private_seg_size, 144
	.set _ZL30rocblas_trsm_small_left_deviceILi16ELi16ELb0E19rocblas_complex_numIfES1_PKPKS1_PKPS1_Ev13rocblas_fill_18rocblas_operation_17rocblas_diagonal_iiT3_T4_lilT5_lili.uses_vcc, 1
	.set _ZL30rocblas_trsm_small_left_deviceILi16ELi16ELb0E19rocblas_complex_numIfES1_PKPKS1_PKPS1_Ev13rocblas_fill_18rocblas_operation_17rocblas_diagonal_iiT3_T4_lilT5_lili.uses_flat_scratch, 0
	.set _ZL30rocblas_trsm_small_left_deviceILi16ELi16ELb0E19rocblas_complex_numIfES1_PKPKS1_PKPS1_Ev13rocblas_fill_18rocblas_operation_17rocblas_diagonal_iiT3_T4_lilT5_lili.has_dyn_sized_stack, 0
	.set _ZL30rocblas_trsm_small_left_deviceILi16ELi16ELb0E19rocblas_complex_numIfES1_PKPKS1_PKPS1_Ev13rocblas_fill_18rocblas_operation_17rocblas_diagonal_iiT3_T4_lilT5_lili.has_recursion, 0
	.set _ZL30rocblas_trsm_small_left_deviceILi16ELi16ELb0E19rocblas_complex_numIfES1_PKPKS1_PKPS1_Ev13rocblas_fill_18rocblas_operation_17rocblas_diagonal_iiT3_T4_lilT5_lili.has_indirect_call, 0
	.section	.AMDGPU.csdata,"",@progbits
; Kernel info:
; codeLenInByte = 3128
; TotalNumSgprs: 47
; NumVgprs: 25
; ScratchSize: 144
; MemoryBound: 0
; FloatMode: 240
; IeeeMode: 1
; LDSByteSize: 2048 bytes/workgroup (compile time only)
; SGPRBlocks: 0
; VGPRBlocks: 3
; NumSGPRsForWavesPerEU: 47
; NumVGPRsForWavesPerEU: 25
; Occupancy: 16
; WaveLimiterHint : 1
; COMPUTE_PGM_RSRC2:SCRATCH_EN: 1
; COMPUTE_PGM_RSRC2:USER_SGPR: 2
; COMPUTE_PGM_RSRC2:TRAP_HANDLER: 0
; COMPUTE_PGM_RSRC2:TGID_X_EN: 1
; COMPUTE_PGM_RSRC2:TGID_Y_EN: 0
; COMPUTE_PGM_RSRC2:TGID_Z_EN: 1
; COMPUTE_PGM_RSRC2:TIDIG_COMP_CNT: 0
	.section	.text._ZL38rocblas_trsm_small_left_device_sharedBILi16ELi16ELb1E19rocblas_complex_numIfES1_PKPKS1_PKPS1_Ev13rocblas_fill_18rocblas_operation_17rocblas_diagonal_iiT3_T4_lilT5_lili,"axG",@progbits,_ZL38rocblas_trsm_small_left_device_sharedBILi16ELi16ELb1E19rocblas_complex_numIfES1_PKPKS1_PKPS1_Ev13rocblas_fill_18rocblas_operation_17rocblas_diagonal_iiT3_T4_lilT5_lili,comdat
	.globl	_ZL38rocblas_trsm_small_left_device_sharedBILi16ELi16ELb1E19rocblas_complex_numIfES1_PKPKS1_PKPS1_Ev13rocblas_fill_18rocblas_operation_17rocblas_diagonal_iiT3_T4_lilT5_lili ; -- Begin function _ZL38rocblas_trsm_small_left_device_sharedBILi16ELi16ELb1E19rocblas_complex_numIfES1_PKPKS1_PKPS1_Ev13rocblas_fill_18rocblas_operation_17rocblas_diagonal_iiT3_T4_lilT5_lili
	.p2align	8
	.type	_ZL38rocblas_trsm_small_left_device_sharedBILi16ELi16ELb1E19rocblas_complex_numIfES1_PKPKS1_PKPS1_Ev13rocblas_fill_18rocblas_operation_17rocblas_diagonal_iiT3_T4_lilT5_lili,@function
_ZL38rocblas_trsm_small_left_device_sharedBILi16ELi16ELb1E19rocblas_complex_numIfES1_PKPKS1_PKPS1_Ev13rocblas_fill_18rocblas_operation_17rocblas_diagonal_iiT3_T4_lilT5_lili: ; @_ZL38rocblas_trsm_small_left_device_sharedBILi16ELi16ELb1E19rocblas_complex_numIfES1_PKPKS1_PKPS1_Ev13rocblas_fill_18rocblas_operation_17rocblas_diagonal_iiT3_T4_lilT5_lili
; %bb.0:
	s_load_b32 s22, s[0:1], 0x60
	s_lshr_b32 s2, ttmp7, 16
	s_wait_kmcnt 0x0
	s_cmp_ge_u32 s2, s22
	s_cbranch_scc1 .LBB150_66
; %bb.1:
	s_clause 0x6
	s_load_b32 s20, s[0:1], 0x30
	s_load_b32 s30, s[0:1], 0x50
	s_load_b128 s[12:15], s[0:1], 0x4
	s_load_b32 s3, s[0:1], 0x68
	s_load_b128 s[4:7], s[0:1], 0x20
	s_load_b128 s[8:11], s[0:1], 0x40
	s_load_b64 s[16:17], s[0:1], 0x14
	v_dual_mov_b32 v1, 0 :: v_dual_lshlrev_b32 v10, 3, v0
	v_lshlrev_b32_e32 v6, 7, v0
	s_mov_b32 s19, 0
	s_delay_alu instid0(VALU_DEP_2) | instskip(NEXT) | instid1(VALU_DEP_2)
	v_or_b32_e32 v11, 0x800, v10
	v_add_nc_u32_e32 v16, v10, v6
	s_wait_kmcnt 0x0
	s_ashr_i32 s21, s20, 31
	s_ashr_i32 s31, s30, 31
	s_cmp_lg_u32 s12, 0x71
	v_mad_co_i64_i32 v[2:3], null, s30, v0, 0
	s_cselect_b32 s1, -1, 0
	s_min_i32 s23, s14, 16
	s_lshl_b32 s28, ttmp9, 4
	s_add_co_i32 s3, s3, -1
	s_add_co_i32 s24, s23, -1
	s_sub_co_i32 s0, s15, s28
	s_cmp_ge_u32 ttmp9, s3
	v_lshlrev_b64_e32 v[2:3], 3, v[2:3]
	s_cselect_b32 s0, s0, 16
	s_ashr_i32 s29, s28, 31
	s_cmp_lg_u32 s13, 0x84
	v_cmp_gt_i32_e32 vcc_lo, s0, v0
	s_cselect_b32 s25, -1, 0
	s_cmp_gt_i32 s14, 0
	v_cmp_gt_i32_e64 s0, s23, v0
	s_cselect_b32 s3, -1, 0
	s_cmp_lg_u32 s12, 0x6f
	s_mul_u64 s[14:15], s[30:31], s[28:29]
	s_cselect_b32 s26, -1, 0
	s_lshl_b64 s[12:13], s[28:29], 3
	s_lshl_b64 s[28:29], s[6:7], 3
	v_or_b32_e32 v0, s12, v10
	s_lshl_b64 s[6:7], s[10:11], 3
	s_and_b32 s27, vcc_lo, s3
	s_lshl_b64 s[10:11], s[20:21], 3
	s_delay_alu instid0(VALU_DEP_1) | instskip(SKIP_2) | instid1(VALU_DEP_1)
	v_mul_lo_u32 v7, v0, s31
	v_mad_co_u64_u32 v[4:5], null, v0, s30, s[6:7]
	v_add_co_u32 v0, s3, s28, v10
	v_add_co_ci_u32_e64 v12, null, s29, 0, s3
	s_mul_i32 s3, s13, s30
	v_or_b32_e32 v13, 4, v0
	s_wait_alu 0xfffe
	v_add3_u32 v14, s3, v5, v7
	v_or_b32_e32 v15, 4, v4
	v_mov_b32_e32 v0, 1.0
	s_lshl_b32 s3, s23, 3
	s_or_b32 s28, 0, 4
	s_wait_alu 0xfffe
	s_add_co_i32 s20, s3, -8
	s_lshl_b64 s[12:13], s[14:15], 3
	s_branch .LBB150_3
.LBB150_2:                              ;   in Loop: Header=BB150_3 Depth=1
	s_wait_alu 0xfffe
	s_or_b32 exec_lo, exec_lo, s3
	s_add_co_i32 s2, s2, 0x10000
	s_wait_alu 0xfffe
	s_cmp_lt_u32 s2, s22
	s_cbranch_scc0 .LBB150_66
.LBB150_3:                              ; =>This Loop Header: Depth=1
                                        ;     Child Loop BB150_6 Depth 2
                                        ;     Child Loop BB150_20 Depth 2
	;; [unrolled: 1-line block ×3, first 2 shown]
                                        ;       Child Loop BB150_27 Depth 3
                                        ;         Child Loop BB150_28 Depth 4
                                        ;         Child Loop BB150_30 Depth 4
                                        ;           Child Loop BB150_31 Depth 5
                                        ;         Child Loop BB150_35 Depth 4
                                        ;           Child Loop BB150_37 Depth 5
                                        ;     Child Loop BB150_45 Depth 2
                                        ;       Child Loop BB150_48 Depth 3
                                        ;         Child Loop BB150_49 Depth 4
                                        ;         Child Loop BB150_52 Depth 4
                                        ;           Child Loop BB150_53 Depth 5
                                        ;         Child Loop BB150_57 Depth 4
                                        ;           Child Loop BB150_59 Depth 5
                                        ;     Child Loop BB150_65 Depth 2
	s_mov_b32 s3, s19
	s_wait_alu 0xfffe
	s_lshl_b64 s[14:15], s[2:3], 3
	s_delay_alu instid0(SALU_CYCLE_1)
	s_add_nc_u64 s[30:31], s[8:9], s[14:15]
	global_load_b64 v[4:5], v1, s[30:31]
	s_and_saveexec_b32 s3, s0
	s_cbranch_execz .LBB150_18
; %bb.4:                                ;   in Loop: Header=BB150_3 Depth=1
	s_add_nc_u64 s[14:15], s[4:5], s[14:15]
	v_mov_b32_e32 v17, v10
	global_load_b64 v[6:7], v1, s[14:15]
	s_mov_b32 s14, s23
	s_wait_loadcnt 0x0
	v_add_co_u32 v6, vcc_lo, v6, v13
	s_wait_alu 0xfffd
	v_add_co_ci_u32_e64 v7, null, v7, v12, vcc_lo
	s_branch .LBB150_6
.LBB150_5:                              ;   in Loop: Header=BB150_6 Depth=2
	flat_load_b32 v8, v[6:7] offset:-4
	v_add_co_u32 v6, vcc_lo, v6, s10
	s_wait_alu 0xfffd
	v_add_co_ci_u32_e64 v7, null, s11, v7, vcc_lo
	s_add_co_i32 s14, s14, -1
	s_delay_alu instid0(SALU_CYCLE_1)
	s_cmp_eq_u32 s14, 0
	s_wait_loadcnt_dscnt 0x0
	ds_store_b64 v17, v[8:9]
	v_add_nc_u32_e32 v17, 0x80, v17
	s_cbranch_scc1 .LBB150_10
.LBB150_6:                              ;   Parent Loop BB150_3 Depth=1
                                        ; =>  This Inner Loop Header: Depth=2
	s_and_b32 vcc_lo, exec_lo, s1
	s_mov_b32 s15, -1
                                        ; implicit-def: $vgpr9
	s_wait_alu 0xfffe
	s_cbranch_vccz .LBB150_8
; %bb.7:                                ;   in Loop: Header=BB150_6 Depth=2
	flat_load_b32 v9, v[6:7]
	s_mov_b32 s15, 0
.LBB150_8:                              ;   in Loop: Header=BB150_6 Depth=2
	s_delay_alu instid0(SALU_CYCLE_1)
	s_and_not1_b32 vcc_lo, exec_lo, s15
	s_wait_alu 0xfffe
	s_cbranch_vccnz .LBB150_5
; %bb.9:                                ;   in Loop: Header=BB150_6 Depth=2
	flat_load_b32 v8, v[6:7]
	s_wait_loadcnt_dscnt 0x0
	v_xor_b32_e32 v9, 0x80000000, v8
	s_branch .LBB150_5
.LBB150_10:                             ;   in Loop: Header=BB150_3 Depth=1
	s_and_b32 vcc_lo, exec_lo, s25
	s_mov_b32 s14, -1
	s_wait_alu 0xfffe
	s_cbranch_vccz .LBB150_16
; %bb.11:                               ;   in Loop: Header=BB150_3 Depth=1
	ds_load_b64 v[6:7], v16
                                        ; implicit-def: $vgpr8
	s_wait_dscnt 0x0
	v_cmp_ngt_f32_e64 s14, |v6|, |v7|
	s_and_saveexec_b32 s15, s14
	s_delay_alu instid0(SALU_CYCLE_1)
	s_xor_b32 s14, exec_lo, s15
	s_cbranch_execz .LBB150_13
; %bb.12:                               ;   in Loop: Header=BB150_3 Depth=1
	v_div_scale_f32 v8, null, v7, v7, v6
	v_div_scale_f32 v18, vcc_lo, v6, v7, v6
	s_delay_alu instid0(VALU_DEP_2) | instskip(NEXT) | instid1(TRANS32_DEP_1)
	v_rcp_f32_e32 v9, v8
	v_fma_f32 v17, -v8, v9, 1.0
	s_delay_alu instid0(VALU_DEP_1) | instskip(NEXT) | instid1(VALU_DEP_1)
	v_fmac_f32_e32 v9, v17, v9
	v_mul_f32_e32 v17, v18, v9
	s_delay_alu instid0(VALU_DEP_1) | instskip(NEXT) | instid1(VALU_DEP_1)
	v_fma_f32 v19, -v8, v17, v18
	v_fmac_f32_e32 v17, v19, v9
	s_delay_alu instid0(VALU_DEP_1) | instskip(SKIP_1) | instid1(VALU_DEP_1)
	v_fma_f32 v8, -v8, v17, v18
	s_wait_alu 0xfffd
	v_div_fmas_f32 v8, v8, v9, v17
	s_delay_alu instid0(VALU_DEP_1) | instskip(NEXT) | instid1(VALU_DEP_1)
	v_div_fixup_f32 v8, v8, v7, v6
	v_fmac_f32_e32 v7, v6, v8
	s_delay_alu instid0(VALU_DEP_1) | instskip(SKIP_1) | instid1(VALU_DEP_2)
	v_div_scale_f32 v6, null, v7, v7, 1.0
	v_div_scale_f32 v18, vcc_lo, 1.0, v7, 1.0
	v_rcp_f32_e32 v9, v6
	s_delay_alu instid0(TRANS32_DEP_1) | instskip(NEXT) | instid1(VALU_DEP_1)
	v_fma_f32 v17, -v6, v9, 1.0
	v_fmac_f32_e32 v9, v17, v9
	s_delay_alu instid0(VALU_DEP_1) | instskip(NEXT) | instid1(VALU_DEP_1)
	v_mul_f32_e32 v17, v18, v9
	v_fma_f32 v19, -v6, v17, v18
	s_delay_alu instid0(VALU_DEP_1) | instskip(NEXT) | instid1(VALU_DEP_1)
	v_fmac_f32_e32 v17, v19, v9
	v_fma_f32 v6, -v6, v17, v18
	s_wait_alu 0xfffd
	s_delay_alu instid0(VALU_DEP_1) | instskip(SKIP_1) | instid1(VALU_DEP_2)
	v_div_fmas_f32 v6, v6, v9, v17
	v_add_f32_e32 v9, 0, v8
	v_div_fixup_f32 v6, v6, v7, 1.0
	v_fma_f32 v7, v8, 0, -1.0
	s_delay_alu instid0(VALU_DEP_2) | instskip(NEXT) | instid1(VALU_DEP_2)
	v_mul_f32_e32 v8, v9, v6
	v_mul_f32_e32 v9, v7, v6
                                        ; implicit-def: $vgpr6_vgpr7
.LBB150_13:                             ;   in Loop: Header=BB150_3 Depth=1
	s_and_not1_saveexec_b32 s14, s14
	s_cbranch_execz .LBB150_15
; %bb.14:                               ;   in Loop: Header=BB150_3 Depth=1
	v_div_scale_f32 v8, null, v6, v6, v7
	v_div_scale_f32 v18, vcc_lo, v7, v6, v7
	s_delay_alu instid0(VALU_DEP_2) | instskip(NEXT) | instid1(TRANS32_DEP_1)
	v_rcp_f32_e32 v9, v8
	v_fma_f32 v17, -v8, v9, 1.0
	s_delay_alu instid0(VALU_DEP_1) | instskip(NEXT) | instid1(VALU_DEP_1)
	v_fmac_f32_e32 v9, v17, v9
	v_mul_f32_e32 v17, v18, v9
	s_delay_alu instid0(VALU_DEP_1) | instskip(NEXT) | instid1(VALU_DEP_1)
	v_fma_f32 v19, -v8, v17, v18
	v_fmac_f32_e32 v17, v19, v9
	s_delay_alu instid0(VALU_DEP_1) | instskip(SKIP_1) | instid1(VALU_DEP_1)
	v_fma_f32 v8, -v8, v17, v18
	s_wait_alu 0xfffd
	v_div_fmas_f32 v8, v8, v9, v17
	s_delay_alu instid0(VALU_DEP_1) | instskip(NEXT) | instid1(VALU_DEP_1)
	v_div_fixup_f32 v9, v8, v6, v7
	v_fmac_f32_e32 v6, v7, v9
	s_delay_alu instid0(VALU_DEP_1) | instskip(SKIP_1) | instid1(VALU_DEP_2)
	v_div_scale_f32 v7, null, v6, v6, 1.0
	v_div_scale_f32 v18, vcc_lo, 1.0, v6, 1.0
	v_rcp_f32_e32 v8, v7
	s_delay_alu instid0(TRANS32_DEP_1) | instskip(NEXT) | instid1(VALU_DEP_1)
	v_fma_f32 v17, -v7, v8, 1.0
	v_fmac_f32_e32 v8, v17, v8
	s_delay_alu instid0(VALU_DEP_1) | instskip(NEXT) | instid1(VALU_DEP_1)
	v_mul_f32_e32 v17, v18, v8
	v_fma_f32 v19, -v7, v17, v18
	s_delay_alu instid0(VALU_DEP_1) | instskip(NEXT) | instid1(VALU_DEP_1)
	v_fmac_f32_e32 v17, v19, v8
	v_fma_f32 v7, -v7, v17, v18
	s_wait_alu 0xfffd
	s_delay_alu instid0(VALU_DEP_1) | instskip(SKIP_1) | instid1(VALU_DEP_2)
	v_div_fmas_f32 v7, v7, v8, v17
	v_fma_f32 v8, v9, 0, 1.0
	v_div_fixup_f32 v6, v7, v6, 1.0
	s_delay_alu instid0(VALU_DEP_1)
	v_mul_f32_e32 v8, v8, v6
	v_mul_f32_e64 v9, -v9, v6
.LBB150_15:                             ;   in Loop: Header=BB150_3 Depth=1
	s_or_b32 exec_lo, exec_lo, s14
	s_mov_b32 s14, 0
	ds_store_b64 v16, v[8:9]
.LBB150_16:                             ;   in Loop: Header=BB150_3 Depth=1
	s_and_b32 vcc_lo, exec_lo, s14
	s_wait_alu 0xfffe
	s_cbranch_vccz .LBB150_18
; %bb.17:                               ;   in Loop: Header=BB150_3 Depth=1
	ds_store_b64 v16, v[0:1]
.LBB150_18:                             ;   in Loop: Header=BB150_3 Depth=1
	s_wait_alu 0xfffe
	s_or_b32 exec_lo, exec_lo, s3
	s_and_saveexec_b32 s3, s27
	s_cbranch_execz .LBB150_21
; %bb.19:                               ;   in Loop: Header=BB150_3 Depth=1
	s_wait_loadcnt 0x0
	v_add_co_u32 v6, vcc_lo, v4, v15
	s_wait_alu 0xfffd
	v_add_co_ci_u32_e64 v7, null, v5, v14, vcc_lo
	v_mov_b32_e32 v8, v11
	s_mov_b32 s14, s23
.LBB150_20:                             ;   Parent Loop BB150_3 Depth=1
                                        ; =>  This Inner Loop Header: Depth=2
	flat_load_b64 v[17:18], v[6:7] offset:-4
	v_add_co_u32 v6, vcc_lo, v6, 8
	s_wait_alu 0xfffd
	v_add_co_ci_u32_e64 v7, null, 0, v7, vcc_lo
	s_add_co_i32 s14, s14, -1
	s_delay_alu instid0(SALU_CYCLE_1) | instskip(SKIP_3) | instid1(VALU_DEP_2)
	s_cmp_lg_u32 s14, 0
	s_wait_loadcnt_dscnt 0x0
	v_mul_f32_e32 v9, s17, v18
	v_mul_f32_e32 v19, s16, v18
	v_fma_f32 v18, s16, v17, -v9
	s_delay_alu instid0(VALU_DEP_2)
	v_fmac_f32_e32 v19, s17, v17
	ds_store_b64 v8, v[18:19]
	v_add_nc_u32_e32 v8, 0x80, v8
	s_cbranch_scc1 .LBB150_20
.LBB150_21:                             ;   in Loop: Header=BB150_3 Depth=1
	s_wait_alu 0xfffe
	s_or_b32 exec_lo, exec_lo, s3
	s_delay_alu instid0(SALU_CYCLE_1)
	s_and_not1_b32 vcc_lo, exec_lo, s26
	s_mov_b32 s3, -1
	; wave barrier
	s_wait_loadcnt_dscnt 0x0
	global_inv scope:SCOPE_SE
	s_wait_alu 0xfffe
	s_cbranch_vccnz .LBB150_42
; %bb.22:                               ;   in Loop: Header=BB150_3 Depth=1
	s_mov_b32 s18, 0
	s_mov_b32 s3, s24
	s_branch .LBB150_24
.LBB150_23:                             ;   in Loop: Header=BB150_24 Depth=2
	s_cmp_gt_i32 s3, -1
	s_cselect_b32 s14, -1, 0
	s_add_co_i32 s15, s18, 1
	s_cmp_lt_u32 s18, 2
	s_cselect_b32 s18, -1, 0
	s_delay_alu instid0(SALU_CYCLE_1)
	s_and_b32 s14, s14, s18
	s_mov_b32 s18, s15
	s_and_b32 vcc_lo, exec_lo, s14
	s_wait_alu 0xfffe
	s_cbranch_vccz .LBB150_41
.LBB150_24:                             ;   Parent Loop BB150_3 Depth=1
                                        ; =>  This Loop Header: Depth=2
                                        ;       Child Loop BB150_27 Depth 3
                                        ;         Child Loop BB150_28 Depth 4
                                        ;         Child Loop BB150_30 Depth 4
                                        ;           Child Loop BB150_31 Depth 5
                                        ;         Child Loop BB150_35 Depth 4
                                        ;           Child Loop BB150_37 Depth 5
	s_getpc_b64 s[14:15]
	s_sext_i32_i16 s15, s15
	s_add_co_u32 s14, s14, __const._ZL38rocblas_trsm_small_left_device_sharedBILi16ELi16ELb1E19rocblas_complex_numIfES1_PKPKS1_PKPS1_Ev13rocblas_fill_18rocblas_operation_17rocblas_diagonal_iiT3_T4_lilT5_lili.step_sizes@rel32@lo+8
	s_add_co_ci_u32 s15, s15, __const._ZL38rocblas_trsm_small_left_device_sharedBILi16ELi16ELb1E19rocblas_complex_numIfES1_PKPKS1_PKPS1_Ev13rocblas_fill_18rocblas_operation_17rocblas_diagonal_iiT3_T4_lilT5_lili.step_sizes@rel32@hi+16
	s_lshl_b64 s[30:31], s[18:19], 2
	s_wait_alu 0xfffe
	s_add_nc_u64 s[14:15], s[14:15], s[30:31]
	s_load_b32 s14, s[14:15], 0x0
	s_wait_kmcnt 0x0
	s_add_co_i32 s15, s14, -1
	s_delay_alu instid0(SALU_CYCLE_1)
	s_cmp_lt_i32 s3, s15
	s_cbranch_scc1 .LBB150_23
; %bb.25:                               ;   in Loop: Header=BB150_24 Depth=2
	s_lshl_b32 s30, s3, 7
	s_lshl_b32 s29, s14, 7
	s_wait_alu 0xfffe
	v_add_nc_u32_e32 v8, s30, v11
	s_max_i32 s21, s14, 1
	s_sub_co_i32 s29, 0, s29
	s_add_co_i32 s30, s20, s30
	s_mul_i32 s31, s3, 0x88
	s_mul_i32 s33, s14, 0xffffff78
	s_branch .LBB150_27
.LBB150_26:                             ;   in Loop: Header=BB150_27 Depth=3
	v_add_nc_u32_e32 v8, s29, v8
	s_sub_co_i32 s3, s3, s14
	s_add_co_i32 s30, s30, s29
	s_add_co_i32 s31, s31, s33
	s_wait_alu 0xfffe
	s_cmp_lt_i32 s3, s15
	s_cbranch_scc1 .LBB150_23
.LBB150_27:                             ;   Parent Loop BB150_3 Depth=1
                                        ;     Parent Loop BB150_24 Depth=2
                                        ; =>    This Loop Header: Depth=3
                                        ;         Child Loop BB150_28 Depth 4
                                        ;         Child Loop BB150_30 Depth 4
                                        ;           Child Loop BB150_31 Depth 5
                                        ;         Child Loop BB150_35 Depth 4
                                        ;           Child Loop BB150_37 Depth 5
	v_mov_b32_e32 v6, v8
	s_mov_b32 s34, 0
	s_mov_b32 s35, s21
.LBB150_28:                             ;   Parent Loop BB150_3 Depth=1
                                        ;     Parent Loop BB150_24 Depth=2
                                        ;       Parent Loop BB150_27 Depth=3
                                        ; =>      This Inner Loop Header: Depth=4
	ds_load_b64 v[17:18], v6
	v_add_nc_u32_e32 v6, 0xffffff80, v6
	s_wait_alu 0xfffe
	s_add_co_i32 s35, s35, -1
	s_wait_dscnt 0x0
	scratch_store_b64 off, v[17:18], s34
	s_add_co_i32 s34, s34, 8
	s_wait_alu 0xfffe
	s_cmp_eq_u32 s35, 0
	s_cbranch_scc0 .LBB150_28
; %bb.29:                               ;   in Loop: Header=BB150_27 Depth=3
	s_cmp_le_i32 s24, s3
	s_mov_b32 s34, s30
	s_mov_b32 s35, s24
	s_cbranch_scc1 .LBB150_33
.LBB150_30:                             ;   Parent Loop BB150_3 Depth=1
                                        ;     Parent Loop BB150_24 Depth=2
                                        ;       Parent Loop BB150_27 Depth=3
                                        ; =>      This Loop Header: Depth=4
                                        ;           Child Loop BB150_31 Depth 5
	s_wait_alu 0xfffe
	v_lshl_add_u32 v6, s35, 7, v11
	s_mov_b32 s36, s28
	s_mov_b32 s37, s34
	;; [unrolled: 1-line block ×3, first 2 shown]
	ds_load_b64 v[6:7], v6
.LBB150_31:                             ;   Parent Loop BB150_3 Depth=1
                                        ;     Parent Loop BB150_24 Depth=2
                                        ;       Parent Loop BB150_27 Depth=3
                                        ;         Parent Loop BB150_30 Depth=4
                                        ; =>        This Inner Loop Header: Depth=5
	scratch_load_b64 v[17:18], off, s36 offset:-4
	s_wait_alu 0xfffe
	v_mov_b32_e32 v9, s37
	s_add_co_i32 s38, s38, -1
	s_addk_co_i32 s37, 0xff80
	ds_load_b64 v[19:20], v9
	s_wait_dscnt 0x0
	v_mul_f32_e32 v9, v20, v7
	v_mul_f32_e32 v20, v20, v6
	s_delay_alu instid0(VALU_DEP_1) | instskip(SKIP_1) | instid1(VALU_DEP_1)
	v_fmac_f32_e32 v20, v19, v7
	s_wait_loadcnt 0x0
	v_sub_f32_e32 v18, v18, v20
	v_fma_f32 v9, v19, v6, -v9
	s_delay_alu instid0(VALU_DEP_1)
	v_sub_f32_e32 v17, v17, v9
	scratch_store_b64 off, v[17:18], s36 offset:-4
	s_add_co_i32 s36, s36, 8
	s_wait_alu 0xfffe
	s_cmp_eq_u32 s38, 0
	s_cbranch_scc0 .LBB150_31
; %bb.32:                               ;   in Loop: Header=BB150_30 Depth=4
	s_add_co_i32 s35, s35, -1
	s_add_co_i32 s34, s34, -8
	s_wait_alu 0xfffe
	s_cmp_le_i32 s35, s3
	s_cbranch_scc0 .LBB150_30
.LBB150_33:                             ;   in Loop: Header=BB150_27 Depth=3
	s_lshl_b32 s34, s3, 7
	s_mov_b32 s35, 0
	s_mov_b32 s36, s31
	s_branch .LBB150_35
.LBB150_34:                             ;   in Loop: Header=BB150_35 Depth=4
	s_wait_alu 0xfffe
	s_mulk_i32 s38, 0x88
	s_addk_co_i32 s36, 0xff80
	s_wait_alu 0xfffe
	v_mov_b32_e32 v9, s38
	s_lshl_b32 s38, s35, 3
	s_add_co_i32 s35, s35, 1
	s_wait_alu 0xfffe
	s_cmp_eq_u32 s35, s21
	ds_load_b64 v[17:18], v9
	s_wait_loadcnt_dscnt 0x0
	v_mul_f32_e32 v9, v18, v7
	v_mul_f32_e32 v20, v17, v7
	v_add_nc_u32_e32 v7, s37, v11
	s_delay_alu instid0(VALU_DEP_3) | instskip(NEXT) | instid1(VALU_DEP_3)
	v_fma_f32 v19, v17, v6, -v9
	v_fmac_f32_e32 v20, v18, v6
	scratch_store_b64 off, v[19:20], s38
	ds_store_b64 v7, v[19:20]
	s_cbranch_scc1 .LBB150_26
.LBB150_35:                             ;   Parent Loop BB150_3 Depth=1
                                        ;     Parent Loop BB150_24 Depth=2
                                        ;       Parent Loop BB150_27 Depth=3
                                        ; =>      This Loop Header: Depth=4
                                        ;           Child Loop BB150_37 Depth 5
	s_wait_alu 0xfffe
	s_cmp_lg_u32 s35, 0
	s_cbranch_scc0 .LBB150_39
; %bb.36:                               ;   in Loop: Header=BB150_35 Depth=4
	s_lshl_b32 s39, s35, 3
	s_sub_co_i32 s38, s3, s35
	scratch_load_b64 v[6:7], off, s39
	s_wait_alu 0xfffe
	s_lshl_b32 s37, s38, 7
	s_mov_b32 s40, 0
	s_mov_b32 s41, s36
	;; [unrolled: 1-line block ×3, first 2 shown]
.LBB150_37:                             ;   Parent Loop BB150_3 Depth=1
                                        ;     Parent Loop BB150_24 Depth=2
                                        ;       Parent Loop BB150_27 Depth=3
                                        ;         Parent Loop BB150_35 Depth=4
                                        ; =>        This Inner Loop Header: Depth=5
	scratch_load_b64 v[17:18], off, s40
	s_wait_alu 0xfffe
	v_mov_b32_e32 v9, s41
	s_add_co_i32 s42, s42, -1
	s_add_co_i32 s41, s41, -8
	s_add_co_i32 s40, s40, 8
	s_cmp_eq_u32 s42, 0
	ds_load_b64 v[19:20], v9
	s_wait_loadcnt_dscnt 0x0
	v_mul_f32_e32 v9, v20, v18
	v_mul_f32_e32 v18, v19, v18
	s_delay_alu instid0(VALU_DEP_2) | instskip(NEXT) | instid1(VALU_DEP_2)
	v_fma_f32 v9, v19, v17, -v9
	v_fmac_f32_e32 v18, v20, v17
	s_delay_alu instid0(VALU_DEP_1)
	v_dual_sub_f32 v6, v6, v9 :: v_dual_sub_f32 v7, v7, v18
	scratch_store_b64 off, v[6:7], s39
	s_cbranch_scc0 .LBB150_37
; %bb.38:                               ;   in Loop: Header=BB150_35 Depth=4
	s_branch .LBB150_34
.LBB150_39:                             ;   in Loop: Header=BB150_35 Depth=4
                                        ; implicit-def: $vgpr6
                                        ; implicit-def: $sgpr38
                                        ; implicit-def: $sgpr37
	s_cbranch_execz .LBB150_34
; %bb.40:                               ;   in Loop: Header=BB150_35 Depth=4
	scratch_load_b64 v[6:7], off, off
	s_mov_b32 s37, s34
	s_mov_b32 s38, s3
	s_branch .LBB150_34
.LBB150_41:                             ;   in Loop: Header=BB150_3 Depth=1
	s_mov_b32 s3, 0
.LBB150_42:                             ;   in Loop: Header=BB150_3 Depth=1
	s_wait_alu 0xfffe
	s_and_b32 vcc_lo, exec_lo, s3
	s_wait_alu 0xfffe
	s_cbranch_vccz .LBB150_63
; %bb.43:                               ;   in Loop: Header=BB150_3 Depth=1
	s_mov_b32 s18, 0
	s_delay_alu instid0(SALU_CYCLE_1)
	s_mov_b32 s3, s18
	s_branch .LBB150_45
.LBB150_44:                             ;   in Loop: Header=BB150_45 Depth=2
	s_cmp_lt_i32 s3, s23
	s_cselect_b32 s14, -1, 0
	s_add_co_i32 s15, s18, 1
	s_cmp_lt_u32 s18, 2
	s_cselect_b32 s18, -1, 0
	s_delay_alu instid0(SALU_CYCLE_1)
	s_and_b32 s14, s14, s18
	s_mov_b32 s18, s15
	s_and_not1_b32 vcc_lo, exec_lo, s14
	s_wait_alu 0xfffe
	s_cbranch_vccnz .LBB150_63
.LBB150_45:                             ;   Parent Loop BB150_3 Depth=1
                                        ; =>  This Loop Header: Depth=2
                                        ;       Child Loop BB150_48 Depth 3
                                        ;         Child Loop BB150_49 Depth 4
                                        ;         Child Loop BB150_52 Depth 4
                                        ;           Child Loop BB150_53 Depth 5
                                        ;         Child Loop BB150_57 Depth 4
                                        ;           Child Loop BB150_59 Depth 5
	s_getpc_b64 s[14:15]
	s_sext_i32_i16 s15, s15
	s_add_co_u32 s14, s14, __const._ZL38rocblas_trsm_small_left_device_sharedBILi16ELi16ELb1E19rocblas_complex_numIfES1_PKPKS1_PKPS1_Ev13rocblas_fill_18rocblas_operation_17rocblas_diagonal_iiT3_T4_lilT5_lili.step_sizes@rel32@lo+8
	s_add_co_ci_u32 s15, s15, __const._ZL38rocblas_trsm_small_left_device_sharedBILi16ELi16ELb1E19rocblas_complex_numIfES1_PKPKS1_PKPS1_Ev13rocblas_fill_18rocblas_operation_17rocblas_diagonal_iiT3_T4_lilT5_lili.step_sizes@rel32@hi+16
	s_lshl_b64 s[30:31], s[18:19], 2
	s_wait_alu 0xfffe
	s_add_nc_u64 s[14:15], s[14:15], s[30:31]
	s_load_b32 s14, s[14:15], 0x0
	s_wait_kmcnt 0x0
	s_add_co_i32 s15, s14, -1
	s_delay_alu instid0(SALU_CYCLE_1) | instskip(NEXT) | instid1(SALU_CYCLE_1)
	s_add_co_i32 s21, s15, s3
	s_cmp_ge_i32 s21, s23
	s_cbranch_scc1 .LBB150_44
; %bb.46:                               ;   in Loop: Header=BB150_45 Depth=2
	v_lshl_add_u32 v8, s3, 7, v11
	s_max_i32 s21, s14, 1
	s_lshl_b32 s29, s14, 7
	s_lshl_b32 s30, s3, 3
	;; [unrolled: 1-line block ×3, first 2 shown]
	s_mul_i32 s33, s3, 0x88
	s_mul_i32 s34, s14, 0x88
	s_branch .LBB150_48
.LBB150_47:                             ;   in Loop: Header=BB150_48 Depth=3
	s_add_co_i32 s3, s3, s14
	v_add_nc_u32_e32 v8, s29, v8
	s_wait_alu 0xfffe
	s_add_co_i32 s35, s15, s3
	s_add_co_i32 s30, s30, s31
	;; [unrolled: 1-line block ×3, first 2 shown]
	s_wait_alu 0xfffe
	s_cmp_ge_i32 s35, s23
	s_cbranch_scc1 .LBB150_44
.LBB150_48:                             ;   Parent Loop BB150_3 Depth=1
                                        ;     Parent Loop BB150_45 Depth=2
                                        ; =>    This Loop Header: Depth=3
                                        ;         Child Loop BB150_49 Depth 4
                                        ;         Child Loop BB150_52 Depth 4
                                        ;           Child Loop BB150_53 Depth 5
                                        ;         Child Loop BB150_57 Depth 4
                                        ;           Child Loop BB150_59 Depth 5
	v_mov_b32_e32 v6, v8
	s_mov_b32 s35, 0
	s_mov_b32 s36, s21
.LBB150_49:                             ;   Parent Loop BB150_3 Depth=1
                                        ;     Parent Loop BB150_45 Depth=2
                                        ;       Parent Loop BB150_48 Depth=3
                                        ; =>      This Inner Loop Header: Depth=4
	ds_load_b64 v[17:18], v6
	v_add_nc_u32_e32 v6, 0x80, v6
	s_wait_alu 0xfffe
	s_add_co_i32 s36, s36, -1
	s_wait_dscnt 0x0
	scratch_store_b64 off, v[17:18], s35
	s_add_co_i32 s35, s35, 8
	s_wait_alu 0xfffe
	s_cmp_eq_u32 s36, 0
	s_cbranch_scc0 .LBB150_49
; %bb.50:                               ;   in Loop: Header=BB150_48 Depth=3
	s_cmp_lt_i32 s3, 1
	s_cbranch_scc1 .LBB150_55
; %bb.51:                               ;   in Loop: Header=BB150_48 Depth=3
	s_mov_b32 s35, 0
	s_mov_b32 s36, s30
.LBB150_52:                             ;   Parent Loop BB150_3 Depth=1
                                        ;     Parent Loop BB150_45 Depth=2
                                        ;       Parent Loop BB150_48 Depth=3
                                        ; =>      This Loop Header: Depth=4
                                        ;           Child Loop BB150_53 Depth 5
	s_wait_alu 0xfffe
	v_lshl_add_u32 v6, s35, 7, v11
	s_mov_b32 s37, s28
	s_mov_b32 s38, s36
	;; [unrolled: 1-line block ×3, first 2 shown]
	ds_load_b64 v[6:7], v6
.LBB150_53:                             ;   Parent Loop BB150_3 Depth=1
                                        ;     Parent Loop BB150_45 Depth=2
                                        ;       Parent Loop BB150_48 Depth=3
                                        ;         Parent Loop BB150_52 Depth=4
                                        ; =>        This Inner Loop Header: Depth=5
	scratch_load_b64 v[17:18], off, s37 offset:-4
	s_wait_alu 0xfffe
	v_mov_b32_e32 v9, s38
	s_add_co_i32 s39, s39, -1
	s_add_co_i32 s38, s38, 8
	ds_load_b64 v[19:20], v9
	s_wait_dscnt 0x0
	v_mul_f32_e32 v9, v20, v7
	v_mul_f32_e32 v20, v20, v6
	s_delay_alu instid0(VALU_DEP_1) | instskip(SKIP_1) | instid1(VALU_DEP_1)
	v_fmac_f32_e32 v20, v19, v7
	s_wait_loadcnt 0x0
	v_sub_f32_e32 v18, v18, v20
	v_fma_f32 v9, v19, v6, -v9
	s_delay_alu instid0(VALU_DEP_1)
	v_sub_f32_e32 v17, v17, v9
	scratch_store_b64 off, v[17:18], s37 offset:-4
	s_add_co_i32 s37, s37, 8
	s_wait_alu 0xfffe
	s_cmp_eq_u32 s39, 0
	s_cbranch_scc0 .LBB150_53
; %bb.54:                               ;   in Loop: Header=BB150_52 Depth=4
	s_add_co_i32 s35, s35, 1
	s_addk_co_i32 s36, 0x80
	s_wait_alu 0xfffe
	s_cmp_eq_u32 s35, s3
	s_cbranch_scc0 .LBB150_52
.LBB150_55:                             ;   in Loop: Header=BB150_48 Depth=3
	s_mov_b32 s35, 0
	s_mov_b32 s36, s33
	s_branch .LBB150_57
.LBB150_56:                             ;   in Loop: Header=BB150_57 Depth=4
	s_add_co_i32 s37, s35, s3
	s_add_co_i32 s36, s36, 8
	s_wait_alu 0xfffe
	s_mul_i32 s38, s37, 0x88
	s_wait_alu 0xfffe
	v_mov_b32_e32 v9, s38
	s_lshl_b32 s38, s35, 3
	s_add_co_i32 s35, s35, 1
	s_wait_alu 0xfffe
	s_cmp_eq_u32 s35, s21
	ds_load_b64 v[17:18], v9
	s_wait_loadcnt_dscnt 0x0
	v_mul_f32_e32 v9, v18, v7
	v_mul_f32_e32 v20, v17, v7
	s_delay_alu instid0(VALU_DEP_2) | instskip(NEXT) | instid1(VALU_DEP_2)
	v_fma_f32 v19, v17, v6, -v9
	v_fmac_f32_e32 v20, v18, v6
	v_lshl_add_u32 v6, s37, 7, v11
	scratch_store_b64 off, v[19:20], s38
	ds_store_b64 v6, v[19:20]
	s_cbranch_scc1 .LBB150_47
.LBB150_57:                             ;   Parent Loop BB150_3 Depth=1
                                        ;     Parent Loop BB150_45 Depth=2
                                        ;       Parent Loop BB150_48 Depth=3
                                        ; =>      This Loop Header: Depth=4
                                        ;           Child Loop BB150_59 Depth 5
	s_wait_alu 0xfffe
	s_cmp_lg_u32 s35, 0
	s_cbranch_scc0 .LBB150_61
; %bb.58:                               ;   in Loop: Header=BB150_57 Depth=4
	s_lshl_b32 s37, s35, 3
	s_mov_b32 s38, 0
	scratch_load_b64 v[6:7], off, s37
	s_mov_b32 s39, s36
	s_mov_b32 s40, s35
.LBB150_59:                             ;   Parent Loop BB150_3 Depth=1
                                        ;     Parent Loop BB150_45 Depth=2
                                        ;       Parent Loop BB150_48 Depth=3
                                        ;         Parent Loop BB150_57 Depth=4
                                        ; =>        This Inner Loop Header: Depth=5
	scratch_load_b64 v[17:18], off, s38
	s_wait_alu 0xfffe
	v_mov_b32_e32 v9, s39
	s_add_co_i32 s40, s40, -1
	s_addk_co_i32 s39, 0x80
	s_add_co_i32 s38, s38, 8
	s_wait_alu 0xfffe
	s_cmp_eq_u32 s40, 0
	ds_load_b64 v[19:20], v9
	s_wait_loadcnt_dscnt 0x0
	v_mul_f32_e32 v9, v20, v18
	v_mul_f32_e32 v18, v19, v18
	s_delay_alu instid0(VALU_DEP_2) | instskip(NEXT) | instid1(VALU_DEP_2)
	v_fma_f32 v9, v19, v17, -v9
	v_fmac_f32_e32 v18, v20, v17
	s_delay_alu instid0(VALU_DEP_1)
	v_dual_sub_f32 v6, v6, v9 :: v_dual_sub_f32 v7, v7, v18
	scratch_store_b64 off, v[6:7], s37
	s_cbranch_scc0 .LBB150_59
; %bb.60:                               ;   in Loop: Header=BB150_57 Depth=4
	s_branch .LBB150_56
.LBB150_61:                             ;   in Loop: Header=BB150_57 Depth=4
                                        ; implicit-def: $vgpr6
	s_cbranch_execz .LBB150_56
; %bb.62:                               ;   in Loop: Header=BB150_57 Depth=4
	scratch_load_b64 v[6:7], off, off
	s_branch .LBB150_56
.LBB150_63:                             ;   in Loop: Header=BB150_3 Depth=1
	s_wait_storecnt 0x0
	; wave barrier
	s_wait_loadcnt_dscnt 0x0
	global_inv scope:SCOPE_SE
	s_and_saveexec_b32 s3, s27
	s_cbranch_execz .LBB150_2
; %bb.64:                               ;   in Loop: Header=BB150_3 Depth=1
	v_add_co_u32 v4, vcc_lo, v4, s6
	s_wait_alu 0xfffd
	v_add_co_ci_u32_e64 v5, null, s7, v5, vcc_lo
	v_mov_b32_e32 v6, v11
	s_delay_alu instid0(VALU_DEP_3) | instskip(SKIP_1) | instid1(VALU_DEP_3)
	v_add_co_u32 v4, vcc_lo, v4, s12
	s_wait_alu 0xfffd
	v_add_co_ci_u32_e64 v5, null, s13, v5, vcc_lo
	s_mov_b32 s14, s23
	v_add_co_u32 v4, vcc_lo, v4, v2
	s_wait_alu 0xfffd
	v_add_co_ci_u32_e64 v5, null, v5, v3, vcc_lo
.LBB150_65:                             ;   Parent Loop BB150_3 Depth=1
                                        ; =>  This Inner Loop Header: Depth=2
	ds_load_b64 v[7:8], v6
	v_add_nc_u32_e32 v6, 0x80, v6
	s_add_co_i32 s14, s14, -1
	s_delay_alu instid0(SALU_CYCLE_1)
	s_cmp_lg_u32 s14, 0
	s_wait_dscnt 0x0
	flat_store_b64 v[4:5], v[7:8]
	v_add_co_u32 v4, vcc_lo, v4, 8
	s_wait_alu 0xfffd
	v_add_co_ci_u32_e64 v5, null, 0, v5, vcc_lo
	s_cbranch_scc1 .LBB150_65
	s_branch .LBB150_2
.LBB150_66:
	s_endpgm
	.section	.rodata,"a",@progbits
	.p2align	6, 0x0
	.amdhsa_kernel _ZL38rocblas_trsm_small_left_device_sharedBILi16ELi16ELb1E19rocblas_complex_numIfES1_PKPKS1_PKPS1_Ev13rocblas_fill_18rocblas_operation_17rocblas_diagonal_iiT3_T4_lilT5_lili
		.amdhsa_group_segment_fixed_size 4096
		.amdhsa_private_segment_fixed_size 144
		.amdhsa_kernarg_size 360
		.amdhsa_user_sgpr_count 2
		.amdhsa_user_sgpr_dispatch_ptr 0
		.amdhsa_user_sgpr_queue_ptr 0
		.amdhsa_user_sgpr_kernarg_segment_ptr 1
		.amdhsa_user_sgpr_dispatch_id 0
		.amdhsa_user_sgpr_private_segment_size 0
		.amdhsa_wavefront_size32 1
		.amdhsa_uses_dynamic_stack 0
		.amdhsa_enable_private_segment 1
		.amdhsa_system_sgpr_workgroup_id_x 1
		.amdhsa_system_sgpr_workgroup_id_y 0
		.amdhsa_system_sgpr_workgroup_id_z 1
		.amdhsa_system_sgpr_workgroup_info 0
		.amdhsa_system_vgpr_workitem_id 0
		.amdhsa_next_free_vgpr 169
		.amdhsa_next_free_sgpr 43
		.amdhsa_reserve_vcc 1
		.amdhsa_float_round_mode_32 0
		.amdhsa_float_round_mode_16_64 0
		.amdhsa_float_denorm_mode_32 3
		.amdhsa_float_denorm_mode_16_64 3
		.amdhsa_fp16_overflow 0
		.amdhsa_workgroup_processor_mode 1
		.amdhsa_memory_ordered 1
		.amdhsa_forward_progress 1
		.amdhsa_inst_pref_size 24
		.amdhsa_round_robin_scheduling 0
		.amdhsa_exception_fp_ieee_invalid_op 0
		.amdhsa_exception_fp_denorm_src 0
		.amdhsa_exception_fp_ieee_div_zero 0
		.amdhsa_exception_fp_ieee_overflow 0
		.amdhsa_exception_fp_ieee_underflow 0
		.amdhsa_exception_fp_ieee_inexact 0
		.amdhsa_exception_int_div_zero 0
	.end_amdhsa_kernel
	.section	.text._ZL38rocblas_trsm_small_left_device_sharedBILi16ELi16ELb1E19rocblas_complex_numIfES1_PKPKS1_PKPS1_Ev13rocblas_fill_18rocblas_operation_17rocblas_diagonal_iiT3_T4_lilT5_lili,"axG",@progbits,_ZL38rocblas_trsm_small_left_device_sharedBILi16ELi16ELb1E19rocblas_complex_numIfES1_PKPKS1_PKPS1_Ev13rocblas_fill_18rocblas_operation_17rocblas_diagonal_iiT3_T4_lilT5_lili,comdat
.Lfunc_end150:
	.size	_ZL38rocblas_trsm_small_left_device_sharedBILi16ELi16ELb1E19rocblas_complex_numIfES1_PKPKS1_PKPS1_Ev13rocblas_fill_18rocblas_operation_17rocblas_diagonal_iiT3_T4_lilT5_lili, .Lfunc_end150-_ZL38rocblas_trsm_small_left_device_sharedBILi16ELi16ELb1E19rocblas_complex_numIfES1_PKPKS1_PKPS1_Ev13rocblas_fill_18rocblas_operation_17rocblas_diagonal_iiT3_T4_lilT5_lili
                                        ; -- End function
	.set _ZL38rocblas_trsm_small_left_device_sharedBILi16ELi16ELb1E19rocblas_complex_numIfES1_PKPKS1_PKPS1_Ev13rocblas_fill_18rocblas_operation_17rocblas_diagonal_iiT3_T4_lilT5_lili.num_vgpr, 21
	.set _ZL38rocblas_trsm_small_left_device_sharedBILi16ELi16ELb1E19rocblas_complex_numIfES1_PKPKS1_PKPS1_Ev13rocblas_fill_18rocblas_operation_17rocblas_diagonal_iiT3_T4_lilT5_lili.num_agpr, 0
	.set _ZL38rocblas_trsm_small_left_device_sharedBILi16ELi16ELb1E19rocblas_complex_numIfES1_PKPKS1_PKPS1_Ev13rocblas_fill_18rocblas_operation_17rocblas_diagonal_iiT3_T4_lilT5_lili.numbered_sgpr, 43
	.set _ZL38rocblas_trsm_small_left_device_sharedBILi16ELi16ELb1E19rocblas_complex_numIfES1_PKPKS1_PKPS1_Ev13rocblas_fill_18rocblas_operation_17rocblas_diagonal_iiT3_T4_lilT5_lili.num_named_barrier, 0
	.set _ZL38rocblas_trsm_small_left_device_sharedBILi16ELi16ELb1E19rocblas_complex_numIfES1_PKPKS1_PKPS1_Ev13rocblas_fill_18rocblas_operation_17rocblas_diagonal_iiT3_T4_lilT5_lili.private_seg_size, 144
	.set _ZL38rocblas_trsm_small_left_device_sharedBILi16ELi16ELb1E19rocblas_complex_numIfES1_PKPKS1_PKPS1_Ev13rocblas_fill_18rocblas_operation_17rocblas_diagonal_iiT3_T4_lilT5_lili.uses_vcc, 1
	.set _ZL38rocblas_trsm_small_left_device_sharedBILi16ELi16ELb1E19rocblas_complex_numIfES1_PKPKS1_PKPS1_Ev13rocblas_fill_18rocblas_operation_17rocblas_diagonal_iiT3_T4_lilT5_lili.uses_flat_scratch, 0
	.set _ZL38rocblas_trsm_small_left_device_sharedBILi16ELi16ELb1E19rocblas_complex_numIfES1_PKPKS1_PKPS1_Ev13rocblas_fill_18rocblas_operation_17rocblas_diagonal_iiT3_T4_lilT5_lili.has_dyn_sized_stack, 0
	.set _ZL38rocblas_trsm_small_left_device_sharedBILi16ELi16ELb1E19rocblas_complex_numIfES1_PKPKS1_PKPS1_Ev13rocblas_fill_18rocblas_operation_17rocblas_diagonal_iiT3_T4_lilT5_lili.has_recursion, 0
	.set _ZL38rocblas_trsm_small_left_device_sharedBILi16ELi16ELb1E19rocblas_complex_numIfES1_PKPKS1_PKPS1_Ev13rocblas_fill_18rocblas_operation_17rocblas_diagonal_iiT3_T4_lilT5_lili.has_indirect_call, 0
	.section	.AMDGPU.csdata,"",@progbits
; Kernel info:
; codeLenInByte = 3008
; TotalNumSgprs: 45
; NumVgprs: 21
; ScratchSize: 144
; MemoryBound: 0
; FloatMode: 240
; IeeeMode: 1
; LDSByteSize: 4096 bytes/workgroup (compile time only)
; SGPRBlocks: 0
; VGPRBlocks: 21
; NumSGPRsForWavesPerEU: 45
; NumVGPRsForWavesPerEU: 169
; Occupancy: 8
; WaveLimiterHint : 0
; COMPUTE_PGM_RSRC2:SCRATCH_EN: 1
; COMPUTE_PGM_RSRC2:USER_SGPR: 2
; COMPUTE_PGM_RSRC2:TRAP_HANDLER: 0
; COMPUTE_PGM_RSRC2:TGID_X_EN: 1
; COMPUTE_PGM_RSRC2:TGID_Y_EN: 0
; COMPUTE_PGM_RSRC2:TGID_Z_EN: 1
; COMPUTE_PGM_RSRC2:TIDIG_COMP_CNT: 0
	.section	.text._ZL30rocblas_trsm_small_left_deviceILi16ELi16ELb1E19rocblas_complex_numIfES1_PKPKS1_PKPS1_Ev13rocblas_fill_18rocblas_operation_17rocblas_diagonal_iiT3_T4_lilT5_lili,"axG",@progbits,_ZL30rocblas_trsm_small_left_deviceILi16ELi16ELb1E19rocblas_complex_numIfES1_PKPKS1_PKPS1_Ev13rocblas_fill_18rocblas_operation_17rocblas_diagonal_iiT3_T4_lilT5_lili,comdat
	.globl	_ZL30rocblas_trsm_small_left_deviceILi16ELi16ELb1E19rocblas_complex_numIfES1_PKPKS1_PKPS1_Ev13rocblas_fill_18rocblas_operation_17rocblas_diagonal_iiT3_T4_lilT5_lili ; -- Begin function _ZL30rocblas_trsm_small_left_deviceILi16ELi16ELb1E19rocblas_complex_numIfES1_PKPKS1_PKPS1_Ev13rocblas_fill_18rocblas_operation_17rocblas_diagonal_iiT3_T4_lilT5_lili
	.p2align	8
	.type	_ZL30rocblas_trsm_small_left_deviceILi16ELi16ELb1E19rocblas_complex_numIfES1_PKPKS1_PKPS1_Ev13rocblas_fill_18rocblas_operation_17rocblas_diagonal_iiT3_T4_lilT5_lili,@function
_ZL30rocblas_trsm_small_left_deviceILi16ELi16ELb1E19rocblas_complex_numIfES1_PKPKS1_PKPS1_Ev13rocblas_fill_18rocblas_operation_17rocblas_diagonal_iiT3_T4_lilT5_lili: ; @_ZL30rocblas_trsm_small_left_deviceILi16ELi16ELb1E19rocblas_complex_numIfES1_PKPKS1_PKPS1_Ev13rocblas_fill_18rocblas_operation_17rocblas_diagonal_iiT3_T4_lilT5_lili
; %bb.0:
	s_load_b32 s24, s[0:1], 0x60
	s_lshr_b32 s2, ttmp7, 16
	s_wait_kmcnt 0x0
	s_cmp_ge_u32 s2, s24
	s_cbranch_scc1 .LBB151_63
; %bb.1:
	s_clause 0x5
	s_load_b32 s18, s[0:1], 0x30
	s_load_b128 s[12:15], s[0:1], 0x4
	s_load_b32 s3, s[0:1], 0x68
	s_load_b128 s[4:7], s[0:1], 0x20
	s_load_b128 s[8:11], s[0:1], 0x40
	s_load_b32 s20, s[0:1], 0x50
	v_dual_mov_b32 v1, 0 :: v_dual_lshlrev_b32 v10, 3, v0
	v_lshlrev_b32_e32 v2, 7, v0
	s_load_b64 s[16:17], s[0:1], 0x14
	s_mov_b32 s33, 0
                                        ; implicit-def: $sgpr34
                                        ; implicit-def: $sgpr35
	s_delay_alu instid0(VALU_DEP_1)
	v_add_nc_u32_e32 v11, v10, v2
	s_wait_kmcnt 0x0
	s_ashr_i32 s19, s18, 31
	s_cmp_lg_u32 s12, 0x71
	s_cselect_b32 s25, -1, 0
	s_lshl_b32 s0, ttmp9, 4
	s_min_i32 s26, s14, 16
	v_or_b32_e32 v2, s0, v0
	s_add_co_i32 s3, s3, -1
	s_add_co_i32 s27, s26, -1
	s_sub_co_i32 s1, s15, s0
	s_cmp_ge_u32 ttmp9, s3
	v_mad_co_i64_i32 v[2:3], null, s20, v2, 0
	s_wait_alu 0xfffe
	s_cselect_b32 s1, s1, 16
	s_cmp_lg_u32 s13, 0x84
	v_cmp_gt_i32_e64 s0, s26, v0
	s_cselect_b32 s28, -1, 0
	s_cmp_lg_u32 s12, 0x6f
	s_wait_alu 0xfffe
	v_cmp_gt_i32_e64 s1, s1, v0
	v_lshlrev_b64_e32 v[2:3], 3, v[2:3]
	s_cselect_b32 s29, -1, 0
	s_lshl_b64 s[12:13], s[6:7], 3
	s_lshl_b64 s[10:11], s[10:11], 3
	v_add_co_u32 v0, s3, s12, v10
	s_delay_alu instid0(VALU_DEP_2) | instskip(SKIP_1) | instid1(VALU_DEP_3)
	v_add_co_u32 v4, vcc_lo, v2, s10
	v_add_co_ci_u32_e64 v12, null, s13, 0, s3
	v_or_b32_e32 v13, 4, v0
	v_add_co_ci_u32_e64 v14, null, s11, v3, vcc_lo
	s_delay_alu instid0(VALU_DEP_4)
	v_or_b32_e32 v15, 4, v4
	v_mov_b32_e32 v0, 1.0
	s_lshl_b32 s31, s26, 3
	s_or_b32 s30, 0, 4
	s_lshl_b64 s[6:7], s[18:19], 3
	s_add_co_i32 s31, s31, -8
	s_mov_b32 s13, 0
	s_branch .LBB151_4
.LBB151_2:                              ;   in Loop: Header=BB151_4 Depth=1
	s_add_co_i32 s2, s2, 0x10000
	s_wait_alu 0xfffe
	s_cmp_ge_u32 s2, s24
	s_cselect_b32 s12, -1, 0
	s_and_not1_b32 s35, s35, exec_lo
	s_wait_alu 0xfffe
	s_or_not1_b32 s12, s12, exec_lo
.LBB151_3:                              ;   in Loop: Header=BB151_4 Depth=1
	s_wait_alu 0xfffe
	s_or_b32 exec_lo, exec_lo, s3
	s_delay_alu instid0(SALU_CYCLE_1)
	s_and_b32 s3, exec_lo, s12
	s_wait_alu 0xfffe
	s_or_b32 s33, s3, s33
	s_and_not1_b32 s3, s34, exec_lo
	s_and_b32 s12, s35, exec_lo
	s_wait_alu 0xfffe
	s_or_b32 s34, s3, s12
	s_and_not1_b32 exec_lo, exec_lo, s33
	s_cbranch_execz .LBB151_62
.LBB151_4:                              ; =>This Loop Header: Depth=1
                                        ;     Child Loop BB151_7 Depth 2
                                        ;     Child Loop BB151_23 Depth 2
                                        ;       Child Loop BB151_26 Depth 3
                                        ;         Child Loop BB151_27 Depth 4
                                        ;         Child Loop BB151_29 Depth 4
                                        ;           Child Loop BB151_30 Depth 5
                                        ;         Child Loop BB151_34 Depth 4
                                        ;           Child Loop BB151_36 Depth 5
                                        ;     Child Loop BB151_44 Depth 2
                                        ;       Child Loop BB151_47 Depth 3
                                        ;         Child Loop BB151_48 Depth 4
                                        ;         Child Loop BB151_51 Depth 4
                                        ;           Child Loop BB151_52 Depth 5
                                        ;         Child Loop BB151_56 Depth 4
                                        ;           Child Loop BB151_58 Depth 5
	s_wait_alu 0xfffe
	s_mov_b32 s3, s13
	s_wait_alu 0xfffe
	s_lshl_b64 s[14:15], s[2:3], 3
	s_delay_alu instid0(SALU_CYCLE_1)
	s_add_nc_u64 s[18:19], s[8:9], s[14:15]
	global_load_b64 v[4:5], v1, s[18:19]
	s_and_saveexec_b32 s3, s0
	s_cbranch_execz .LBB151_19
; %bb.5:                                ;   in Loop: Header=BB151_4 Depth=1
	s_add_nc_u64 s[14:15], s[4:5], s[14:15]
	v_mov_b32_e32 v16, v10
	global_load_b64 v[6:7], v1, s[14:15]
	s_mov_b32 s12, s26
	s_wait_loadcnt 0x0
	v_add_co_u32 v6, vcc_lo, v6, v13
	s_wait_alu 0xfffd
	v_add_co_ci_u32_e64 v7, null, v7, v12, vcc_lo
	s_branch .LBB151_7
.LBB151_6:                              ;   in Loop: Header=BB151_7 Depth=2
	flat_load_b32 v8, v[6:7] offset:-4
	v_add_co_u32 v6, vcc_lo, v6, s6
	s_wait_alu 0xfffd
	v_add_co_ci_u32_e64 v7, null, s7, v7, vcc_lo
	s_add_co_i32 s12, s12, -1
	s_wait_alu 0xfffe
	s_cmp_eq_u32 s12, 0
	s_wait_loadcnt_dscnt 0x0
	ds_store_b64 v16, v[8:9]
	v_add_nc_u32_e32 v16, 0x80, v16
	s_cbranch_scc1 .LBB151_11
.LBB151_7:                              ;   Parent Loop BB151_4 Depth=1
                                        ; =>  This Inner Loop Header: Depth=2
	s_and_b32 vcc_lo, exec_lo, s25
	s_mov_b32 s14, -1
                                        ; implicit-def: $vgpr9
	s_wait_alu 0xfffe
	s_cbranch_vccz .LBB151_9
; %bb.8:                                ;   in Loop: Header=BB151_7 Depth=2
	flat_load_b32 v9, v[6:7]
	s_mov_b32 s14, 0
.LBB151_9:                              ;   in Loop: Header=BB151_7 Depth=2
	s_delay_alu instid0(SALU_CYCLE_1)
	s_and_not1_b32 vcc_lo, exec_lo, s14
	s_wait_alu 0xfffe
	s_cbranch_vccnz .LBB151_6
; %bb.10:                               ;   in Loop: Header=BB151_7 Depth=2
	flat_load_b32 v8, v[6:7]
	s_wait_loadcnt_dscnt 0x0
	v_xor_b32_e32 v9, 0x80000000, v8
	s_branch .LBB151_6
.LBB151_11:                             ;   in Loop: Header=BB151_4 Depth=1
	s_and_b32 vcc_lo, exec_lo, s28
	s_mov_b32 s12, -1
	s_wait_alu 0xfffe
	s_cbranch_vccz .LBB151_17
; %bb.12:                               ;   in Loop: Header=BB151_4 Depth=1
	ds_load_b64 v[6:7], v11
                                        ; implicit-def: $vgpr8
	s_wait_dscnt 0x0
	v_cmp_ngt_f32_e64 s12, |v6|, |v7|
	s_and_saveexec_b32 s14, s12
	s_delay_alu instid0(SALU_CYCLE_1)
	s_xor_b32 s12, exec_lo, s14
	s_cbranch_execz .LBB151_14
; %bb.13:                               ;   in Loop: Header=BB151_4 Depth=1
	v_div_scale_f32 v8, null, v7, v7, v6
	v_div_scale_f32 v17, vcc_lo, v6, v7, v6
	s_delay_alu instid0(VALU_DEP_2) | instskip(NEXT) | instid1(TRANS32_DEP_1)
	v_rcp_f32_e32 v9, v8
	v_fma_f32 v16, -v8, v9, 1.0
	s_delay_alu instid0(VALU_DEP_1) | instskip(NEXT) | instid1(VALU_DEP_1)
	v_fmac_f32_e32 v9, v16, v9
	v_mul_f32_e32 v16, v17, v9
	s_delay_alu instid0(VALU_DEP_1) | instskip(NEXT) | instid1(VALU_DEP_1)
	v_fma_f32 v18, -v8, v16, v17
	v_fmac_f32_e32 v16, v18, v9
	s_delay_alu instid0(VALU_DEP_1) | instskip(SKIP_1) | instid1(VALU_DEP_1)
	v_fma_f32 v8, -v8, v16, v17
	s_wait_alu 0xfffd
	v_div_fmas_f32 v8, v8, v9, v16
	s_delay_alu instid0(VALU_DEP_1) | instskip(NEXT) | instid1(VALU_DEP_1)
	v_div_fixup_f32 v8, v8, v7, v6
	v_fmac_f32_e32 v7, v6, v8
	s_delay_alu instid0(VALU_DEP_1) | instskip(SKIP_1) | instid1(VALU_DEP_2)
	v_div_scale_f32 v6, null, v7, v7, 1.0
	v_div_scale_f32 v17, vcc_lo, 1.0, v7, 1.0
	v_rcp_f32_e32 v9, v6
	s_delay_alu instid0(TRANS32_DEP_1) | instskip(NEXT) | instid1(VALU_DEP_1)
	v_fma_f32 v16, -v6, v9, 1.0
	v_fmac_f32_e32 v9, v16, v9
	s_delay_alu instid0(VALU_DEP_1) | instskip(NEXT) | instid1(VALU_DEP_1)
	v_mul_f32_e32 v16, v17, v9
	v_fma_f32 v18, -v6, v16, v17
	s_delay_alu instid0(VALU_DEP_1) | instskip(NEXT) | instid1(VALU_DEP_1)
	v_fmac_f32_e32 v16, v18, v9
	v_fma_f32 v6, -v6, v16, v17
	s_wait_alu 0xfffd
	s_delay_alu instid0(VALU_DEP_1) | instskip(SKIP_1) | instid1(VALU_DEP_2)
	v_div_fmas_f32 v6, v6, v9, v16
	v_add_f32_e32 v9, 0, v8
	v_div_fixup_f32 v6, v6, v7, 1.0
	v_fma_f32 v7, v8, 0, -1.0
	s_delay_alu instid0(VALU_DEP_2) | instskip(NEXT) | instid1(VALU_DEP_2)
	v_mul_f32_e32 v8, v9, v6
	v_mul_f32_e32 v9, v7, v6
                                        ; implicit-def: $vgpr6_vgpr7
.LBB151_14:                             ;   in Loop: Header=BB151_4 Depth=1
	s_wait_alu 0xfffe
	s_and_not1_saveexec_b32 s12, s12
	s_cbranch_execz .LBB151_16
; %bb.15:                               ;   in Loop: Header=BB151_4 Depth=1
	v_div_scale_f32 v8, null, v6, v6, v7
	v_div_scale_f32 v17, vcc_lo, v7, v6, v7
	s_delay_alu instid0(VALU_DEP_2) | instskip(NEXT) | instid1(TRANS32_DEP_1)
	v_rcp_f32_e32 v9, v8
	v_fma_f32 v16, -v8, v9, 1.0
	s_delay_alu instid0(VALU_DEP_1) | instskip(NEXT) | instid1(VALU_DEP_1)
	v_fmac_f32_e32 v9, v16, v9
	v_mul_f32_e32 v16, v17, v9
	s_delay_alu instid0(VALU_DEP_1) | instskip(NEXT) | instid1(VALU_DEP_1)
	v_fma_f32 v18, -v8, v16, v17
	v_fmac_f32_e32 v16, v18, v9
	s_delay_alu instid0(VALU_DEP_1) | instskip(SKIP_1) | instid1(VALU_DEP_1)
	v_fma_f32 v8, -v8, v16, v17
	s_wait_alu 0xfffd
	v_div_fmas_f32 v8, v8, v9, v16
	s_delay_alu instid0(VALU_DEP_1) | instskip(NEXT) | instid1(VALU_DEP_1)
	v_div_fixup_f32 v9, v8, v6, v7
	v_fmac_f32_e32 v6, v7, v9
	s_delay_alu instid0(VALU_DEP_1) | instskip(SKIP_1) | instid1(VALU_DEP_2)
	v_div_scale_f32 v7, null, v6, v6, 1.0
	v_div_scale_f32 v17, vcc_lo, 1.0, v6, 1.0
	v_rcp_f32_e32 v8, v7
	s_delay_alu instid0(TRANS32_DEP_1) | instskip(NEXT) | instid1(VALU_DEP_1)
	v_fma_f32 v16, -v7, v8, 1.0
	v_fmac_f32_e32 v8, v16, v8
	s_delay_alu instid0(VALU_DEP_1) | instskip(NEXT) | instid1(VALU_DEP_1)
	v_mul_f32_e32 v16, v17, v8
	v_fma_f32 v18, -v7, v16, v17
	s_delay_alu instid0(VALU_DEP_1) | instskip(NEXT) | instid1(VALU_DEP_1)
	v_fmac_f32_e32 v16, v18, v8
	v_fma_f32 v7, -v7, v16, v17
	s_wait_alu 0xfffd
	s_delay_alu instid0(VALU_DEP_1) | instskip(SKIP_1) | instid1(VALU_DEP_2)
	v_div_fmas_f32 v7, v7, v8, v16
	v_fma_f32 v8, v9, 0, 1.0
	v_div_fixup_f32 v6, v7, v6, 1.0
	s_delay_alu instid0(VALU_DEP_1)
	v_mul_f32_e32 v8, v8, v6
	v_mul_f32_e64 v9, -v9, v6
.LBB151_16:                             ;   in Loop: Header=BB151_4 Depth=1
	s_wait_alu 0xfffe
	s_or_b32 exec_lo, exec_lo, s12
	s_mov_b32 s12, 0
	ds_store_b64 v11, v[8:9]
.LBB151_17:                             ;   in Loop: Header=BB151_4 Depth=1
	s_wait_alu 0xfffe
	s_and_b32 vcc_lo, exec_lo, s12
	s_wait_alu 0xfffe
	s_cbranch_vccz .LBB151_19
; %bb.18:                               ;   in Loop: Header=BB151_4 Depth=1
	ds_store_b64 v11, v[0:1]
.LBB151_19:                             ;   in Loop: Header=BB151_4 Depth=1
	s_wait_alu 0xfffe
	s_or_b32 exec_lo, exec_lo, s3
	s_mov_b32 s12, -1
	s_or_b32 s35, s35, exec_lo
	; wave barrier
	s_wait_loadcnt_dscnt 0x0
	global_inv scope:SCOPE_SE
	s_and_saveexec_b32 s3, s1
	s_cbranch_execz .LBB151_3
; %bb.20:                               ;   in Loop: Header=BB151_4 Depth=1
	v_add_co_u32 v6, vcc_lo, v4, s10
	s_wait_alu 0xfffd
	v_add_co_ci_u32_e64 v7, null, s11, v5, vcc_lo
	s_delay_alu instid0(VALU_DEP_2) | instskip(SKIP_1) | instid1(VALU_DEP_2)
	v_add_co_u32 v8, vcc_lo, v6, v2
	s_wait_alu 0xfffd
	v_add_co_ci_u32_e64 v9, null, v7, v3, vcc_lo
	s_and_not1_b32 vcc_lo, exec_lo, s29
	s_wait_alu 0xfffe
	s_cbranch_vccnz .LBB151_41
; %bb.21:                               ;   in Loop: Header=BB151_4 Depth=1
	v_add_co_u32 v16, vcc_lo, v4, v15
	s_wait_alu 0xfffd
	v_add_co_ci_u32_e64 v17, null, v5, v14, vcc_lo
	s_mov_b32 s12, 0
	s_mov_b32 s14, s27
	s_branch .LBB151_23
.LBB151_22:                             ;   in Loop: Header=BB151_23 Depth=2
	s_cmp_gt_i32 s14, -1
	s_cselect_b32 s15, -1, 0
	s_add_co_i32 s18, s12, 1
	s_cmp_lt_u32 s12, 2
	s_cselect_b32 s12, -1, 0
	s_wait_alu 0xfffe
	s_and_b32 s12, s15, s12
	s_wait_alu 0xfffe
	s_and_b32 vcc_lo, exec_lo, s12
	s_mov_b32 s12, s18
	s_wait_alu 0xfffe
	s_cbranch_vccz .LBB151_40
.LBB151_23:                             ;   Parent Loop BB151_4 Depth=1
                                        ; =>  This Loop Header: Depth=2
                                        ;       Child Loop BB151_26 Depth 3
                                        ;         Child Loop BB151_27 Depth 4
                                        ;         Child Loop BB151_29 Depth 4
                                        ;           Child Loop BB151_30 Depth 5
                                        ;         Child Loop BB151_34 Depth 4
                                        ;           Child Loop BB151_36 Depth 5
	s_getpc_b64 s[18:19]
	s_wait_alu 0xfffe
	s_sext_i32_i16 s19, s19
	s_add_co_u32 s18, s18, __const._ZL30rocblas_trsm_small_left_deviceILi16ELi16ELb1E19rocblas_complex_numIfES1_PKPKS1_PKPS1_Ev13rocblas_fill_18rocblas_operation_17rocblas_diagonal_iiT3_T4_lilT5_lili.step_sizes@rel32@lo+12
	s_wait_alu 0xfffe
	s_add_co_ci_u32 s19, s19, __const._ZL30rocblas_trsm_small_left_deviceILi16ELi16ELb1E19rocblas_complex_numIfES1_PKPKS1_PKPS1_Ev13rocblas_fill_18rocblas_operation_17rocblas_diagonal_iiT3_T4_lilT5_lili.step_sizes@rel32@hi+24
	s_lshl_b64 s[20:21], s[12:13], 2
	s_wait_alu 0xfffe
	s_add_nc_u64 s[18:19], s[18:19], s[20:21]
	s_load_b32 s22, s[18:19], 0x0
	s_wait_kmcnt 0x0
	s_add_co_i32 s23, s22, -1
	s_wait_alu 0xfffe
	s_cmp_lt_i32 s14, s23
	s_cbranch_scc1 .LBB151_22
; %bb.24:                               ;   in Loop: Header=BB151_23 Depth=2
	s_lshl_b32 s15, s14, 7
	s_lshl_b32 s18, s22, 7
	s_max_i32 s36, s22, 1
	s_add_co_i32 s37, s31, s15
	s_wait_alu 0xfffe
	s_sub_co_i32 s38, 0, s18
	s_mul_i32 s39, s14, 0x88
	s_mul_i32 s40, s22, 0xffffff78
	s_branch .LBB151_26
.LBB151_25:                             ;   in Loop: Header=BB151_26 Depth=3
	s_sub_co_i32 s14, s14, s22
	s_add_co_i32 s37, s37, s38
	s_add_co_i32 s39, s39, s40
	s_cmp_lt_i32 s14, s23
	s_cbranch_scc1 .LBB151_22
.LBB151_26:                             ;   Parent Loop BB151_4 Depth=1
                                        ;     Parent Loop BB151_23 Depth=2
                                        ; =>    This Loop Header: Depth=3
                                        ;         Child Loop BB151_27 Depth 4
                                        ;         Child Loop BB151_29 Depth 4
                                        ;           Child Loop BB151_30 Depth 5
                                        ;         Child Loop BB151_34 Depth 4
                                        ;           Child Loop BB151_36 Depth 5
	s_ashr_i32 s15, s14, 31
	s_delay_alu instid0(SALU_CYCLE_1)
	s_lshl_b64 s[18:19], s[14:15], 3
	s_wait_alu 0xfffe
	v_add_co_u32 v6, vcc_lo, v16, s18
	s_wait_alu 0xfffd
	v_add_co_ci_u32_e64 v7, null, s19, v17, vcc_lo
	s_mov_b32 s18, 4
	s_mov_b32 s19, s36
.LBB151_27:                             ;   Parent Loop BB151_4 Depth=1
                                        ;     Parent Loop BB151_23 Depth=2
                                        ;       Parent Loop BB151_26 Depth=3
                                        ; =>      This Inner Loop Header: Depth=4
	flat_load_b64 v[18:19], v[6:7] offset:-4
	v_add_co_u32 v6, vcc_lo, v6, -8
	s_wait_alu 0xfffd
	v_add_co_ci_u32_e64 v7, null, -1, v7, vcc_lo
	s_wait_alu 0xfffe
	s_add_co_i32 s19, s19, -1
	s_mov_b32 s20, s18
	s_add_co_i32 s18, s18, 8
	s_wait_alu 0xfffe
	s_cmp_eq_u32 s19, 0
	s_wait_loadcnt_dscnt 0x0
	v_mul_f32_e32 v20, s16, v19
	s_delay_alu instid0(VALU_DEP_1) | instskip(NEXT) | instid1(VALU_DEP_1)
	v_dual_mul_f32 v21, s17, v19 :: v_dual_fmac_f32 v20, s17, v18
	v_fma_f32 v19, v18, s16, -v21
	scratch_store_b64 off, v[19:20], s20 offset:-4
	s_cbranch_scc0 .LBB151_27
; %bb.28:                               ;   in Loop: Header=BB151_26 Depth=3
	s_cmp_le_i32 s27, s14
	s_mov_b32 s20, s37
	s_mov_b32 s18, s27
	s_cbranch_scc1 .LBB151_32
.LBB151_29:                             ;   Parent Loop BB151_4 Depth=1
                                        ;     Parent Loop BB151_23 Depth=2
                                        ;       Parent Loop BB151_26 Depth=3
                                        ; =>      This Loop Header: Depth=4
                                        ;           Child Loop BB151_30 Depth 5
	s_wait_alu 0xfffe
	s_ashr_i32 s19, s18, 31
	s_mov_b32 s21, s20
	s_wait_alu 0xfffe
	s_lshl_b64 s[42:43], s[18:19], 3
	s_mov_b32 s19, s30
	s_wait_alu 0xfffe
	v_add_co_u32 v6, vcc_lo, v8, s42
	s_wait_alu 0xfffd
	v_add_co_ci_u32_e64 v7, null, s43, v9, vcc_lo
	s_mov_b32 s41, s36
	flat_load_b64 v[6:7], v[6:7]
.LBB151_30:                             ;   Parent Loop BB151_4 Depth=1
                                        ;     Parent Loop BB151_23 Depth=2
                                        ;       Parent Loop BB151_26 Depth=3
                                        ;         Parent Loop BB151_29 Depth=4
                                        ; =>        This Inner Loop Header: Depth=5
	scratch_load_b64 v[18:19], off, s19 offset:-4
	v_mov_b32_e32 v20, s21
	s_wait_alu 0xfffe
	s_add_co_i32 s41, s41, -1
	s_addk_co_i32 s21, 0xff80
	ds_load_b64 v[20:21], v20
	s_wait_loadcnt_dscnt 0x100
	v_mul_f32_e32 v22, v21, v7
	v_mul_f32_e32 v21, v21, v6
	s_delay_alu instid0(VALU_DEP_1) | instskip(SKIP_1) | instid1(VALU_DEP_1)
	v_fmac_f32_e32 v21, v20, v7
	s_wait_loadcnt 0x0
	v_sub_f32_e32 v19, v19, v21
	v_fma_f32 v22, v20, v6, -v22
	s_delay_alu instid0(VALU_DEP_1)
	v_sub_f32_e32 v18, v18, v22
	scratch_store_b64 off, v[18:19], s19 offset:-4
	s_add_co_i32 s19, s19, 8
	s_wait_alu 0xfffe
	s_cmp_eq_u32 s41, 0
	s_cbranch_scc0 .LBB151_30
; %bb.31:                               ;   in Loop: Header=BB151_29 Depth=4
	s_add_co_i32 s18, s18, -1
	s_add_co_i32 s20, s20, -8
	s_wait_alu 0xfffe
	s_cmp_le_i32 s18, s14
	s_cbranch_scc0 .LBB151_29
.LBB151_32:                             ;   in Loop: Header=BB151_26 Depth=3
	s_mov_b32 s41, 0
	s_mov_b32 s42, s39
	s_branch .LBB151_34
.LBB151_33:                             ;   in Loop: Header=BB151_34 Depth=4
	s_wait_alu 0xfffe
	s_mulk_i32 s20, 0x88
	s_lshl_b64 s[18:19], s[18:19], 3
	s_wait_alu 0xfffe
	v_mov_b32_e32 v18, s20
	s_lshl_b32 s20, s41, 3
	s_add_co_i32 s41, s41, 1
	s_addk_co_i32 s42, 0xff80
	s_wait_alu 0xfffe
	s_cmp_eq_u32 s41, s36
	ds_load_b64 v[18:19], v18
	s_wait_loadcnt_dscnt 0x0
	v_mul_f32_e32 v20, v19, v7
	v_mul_f32_e32 v21, v18, v7
	s_delay_alu instid0(VALU_DEP_2) | instskip(NEXT) | instid1(VALU_DEP_2)
	v_fma_f32 v20, v18, v6, -v20
	v_fmac_f32_e32 v21, v19, v6
	v_add_co_u32 v6, vcc_lo, v8, s18
	s_wait_alu 0xfffd
	v_add_co_ci_u32_e64 v7, null, s19, v9, vcc_lo
	scratch_store_b64 off, v[20:21], s20
	flat_store_b64 v[6:7], v[20:21]
	s_cbranch_scc1 .LBB151_25
.LBB151_34:                             ;   Parent Loop BB151_4 Depth=1
                                        ;     Parent Loop BB151_23 Depth=2
                                        ;       Parent Loop BB151_26 Depth=3
                                        ; =>      This Loop Header: Depth=4
                                        ;           Child Loop BB151_36 Depth 5
	s_wait_alu 0xfffe
	s_cmp_lg_u32 s41, 0
	s_cbranch_scc0 .LBB151_38
; %bb.35:                               ;   in Loop: Header=BB151_34 Depth=4
	s_lshl_b32 s18, s41, 3
	s_mov_b32 s19, 0
	scratch_load_b64 v[6:7], off, s18
	s_mov_b32 s20, s42
	s_mov_b32 s21, s41
.LBB151_36:                             ;   Parent Loop BB151_4 Depth=1
                                        ;     Parent Loop BB151_23 Depth=2
                                        ;       Parent Loop BB151_26 Depth=3
                                        ;         Parent Loop BB151_34 Depth=4
                                        ; =>        This Inner Loop Header: Depth=5
	scratch_load_b64 v[18:19], off, s19
	s_wait_alu 0xfffe
	v_mov_b32_e32 v20, s20
	s_add_co_i32 s21, s21, -1
	s_add_co_i32 s20, s20, -8
	s_add_co_i32 s19, s19, 8
	s_wait_alu 0xfffe
	s_cmp_eq_u32 s21, 0
	ds_load_b64 v[20:21], v20
	s_wait_loadcnt_dscnt 0x0
	v_mul_f32_e32 v22, v21, v19
	v_mul_f32_e32 v19, v20, v19
	s_delay_alu instid0(VALU_DEP_2) | instskip(NEXT) | instid1(VALU_DEP_1)
	v_fma_f32 v20, v20, v18, -v22
	v_dual_sub_f32 v6, v6, v20 :: v_dual_fmac_f32 v19, v21, v18
	s_delay_alu instid0(VALU_DEP_1)
	v_sub_f32_e32 v7, v7, v19
	scratch_store_b64 off, v[6:7], s18
	s_cbranch_scc0 .LBB151_36
; %bb.37:                               ;   in Loop: Header=BB151_34 Depth=4
	s_sub_co_i32 s20, s14, s41
	s_wait_alu 0xfffe
	s_ashr_i32 s21, s20, 31
	s_wait_alu 0xfffe
	s_mov_b64 s[18:19], s[20:21]
	s_branch .LBB151_33
.LBB151_38:                             ;   in Loop: Header=BB151_34 Depth=4
                                        ; implicit-def: $vgpr6
                                        ; implicit-def: $sgpr20
                                        ; implicit-def: $sgpr18_sgpr19
	s_cbranch_execz .LBB151_33
; %bb.39:                               ;   in Loop: Header=BB151_34 Depth=4
	scratch_load_b64 v[6:7], off, off
	s_mov_b64 s[18:19], s[14:15]
	s_mov_b32 s20, s14
	s_branch .LBB151_33
.LBB151_40:                             ;   in Loop: Header=BB151_4 Depth=1
	s_mov_b32 s12, 0
.LBB151_41:                             ;   in Loop: Header=BB151_4 Depth=1
	s_wait_alu 0xfffe
	s_and_b32 vcc_lo, exec_lo, s12
	s_wait_alu 0xfffe
	s_cbranch_vccz .LBB151_2
; %bb.42:                               ;   in Loop: Header=BB151_4 Depth=1
	v_add_co_u32 v16, vcc_lo, v4, v15
	s_wait_alu 0xfffd
	v_add_co_ci_u32_e64 v17, null, v5, v14, vcc_lo
	s_mov_b32 s14, 0
	s_mov_b32 s18, 0
	s_branch .LBB151_44
.LBB151_43:                             ;   in Loop: Header=BB151_44 Depth=2
	s_cmp_lt_i32 s14, s26
	s_cselect_b32 s12, -1, 0
	s_add_co_i32 s15, s18, 1
	s_cmp_lt_u32 s18, 2
	s_cselect_b32 s18, -1, 0
	s_wait_alu 0xfffe
	s_and_b32 s12, s12, s18
	s_mov_b32 s18, s15
	s_wait_alu 0xfffe
	s_and_not1_b32 vcc_lo, exec_lo, s12
	s_wait_alu 0xfffe
	s_cbranch_vccnz .LBB151_2
.LBB151_44:                             ;   Parent Loop BB151_4 Depth=1
                                        ; =>  This Loop Header: Depth=2
                                        ;       Child Loop BB151_47 Depth 3
                                        ;         Child Loop BB151_48 Depth 4
                                        ;         Child Loop BB151_51 Depth 4
                                        ;           Child Loop BB151_52 Depth 5
                                        ;         Child Loop BB151_56 Depth 4
                                        ;           Child Loop BB151_58 Depth 5
	s_mov_b32 s19, s13
	s_getpc_b64 s[20:21]
	s_wait_alu 0xfffe
	s_sext_i32_i16 s21, s21
	s_add_co_u32 s20, s20, __const._ZL30rocblas_trsm_small_left_deviceILi16ELi16ELb1E19rocblas_complex_numIfES1_PKPKS1_PKPS1_Ev13rocblas_fill_18rocblas_operation_17rocblas_diagonal_iiT3_T4_lilT5_lili.step_sizes@rel32@lo+12
	s_wait_alu 0xfffe
	s_add_co_ci_u32 s21, s21, __const._ZL30rocblas_trsm_small_left_deviceILi16ELi16ELb1E19rocblas_complex_numIfES1_PKPKS1_PKPS1_Ev13rocblas_fill_18rocblas_operation_17rocblas_diagonal_iiT3_T4_lilT5_lili.step_sizes@rel32@hi+24
	s_lshl_b64 s[22:23], s[18:19], 2
	s_wait_alu 0xfffe
	s_add_nc_u64 s[20:21], s[20:21], s[22:23]
	s_load_b32 s20, s[20:21], 0x0
	s_wait_kmcnt 0x0
	s_add_co_i32 s19, s20, -1
	s_wait_alu 0xfffe
	s_add_co_i32 s12, s19, s14
	s_wait_alu 0xfffe
	s_cmp_ge_i32 s12, s26
	s_cbranch_scc1 .LBB151_43
; %bb.45:                               ;   in Loop: Header=BB151_44 Depth=2
	s_ashr_i32 s15, s14, 31
	s_ashr_i32 s21, s20, 31
	s_lshl_b64 s[22:23], s[14:15], 3
	s_max_i32 s36, s20, 1
	s_wait_alu 0xfffe
	v_add_co_u32 v4, vcc_lo, v16, s22
	s_wait_alu 0xfffd
	v_add_co_ci_u32_e64 v5, null, s23, v17, vcc_lo
	s_lshl_b64 s[22:23], s[20:21], 3
	s_lshl_b32 s15, s14, 3
	s_lshl_b32 s21, s20, 3
	s_mul_i32 s37, s14, 0x88
	s_mul_i32 s38, s20, 0x88
	s_branch .LBB151_47
.LBB151_46:                             ;   in Loop: Header=BB151_47 Depth=3
	v_add_co_u32 v4, vcc_lo, v4, s22
	s_add_co_i32 s14, s14, s20
	s_wait_alu 0xfffd
	v_add_co_ci_u32_e64 v5, null, s23, v5, vcc_lo
	s_add_co_i32 s12, s19, s14
	s_add_co_i32 s15, s15, s21
	;; [unrolled: 1-line block ×3, first 2 shown]
	s_wait_alu 0xfffe
	s_cmp_ge_i32 s12, s26
	s_cbranch_scc1 .LBB151_43
.LBB151_47:                             ;   Parent Loop BB151_4 Depth=1
                                        ;     Parent Loop BB151_44 Depth=2
                                        ; =>    This Loop Header: Depth=3
                                        ;         Child Loop BB151_48 Depth 4
                                        ;         Child Loop BB151_51 Depth 4
                                        ;           Child Loop BB151_52 Depth 5
                                        ;         Child Loop BB151_56 Depth 4
                                        ;           Child Loop BB151_58 Depth 5
	v_dual_mov_b32 v7, v5 :: v_dual_mov_b32 v6, v4
	s_mov_b32 s12, 4
	s_mov_b32 s39, s36
.LBB151_48:                             ;   Parent Loop BB151_4 Depth=1
                                        ;     Parent Loop BB151_44 Depth=2
                                        ;       Parent Loop BB151_47 Depth=3
                                        ; =>      This Inner Loop Header: Depth=4
	flat_load_b64 v[18:19], v[6:7] offset:-4
	v_add_co_u32 v6, vcc_lo, v6, 8
	s_wait_alu 0xfffd
	v_add_co_ci_u32_e64 v7, null, 0, v7, vcc_lo
	s_add_co_i32 s39, s39, -1
	s_wait_alu 0xfffe
	s_mov_b32 s40, s12
	s_add_co_i32 s12, s12, 8
	s_cmp_eq_u32 s39, 0
	s_wait_loadcnt_dscnt 0x0
	v_mul_f32_e32 v20, s16, v19
	s_delay_alu instid0(VALU_DEP_1) | instskip(NEXT) | instid1(VALU_DEP_1)
	v_dual_mul_f32 v21, s17, v19 :: v_dual_fmac_f32 v20, s17, v18
	v_fma_f32 v19, v18, s16, -v21
	scratch_store_b64 off, v[19:20], s40 offset:-4
	s_cbranch_scc0 .LBB151_48
; %bb.49:                               ;   in Loop: Header=BB151_47 Depth=3
	s_cmp_lt_i32 s14, 1
	s_cbranch_scc1 .LBB151_54
; %bb.50:                               ;   in Loop: Header=BB151_47 Depth=3
	s_mov_b32 s12, 0
	s_mov_b32 s39, s15
.LBB151_51:                             ;   Parent Loop BB151_4 Depth=1
                                        ;     Parent Loop BB151_44 Depth=2
                                        ;       Parent Loop BB151_47 Depth=3
                                        ; =>      This Loop Header: Depth=4
                                        ;           Child Loop BB151_52 Depth 5
	s_wait_alu 0xfffe
	s_lshl_b64 s[40:41], s[12:13], 3
	s_mov_b32 s42, s36
	s_wait_alu 0xfffe
	v_add_co_u32 v6, vcc_lo, v8, s40
	s_wait_alu 0xfffd
	v_add_co_ci_u32_e64 v7, null, s41, v9, vcc_lo
	s_mov_b32 s40, s30
	s_mov_b32 s41, s39
	flat_load_b64 v[6:7], v[6:7]
.LBB151_52:                             ;   Parent Loop BB151_4 Depth=1
                                        ;     Parent Loop BB151_44 Depth=2
                                        ;       Parent Loop BB151_47 Depth=3
                                        ;         Parent Loop BB151_51 Depth=4
                                        ; =>        This Inner Loop Header: Depth=5
	scratch_load_b64 v[18:19], off, s40 offset:-4
	s_wait_alu 0xfffe
	v_mov_b32_e32 v20, s41
	s_add_co_i32 s42, s42, -1
	s_add_co_i32 s41, s41, 8
	ds_load_b64 v[20:21], v20
	s_wait_loadcnt_dscnt 0x100
	v_mul_f32_e32 v22, v21, v7
	v_mul_f32_e32 v21, v21, v6
	s_delay_alu instid0(VALU_DEP_1) | instskip(SKIP_1) | instid1(VALU_DEP_1)
	v_fmac_f32_e32 v21, v20, v7
	s_wait_loadcnt 0x0
	v_sub_f32_e32 v19, v19, v21
	v_fma_f32 v22, v20, v6, -v22
	s_delay_alu instid0(VALU_DEP_1)
	v_sub_f32_e32 v18, v18, v22
	scratch_store_b64 off, v[18:19], s40 offset:-4
	s_add_co_i32 s40, s40, 8
	s_wait_alu 0xfffe
	s_cmp_eq_u32 s42, 0
	s_cbranch_scc0 .LBB151_52
; %bb.53:                               ;   in Loop: Header=BB151_51 Depth=4
	s_add_co_i32 s12, s12, 1
	s_addk_co_i32 s39, 0x80
	s_wait_alu 0xfffe
	s_cmp_eq_u32 s12, s14
	s_cbranch_scc0 .LBB151_51
.LBB151_54:                             ;   in Loop: Header=BB151_47 Depth=3
	s_mov_b32 s12, 0
	s_mov_b32 s39, s37
	s_branch .LBB151_56
.LBB151_55:                             ;   in Loop: Header=BB151_56 Depth=4
	s_add_co_i32 s40, s12, s14
	s_lshl_b32 s42, s12, 3
	s_wait_alu 0xfffe
	s_mul_i32 s41, s40, 0x88
	s_add_co_i32 s12, s12, 1
	s_wait_alu 0xfffe
	v_mov_b32_e32 v18, s41
	s_ashr_i32 s41, s40, 31
	s_add_co_i32 s39, s39, 8
	s_wait_alu 0xfffe
	s_lshl_b64 s[40:41], s[40:41], 3
	s_cmp_eq_u32 s12, s36
	ds_load_b64 v[18:19], v18
	s_wait_loadcnt_dscnt 0x0
	v_mul_f32_e32 v20, v19, v7
	v_mul_f32_e32 v21, v18, v7
	s_delay_alu instid0(VALU_DEP_2) | instskip(NEXT) | instid1(VALU_DEP_2)
	v_fma_f32 v20, v18, v6, -v20
	v_fmac_f32_e32 v21, v19, v6
	s_wait_alu 0xfffe
	v_add_co_u32 v6, vcc_lo, v8, s40
	s_wait_alu 0xfffd
	v_add_co_ci_u32_e64 v7, null, s41, v9, vcc_lo
	scratch_store_b64 off, v[20:21], s42
	flat_store_b64 v[6:7], v[20:21]
	s_cbranch_scc1 .LBB151_46
.LBB151_56:                             ;   Parent Loop BB151_4 Depth=1
                                        ;     Parent Loop BB151_44 Depth=2
                                        ;       Parent Loop BB151_47 Depth=3
                                        ; =>      This Loop Header: Depth=4
                                        ;           Child Loop BB151_58 Depth 5
	s_wait_alu 0xfffe
	s_cmp_lg_u32 s12, 0
	s_cbranch_scc0 .LBB151_60
; %bb.57:                               ;   in Loop: Header=BB151_56 Depth=4
	s_lshl_b32 s40, s12, 3
	s_mov_b32 s41, 0
	scratch_load_b64 v[6:7], off, s40
	s_mov_b32 s42, s39
	s_mov_b32 s43, s12
.LBB151_58:                             ;   Parent Loop BB151_4 Depth=1
                                        ;     Parent Loop BB151_44 Depth=2
                                        ;       Parent Loop BB151_47 Depth=3
                                        ;         Parent Loop BB151_56 Depth=4
                                        ; =>        This Inner Loop Header: Depth=5
	scratch_load_b64 v[18:19], off, s41
	s_wait_alu 0xfffe
	v_mov_b32_e32 v20, s42
	s_add_co_i32 s43, s43, -1
	s_addk_co_i32 s42, 0x80
	s_add_co_i32 s41, s41, 8
	s_wait_alu 0xfffe
	s_cmp_eq_u32 s43, 0
	ds_load_b64 v[20:21], v20
	s_wait_loadcnt_dscnt 0x0
	v_mul_f32_e32 v22, v21, v19
	v_mul_f32_e32 v19, v20, v19
	s_delay_alu instid0(VALU_DEP_2) | instskip(NEXT) | instid1(VALU_DEP_1)
	v_fma_f32 v20, v20, v18, -v22
	v_dual_sub_f32 v6, v6, v20 :: v_dual_fmac_f32 v19, v21, v18
	s_delay_alu instid0(VALU_DEP_1)
	v_sub_f32_e32 v7, v7, v19
	scratch_store_b64 off, v[6:7], s40
	s_cbranch_scc0 .LBB151_58
; %bb.59:                               ;   in Loop: Header=BB151_56 Depth=4
	s_branch .LBB151_55
.LBB151_60:                             ;   in Loop: Header=BB151_56 Depth=4
                                        ; implicit-def: $vgpr6
	s_cbranch_execz .LBB151_55
; %bb.61:                               ;   in Loop: Header=BB151_56 Depth=4
	scratch_load_b64 v[6:7], off, off
	s_branch .LBB151_55
.LBB151_62:
	s_or_b32 exec_lo, exec_lo, s33
	s_and_saveexec_b32 s0, s34
	s_wait_alu 0xfffe
	s_xor_b32 s0, exec_lo, s0
.LBB151_63:
	s_endpgm
	.section	.rodata,"a",@progbits
	.p2align	6, 0x0
	.amdhsa_kernel _ZL30rocblas_trsm_small_left_deviceILi16ELi16ELb1E19rocblas_complex_numIfES1_PKPKS1_PKPS1_Ev13rocblas_fill_18rocblas_operation_17rocblas_diagonal_iiT3_T4_lilT5_lili
		.amdhsa_group_segment_fixed_size 2048
		.amdhsa_private_segment_fixed_size 144
		.amdhsa_kernarg_size 360
		.amdhsa_user_sgpr_count 2
		.amdhsa_user_sgpr_dispatch_ptr 0
		.amdhsa_user_sgpr_queue_ptr 0
		.amdhsa_user_sgpr_kernarg_segment_ptr 1
		.amdhsa_user_sgpr_dispatch_id 0
		.amdhsa_user_sgpr_private_segment_size 0
		.amdhsa_wavefront_size32 1
		.amdhsa_uses_dynamic_stack 0
		.amdhsa_enable_private_segment 1
		.amdhsa_system_sgpr_workgroup_id_x 1
		.amdhsa_system_sgpr_workgroup_id_y 0
		.amdhsa_system_sgpr_workgroup_id_z 1
		.amdhsa_system_sgpr_workgroup_info 0
		.amdhsa_system_vgpr_workitem_id 0
		.amdhsa_next_free_vgpr 23
		.amdhsa_next_free_sgpr 44
		.amdhsa_reserve_vcc 1
		.amdhsa_float_round_mode_32 0
		.amdhsa_float_round_mode_16_64 0
		.amdhsa_float_denorm_mode_32 3
		.amdhsa_float_denorm_mode_16_64 3
		.amdhsa_fp16_overflow 0
		.amdhsa_workgroup_processor_mode 1
		.amdhsa_memory_ordered 1
		.amdhsa_forward_progress 1
		.amdhsa_inst_pref_size 25
		.amdhsa_round_robin_scheduling 0
		.amdhsa_exception_fp_ieee_invalid_op 0
		.amdhsa_exception_fp_denorm_src 0
		.amdhsa_exception_fp_ieee_div_zero 0
		.amdhsa_exception_fp_ieee_overflow 0
		.amdhsa_exception_fp_ieee_underflow 0
		.amdhsa_exception_fp_ieee_inexact 0
		.amdhsa_exception_int_div_zero 0
	.end_amdhsa_kernel
	.section	.text._ZL30rocblas_trsm_small_left_deviceILi16ELi16ELb1E19rocblas_complex_numIfES1_PKPKS1_PKPS1_Ev13rocblas_fill_18rocblas_operation_17rocblas_diagonal_iiT3_T4_lilT5_lili,"axG",@progbits,_ZL30rocblas_trsm_small_left_deviceILi16ELi16ELb1E19rocblas_complex_numIfES1_PKPKS1_PKPS1_Ev13rocblas_fill_18rocblas_operation_17rocblas_diagonal_iiT3_T4_lilT5_lili,comdat
.Lfunc_end151:
	.size	_ZL30rocblas_trsm_small_left_deviceILi16ELi16ELb1E19rocblas_complex_numIfES1_PKPKS1_PKPS1_Ev13rocblas_fill_18rocblas_operation_17rocblas_diagonal_iiT3_T4_lilT5_lili, .Lfunc_end151-_ZL30rocblas_trsm_small_left_deviceILi16ELi16ELb1E19rocblas_complex_numIfES1_PKPKS1_PKPS1_Ev13rocblas_fill_18rocblas_operation_17rocblas_diagonal_iiT3_T4_lilT5_lili
                                        ; -- End function
	.set _ZL30rocblas_trsm_small_left_deviceILi16ELi16ELb1E19rocblas_complex_numIfES1_PKPKS1_PKPS1_Ev13rocblas_fill_18rocblas_operation_17rocblas_diagonal_iiT3_T4_lilT5_lili.num_vgpr, 23
	.set _ZL30rocblas_trsm_small_left_deviceILi16ELi16ELb1E19rocblas_complex_numIfES1_PKPKS1_PKPS1_Ev13rocblas_fill_18rocblas_operation_17rocblas_diagonal_iiT3_T4_lilT5_lili.num_agpr, 0
	.set _ZL30rocblas_trsm_small_left_deviceILi16ELi16ELb1E19rocblas_complex_numIfES1_PKPKS1_PKPS1_Ev13rocblas_fill_18rocblas_operation_17rocblas_diagonal_iiT3_T4_lilT5_lili.numbered_sgpr, 44
	.set _ZL30rocblas_trsm_small_left_deviceILi16ELi16ELb1E19rocblas_complex_numIfES1_PKPKS1_PKPS1_Ev13rocblas_fill_18rocblas_operation_17rocblas_diagonal_iiT3_T4_lilT5_lili.num_named_barrier, 0
	.set _ZL30rocblas_trsm_small_left_deviceILi16ELi16ELb1E19rocblas_complex_numIfES1_PKPKS1_PKPS1_Ev13rocblas_fill_18rocblas_operation_17rocblas_diagonal_iiT3_T4_lilT5_lili.private_seg_size, 144
	.set _ZL30rocblas_trsm_small_left_deviceILi16ELi16ELb1E19rocblas_complex_numIfES1_PKPKS1_PKPS1_Ev13rocblas_fill_18rocblas_operation_17rocblas_diagonal_iiT3_T4_lilT5_lili.uses_vcc, 1
	.set _ZL30rocblas_trsm_small_left_deviceILi16ELi16ELb1E19rocblas_complex_numIfES1_PKPKS1_PKPS1_Ev13rocblas_fill_18rocblas_operation_17rocblas_diagonal_iiT3_T4_lilT5_lili.uses_flat_scratch, 0
	.set _ZL30rocblas_trsm_small_left_deviceILi16ELi16ELb1E19rocblas_complex_numIfES1_PKPKS1_PKPS1_Ev13rocblas_fill_18rocblas_operation_17rocblas_diagonal_iiT3_T4_lilT5_lili.has_dyn_sized_stack, 0
	.set _ZL30rocblas_trsm_small_left_deviceILi16ELi16ELb1E19rocblas_complex_numIfES1_PKPKS1_PKPS1_Ev13rocblas_fill_18rocblas_operation_17rocblas_diagonal_iiT3_T4_lilT5_lili.has_recursion, 0
	.set _ZL30rocblas_trsm_small_left_deviceILi16ELi16ELb1E19rocblas_complex_numIfES1_PKPKS1_PKPS1_Ev13rocblas_fill_18rocblas_operation_17rocblas_diagonal_iiT3_T4_lilT5_lili.has_indirect_call, 0
	.section	.AMDGPU.csdata,"",@progbits
; Kernel info:
; codeLenInByte = 3124
; TotalNumSgprs: 46
; NumVgprs: 23
; ScratchSize: 144
; MemoryBound: 0
; FloatMode: 240
; IeeeMode: 1
; LDSByteSize: 2048 bytes/workgroup (compile time only)
; SGPRBlocks: 0
; VGPRBlocks: 2
; NumSGPRsForWavesPerEU: 46
; NumVGPRsForWavesPerEU: 23
; Occupancy: 16
; WaveLimiterHint : 1
; COMPUTE_PGM_RSRC2:SCRATCH_EN: 1
; COMPUTE_PGM_RSRC2:USER_SGPR: 2
; COMPUTE_PGM_RSRC2:TRAP_HANDLER: 0
; COMPUTE_PGM_RSRC2:TGID_X_EN: 1
; COMPUTE_PGM_RSRC2:TGID_Y_EN: 0
; COMPUTE_PGM_RSRC2:TGID_Z_EN: 1
; COMPUTE_PGM_RSRC2:TIDIG_COMP_CNT: 0
	.section	.text._ZL31rocblas_trsm_small_right_deviceI19rocblas_complex_numIfES1_PKPKS1_PKPS1_Li16EEv13rocblas_fill_18rocblas_operation_17rocblas_diagonal_iiT0_T1_lilT2_lili,"axG",@progbits,_ZL31rocblas_trsm_small_right_deviceI19rocblas_complex_numIfES1_PKPKS1_PKPS1_Li16EEv13rocblas_fill_18rocblas_operation_17rocblas_diagonal_iiT0_T1_lilT2_lili,comdat
	.globl	_ZL31rocblas_trsm_small_right_deviceI19rocblas_complex_numIfES1_PKPKS1_PKPS1_Li16EEv13rocblas_fill_18rocblas_operation_17rocblas_diagonal_iiT0_T1_lilT2_lili ; -- Begin function _ZL31rocblas_trsm_small_right_deviceI19rocblas_complex_numIfES1_PKPKS1_PKPS1_Li16EEv13rocblas_fill_18rocblas_operation_17rocblas_diagonal_iiT0_T1_lilT2_lili
	.p2align	8
	.type	_ZL31rocblas_trsm_small_right_deviceI19rocblas_complex_numIfES1_PKPKS1_PKPS1_Li16EEv13rocblas_fill_18rocblas_operation_17rocblas_diagonal_iiT0_T1_lilT2_lili,@function
_ZL31rocblas_trsm_small_right_deviceI19rocblas_complex_numIfES1_PKPKS1_PKPS1_Li16EEv13rocblas_fill_18rocblas_operation_17rocblas_diagonal_iiT0_T1_lilT2_lili: ; @_ZL31rocblas_trsm_small_right_deviceI19rocblas_complex_numIfES1_PKPKS1_PKPS1_Li16EEv13rocblas_fill_18rocblas_operation_17rocblas_diagonal_iiT0_T1_lilT2_lili
; %bb.0:
	s_load_b32 s19, s[0:1], 0x60
	s_lshr_b32 s2, ttmp7, 16
	s_wait_kmcnt 0x0
	s_cmp_ge_u32 s2, s19
	s_cbranch_scc1 .LBB152_150
; %bb.1:
	s_clause 0x6
	s_load_b32 s22, s[0:1], 0x30
	s_load_b32 s24, s[0:1], 0x50
	s_load_b128 s[12:15], s[0:1], 0x0
	s_load_b96 s[16:18], s[0:1], 0x10
	s_load_b32 s3, s[0:1], 0x68
	s_load_b128 s[4:7], s[0:1], 0x20
	s_load_b128 s[8:11], s[0:1], 0x40
	s_mov_b32 s20, ttmp9
	v_dual_mov_b32 v5, 0 :: v_dual_lshlrev_b32 v16, 3, v0
	v_dual_mov_b32 v4, 1.0 :: v_dual_lshlrev_b32 v1, 7, v0
	v_lshlrev_b32_e32 v25, 3, v0
	s_delay_alu instid0(VALU_DEP_3) | instskip(NEXT) | instid1(VALU_DEP_3)
	v_or_b32_e32 v17, 0x800, v16
	v_add_nc_u32_e32 v24, v16, v1
	s_wait_kmcnt 0x0
	s_ashr_i32 s23, s22, 31
	s_ashr_i32 s25, s24, 31
	s_cmp_lg_u32 s12, 0x7a
	s_cselect_b32 s29, -1, 0
	s_cmp_lg_u32 s13, 0x71
	s_cselect_b32 s1, -1, 0
	s_min_i32 s26, s16, 16
	s_lshl_b32 s0, ttmp9, 4
	s_add_co_i32 s3, s3, -1
	s_add_co_i32 s27, s26, -1
	s_sub_co_i32 s0, s15, s0
	s_cmp_ge_u32 ttmp9, s3
	s_mov_b32 s3, 0
	s_cselect_b32 s0, s0, 16
	s_ashr_i32 s21, ttmp9, 31
	v_cmp_gt_i32_e32 vcc_lo, s0, v0
	s_lshl_b64 s[20:21], s[20:21], 7
	s_cmp_eq_u32 s14, 0x84
	s_cselect_b32 s28, -1, 0
	s_cmp_gt_i32 s16, 0
	s_cselect_b32 s14, -1, 0
	s_cmp_lg_u32 s13, 0x6f
	s_cselect_b32 s13, -1, 0
	s_cmp_lg_u32 s12, 0x79
	s_cselect_b32 s0, -1, 0
	s_or_b32 s29, s29, s13
	s_wait_alu 0xfffe
	s_or_b32 s30, s0, s13
	s_cmp_gt_i32 s16, 3
	v_cndmask_b32_e64 v18, 0, 1, s0
	s_cselect_b32 s31, -1, 0
	s_lshl_b64 s[12:13], s[6:7], 3
	s_lshl_b64 s[10:11], s[10:11], 3
	v_add_co_u32 v2, s12, s12, v16
	s_lshl_b64 s[6:7], s[22:23], 3
	s_wait_alu 0xf1ff
	v_add_co_ci_u32_e64 v19, null, s13, 0, s12
	s_add_nc_u64 s[12:13], s[20:21], s[10:11]
	s_lshl_b32 s23, s26, 7
	v_or_b32_e32 v20, 4, v2
	s_wait_alu 0xfffe
	v_add_co_u32 v2, s12, s12, v16
	v_or_b32_e32 v3, s23, v16
	v_cmp_gt_i32_e64 s0, s26, v0
	s_wait_alu 0xf1ff
	v_add_co_ci_u32_e64 v21, null, s13, 0, s12
	v_or_b32_e32 v22, 4, v2
	v_add_nc_u32_e32 v23, 0x780, v3
	s_and_b32 s33, vcc_lo, s14
	s_mul_i32 s14, s26, 0x88
	s_lshl_b64 s[12:13], s[24:25], 3
	s_lshl_b32 s25, s26, 3
	s_add_co_i32 s22, s14, 0xffffff60
	s_addk_co_i32 s23, 0xff80
	s_add_co_i32 s24, s14, 0xfffffdf8
	s_add_co_i32 s25, s25, -8
	s_branch .LBB152_3
.LBB152_2:                              ;   in Loop: Header=BB152_3 Depth=1
	s_wait_alu 0xfffe
	s_or_b32 exec_lo, exec_lo, s14
	s_add_co_i32 s2, s2, 0x10000
	s_delay_alu instid0(SALU_CYCLE_1)
	s_cmp_lt_u32 s2, s19
	s_cbranch_scc0 .LBB152_150
.LBB152_3:                              ; =>This Loop Header: Depth=1
                                        ;     Child Loop BB152_6 Depth 2
                                        ;     Child Loop BB152_14 Depth 2
	;; [unrolled: 1-line block ×3, first 2 shown]
                                        ;       Child Loop BB152_21 Depth 3
                                        ;     Child Loop BB152_43 Depth 2
                                        ;       Child Loop BB152_44 Depth 3
                                        ;     Child Loop BB152_52 Depth 2
	;; [unrolled: 2-line block ×8, first 2 shown]
	s_lshl_b64 s[14:15], s[2:3], 3
	s_wait_alu 0xfffe
	s_add_nc_u64 s[34:35], s[8:9], s[14:15]
	global_load_b64 v[6:7], v5, s[34:35]
	s_and_saveexec_b32 s34, s0
	s_cbranch_execz .LBB152_12
; %bb.4:                                ;   in Loop: Header=BB152_3 Depth=1
	s_add_nc_u64 s[14:15], s[4:5], s[14:15]
	v_mov_b32_e32 v8, v16
	global_load_b64 v[0:1], v5, s[14:15]
	s_mov_b32 s14, s26
	s_wait_loadcnt 0x0
	v_add_co_u32 v0, vcc_lo, v0, v20
	s_wait_alu 0xfffd
	v_add_co_ci_u32_e64 v1, null, v1, v19, vcc_lo
	s_branch .LBB152_6
.LBB152_5:                              ;   in Loop: Header=BB152_6 Depth=2
	flat_load_b32 v2, v[0:1] offset:-4
	v_add_co_u32 v0, vcc_lo, v0, s6
	s_wait_alu 0xfffd
	v_add_co_ci_u32_e64 v1, null, s7, v1, vcc_lo
	s_add_co_i32 s14, s14, -1
	s_wait_alu 0xfffe
	s_cmp_eq_u32 s14, 0
	s_wait_loadcnt_dscnt 0x0
	ds_store_b64 v8, v[2:3]
	v_add_nc_u32_e32 v8, 0x80, v8
	s_cbranch_scc1 .LBB152_10
.LBB152_6:                              ;   Parent Loop BB152_3 Depth=1
                                        ; =>  This Inner Loop Header: Depth=2
	s_and_b32 vcc_lo, exec_lo, s1
	s_mov_b32 s15, -1
                                        ; implicit-def: $vgpr3
	s_wait_alu 0xfffe
	s_cbranch_vccz .LBB152_8
; %bb.7:                                ;   in Loop: Header=BB152_6 Depth=2
	flat_load_b32 v3, v[0:1]
	s_mov_b32 s15, 0
.LBB152_8:                              ;   in Loop: Header=BB152_6 Depth=2
	s_wait_alu 0xfffe
	s_and_not1_b32 vcc_lo, exec_lo, s15
	s_wait_alu 0xfffe
	s_cbranch_vccnz .LBB152_5
; %bb.9:                                ;   in Loop: Header=BB152_6 Depth=2
	flat_load_b32 v2, v[0:1]
	s_wait_loadcnt_dscnt 0x0
	v_xor_b32_e32 v3, 0x80000000, v2
	s_branch .LBB152_5
.LBB152_10:                             ;   in Loop: Header=BB152_3 Depth=1
	s_and_b32 vcc_lo, exec_lo, s28
	s_wait_alu 0xfffe
	s_cbranch_vccz .LBB152_12
; %bb.11:                               ;   in Loop: Header=BB152_3 Depth=1
	ds_store_b64 v24, v[4:5]
.LBB152_12:                             ;   in Loop: Header=BB152_3 Depth=1
	s_wait_alu 0xfffe
	s_or_b32 exec_lo, exec_lo, s34
	s_and_saveexec_b32 s14, s33
	s_cbranch_execz .LBB152_15
; %bb.13:                               ;   in Loop: Header=BB152_3 Depth=1
	s_wait_loadcnt 0x0
	v_add_co_u32 v0, vcc_lo, v6, v22
	s_wait_alu 0xfffd
	v_add_co_ci_u32_e64 v1, null, v7, v21, vcc_lo
	v_mov_b32_e32 v2, v17
	s_mov_b32 s15, s16
.LBB152_14:                             ;   Parent Loop BB152_3 Depth=1
                                        ; =>  This Inner Loop Header: Depth=2
	flat_load_b64 v[8:9], v[0:1] offset:-4
	s_wait_alu 0xfffe
	v_add_co_u32 v0, vcc_lo, v0, s12
	s_wait_alu 0xfffd
	v_add_co_ci_u32_e64 v1, null, s13, v1, vcc_lo
	s_add_co_i32 s15, s15, -1
	s_wait_alu 0xfffe
	s_cmp_lg_u32 s15, 0
	s_wait_loadcnt_dscnt 0x0
	v_mul_f32_e32 v10, s17, v9
	s_delay_alu instid0(VALU_DEP_1) | instskip(NEXT) | instid1(VALU_DEP_1)
	v_dual_mul_f32 v3, s18, v9 :: v_dual_fmac_f32 v10, s18, v8
	v_fma_f32 v9, s17, v8, -v3
	ds_store_b64 v2, v[9:10]
	v_add_nc_u32_e32 v2, 0x80, v2
	s_cbranch_scc1 .LBB152_14
.LBB152_15:                             ;   in Loop: Header=BB152_3 Depth=1
	s_wait_alu 0xfffe
	s_or_b32 exec_lo, exec_lo, s14
	s_delay_alu instid0(SALU_CYCLE_1)
	s_and_b32 vcc_lo, exec_lo, s30
	s_mov_b32 s14, -1
	; wave barrier
	s_wait_loadcnt_dscnt 0x0
	global_inv scope:SCOPE_SE
	s_wait_alu 0xfffe
	s_cbranch_vccz .LBB152_115
; %bb.16:                               ;   in Loop: Header=BB152_3 Depth=1
	s_and_b32 vcc_lo, exec_lo, s29
	s_wait_alu 0xfffe
	s_cbranch_vccz .LBB152_82
; %bb.17:                               ;   in Loop: Header=BB152_3 Depth=1
	v_cmp_ne_u32_e32 vcc_lo, 1, v18
	s_cbranch_vccnz .LBB152_50
; %bb.18:                               ;   in Loop: Header=BB152_3 Depth=1
	s_and_not1_b32 vcc_lo, exec_lo, s31
	s_mov_b32 s34, 0
	s_wait_alu 0xfffe
	s_cbranch_vccnz .LBB152_40
; %bb.19:                               ;   in Loop: Header=BB152_3 Depth=1
	s_mov_b32 s14, 0
	s_mov_b32 s15, 0
.LBB152_20:                             ;   Parent Loop BB152_3 Depth=1
                                        ; =>  This Loop Header: Depth=2
                                        ;       Child Loop BB152_21 Depth 3
	s_wait_alu 0xfffe
	s_lshl_b32 s36, s15, 7
	s_or_b32 s37, s15, 1
	s_wait_alu 0xfffe
	v_dual_mov_b32 v2, v17 :: v_dual_add_nc_u32 v29, s36, v17
	s_or_b32 s34, s15, 2
	v_lshl_add_u32 v28, s37, 7, v17
	s_or_b32 s35, s36, 0x180
	s_wait_alu 0xfffe
	v_lshl_add_u32 v27, s34, 7, v17
	v_add_nc_u32_e32 v26, s35, v17
	ds_load_b64 v[0:1], v29
	ds_load_b64 v[14:15], v28
	ds_load_b64 v[10:11], v27
	ds_load_b64 v[8:9], v26
	s_cmp_eq_u32 s15, 0
	s_mov_b32 s35, s14
	s_mov_b32 s38, s15
	s_cbranch_scc1 .LBB152_22
.LBB152_21:                             ;   Parent Loop BB152_3 Depth=1
                                        ;     Parent Loop BB152_20 Depth=2
                                        ; =>    This Inner Loop Header: Depth=3
	s_wait_alu 0xfffe
	v_mov_b32_e32 v3, s35
	s_add_co_i32 s38, s38, -1
	s_addk_co_i32 s35, 0x80
	s_wait_alu 0xfffe
	s_cmp_eq_u32 s38, 0
	ds_load_b64 v[12:13], v2
	ds_load_b128 v[30:33], v3
	ds_load_b128 v[34:37], v3 offset:16
	s_wait_dscnt 0x1
	v_dual_mul_f32 v3, v31, v13 :: v_dual_add_nc_u32 v2, 0x80, v2
	v_mul_f32_e32 v38, v30, v13
	s_wait_dscnt 0x0
	v_mul_f32_e32 v40, v35, v13
	v_mul_f32_e32 v39, v33, v13
	;; [unrolled: 1-line block ×5, first 2 shown]
	v_fma_f32 v3, v30, v12, -v3
	v_mul_f32_e32 v35, v35, v12
	v_fmac_f32_e32 v38, v31, v12
	v_fma_f32 v31, v34, v12, -v40
	v_fma_f32 v30, v32, v12, -v39
	v_fmac_f32_e32 v33, v32, v13
	v_fmac_f32_e32 v37, v36, v13
	v_sub_f32_e32 v0, v0, v3
	v_sub_f32_e32 v10, v10, v31
	v_fma_f32 v12, v36, v12, -v41
	v_fmac_f32_e32 v35, v34, v13
	v_sub_f32_e32 v1, v1, v38
	v_dual_sub_f32 v14, v14, v30 :: v_dual_sub_f32 v15, v15, v33
	s_delay_alu instid0(VALU_DEP_3)
	v_dual_sub_f32 v8, v8, v12 :: v_dual_sub_f32 v11, v11, v35
	v_sub_f32_e32 v9, v9, v37
	s_cbranch_scc0 .LBB152_21
.LBB152_22:                             ;   in Loop: Header=BB152_20 Depth=2
	s_lshl_b32 s35, s15, 3
	s_mov_b32 s38, -1
	s_wait_alu 0xfffe
	s_add_co_i32 s36, s35, s36
	s_wait_alu 0xfffe
	v_mov_b32_e32 v2, s36
	ds_load_b64 v[2:3], v2
	s_wait_dscnt 0x0
	v_and_b32_e32 v12, 0x7fffffff, v2
	v_and_b32_e32 v13, 0x7fffffff, v3
	s_delay_alu instid0(VALU_DEP_1)
	v_cmp_ngt_f32_e32 vcc_lo, v12, v13
                                        ; implicit-def: $vgpr13
	s_cbranch_vccz .LBB152_24
; %bb.23:                               ;   in Loop: Header=BB152_20 Depth=2
	v_div_scale_f32 v12, null, v3, v3, v2
	v_div_scale_f32 v31, vcc_lo, v2, v3, v2
	s_mov_b32 s38, 0
	v_rcp_f32_e32 v13, v12
	v_xor_b32_e32 v12, 0x80000000, v12
	s_delay_alu instid0(TRANS32_DEP_1) | instid1(VALU_DEP_1)
	v_fma_f32 v30, v12, v13, 1.0
	s_delay_alu instid0(VALU_DEP_1) | instskip(NEXT) | instid1(VALU_DEP_1)
	v_fmac_f32_e32 v13, v30, v13
	v_mul_f32_e32 v30, v31, v13
	s_delay_alu instid0(VALU_DEP_1) | instskip(NEXT) | instid1(VALU_DEP_1)
	v_fma_f32 v32, v12, v30, v31
	v_fmac_f32_e32 v30, v32, v13
	s_delay_alu instid0(VALU_DEP_1) | instskip(SKIP_1) | instid1(VALU_DEP_1)
	v_fmac_f32_e32 v31, v12, v30
	s_wait_alu 0xfffd
	v_div_fmas_f32 v12, v31, v13, v30
	s_delay_alu instid0(VALU_DEP_1) | instskip(NEXT) | instid1(VALU_DEP_1)
	v_div_fixup_f32 v12, v12, v3, v2
	v_fma_f32 v13, v2, v12, v3
	s_delay_alu instid0(VALU_DEP_1) | instskip(SKIP_1) | instid1(VALU_DEP_2)
	v_div_scale_f32 v30, null, v13, v13, 1.0
	v_div_scale_f32 v33, vcc_lo, 1.0, v13, 1.0
	v_rcp_f32_e32 v31, v30
	v_xor_b32_e32 v30, 0x80000000, v30
	s_delay_alu instid0(TRANS32_DEP_1) | instid1(VALU_DEP_1)
	v_fma_f32 v32, v30, v31, 1.0
	s_delay_alu instid0(VALU_DEP_1) | instskip(NEXT) | instid1(VALU_DEP_1)
	v_fmac_f32_e32 v31, v32, v31
	v_mul_f32_e32 v32, v33, v31
	s_delay_alu instid0(VALU_DEP_1) | instskip(NEXT) | instid1(VALU_DEP_1)
	v_fma_f32 v34, v30, v32, v33
	v_fmac_f32_e32 v32, v34, v31
	s_delay_alu instid0(VALU_DEP_1) | instskip(SKIP_1) | instid1(VALU_DEP_1)
	v_fmac_f32_e32 v33, v30, v32
	s_wait_alu 0xfffd
	v_div_fmas_f32 v30, v33, v31, v32
	v_fma_f32 v31, v0, v12, v1
	s_delay_alu instid0(VALU_DEP_2) | instskip(SKIP_1) | instid1(VALU_DEP_2)
	v_div_fixup_f32 v13, v30, v13, 1.0
	v_fma_f32 v30, v1, v12, -v0
	v_mul_f32_e32 v12, v31, v13
	s_delay_alu instid0(VALU_DEP_2)
	v_mul_f32_e32 v13, v30, v13
.LBB152_24:                             ;   in Loop: Header=BB152_20 Depth=2
	s_wait_alu 0xfffe
	s_and_not1_b32 vcc_lo, exec_lo, s38
	s_wait_alu 0xfffe
	s_cbranch_vccnz .LBB152_26
; %bb.25:                               ;   in Loop: Header=BB152_20 Depth=2
	v_div_scale_f32 v12, null, v2, v2, v3
	v_div_scale_f32 v31, vcc_lo, v3, v2, v3
	s_delay_alu instid0(VALU_DEP_2)
	v_rcp_f32_e32 v13, v12
	v_xor_b32_e32 v12, 0x80000000, v12
	s_delay_alu instid0(TRANS32_DEP_1) | instid1(VALU_DEP_1)
	v_fma_f32 v30, v12, v13, 1.0
	s_delay_alu instid0(VALU_DEP_1) | instskip(NEXT) | instid1(VALU_DEP_1)
	v_fmac_f32_e32 v13, v30, v13
	v_mul_f32_e32 v30, v31, v13
	s_delay_alu instid0(VALU_DEP_1) | instskip(NEXT) | instid1(VALU_DEP_1)
	v_fma_f32 v32, v12, v30, v31
	v_fmac_f32_e32 v30, v32, v13
	s_delay_alu instid0(VALU_DEP_1) | instskip(SKIP_1) | instid1(VALU_DEP_1)
	v_fmac_f32_e32 v31, v12, v30
	s_wait_alu 0xfffd
	v_div_fmas_f32 v12, v31, v13, v30
	s_delay_alu instid0(VALU_DEP_1) | instskip(NEXT) | instid1(VALU_DEP_1)
	v_div_fixup_f32 v12, v12, v2, v3
	v_fmac_f32_e32 v2, v3, v12
	s_delay_alu instid0(VALU_DEP_1) | instskip(SKIP_1) | instid1(VALU_DEP_2)
	v_div_scale_f32 v3, null, v2, v2, 1.0
	v_div_scale_f32 v31, vcc_lo, 1.0, v2, 1.0
	v_rcp_f32_e32 v13, v3
	v_xor_b32_e32 v3, 0x80000000, v3
	s_delay_alu instid0(TRANS32_DEP_1) | instid1(VALU_DEP_1)
	v_fma_f32 v30, v3, v13, 1.0
	s_delay_alu instid0(VALU_DEP_1) | instskip(NEXT) | instid1(VALU_DEP_1)
	v_fmac_f32_e32 v13, v30, v13
	v_mul_f32_e32 v30, v31, v13
	s_delay_alu instid0(VALU_DEP_1) | instskip(NEXT) | instid1(VALU_DEP_1)
	v_fma_f32 v32, v3, v30, v31
	v_fmac_f32_e32 v30, v32, v13
	s_delay_alu instid0(VALU_DEP_1) | instskip(SKIP_1) | instid1(VALU_DEP_1)
	v_fmac_f32_e32 v31, v3, v30
	s_wait_alu 0xfffd
	v_div_fmas_f32 v3, v31, v13, v30
	v_fma_f32 v13, v1, v12, v0
	v_fma_f32 v0, -v0, v12, v1
	s_delay_alu instid0(VALU_DEP_3) | instskip(NEXT) | instid1(VALU_DEP_1)
	v_div_fixup_f32 v2, v3, v2, 1.0
	v_mul_f32_e32 v12, v13, v2
	s_delay_alu instid0(VALU_DEP_3)
	v_mul_f32_e32 v13, v0, v2
.LBB152_26:                             ;   in Loop: Header=BB152_20 Depth=2
	v_mov_b32_e32 v0, s36
	s_mov_b32 s38, -1
	ds_store_b64 v29, v[12:13]
	ds_load_2addr_b64 v[0:3], v0 offset0:1 offset1:17
	s_wait_dscnt 0x0
	v_dual_mul_f32 v30, v13, v1 :: v_dual_and_b32 v31, 0x7fffffff, v2
	v_dual_mul_f32 v1, v12, v1 :: v_dual_and_b32 v32, 0x7fffffff, v3
	s_delay_alu instid0(VALU_DEP_2) | instskip(NEXT) | instid1(VALU_DEP_2)
	v_fma_f32 v30, v12, v0, -v30
	v_fmac_f32_e32 v1, v13, v0
	s_delay_alu instid0(VALU_DEP_3) | instskip(NEXT) | instid1(VALU_DEP_2)
	v_cmp_ngt_f32_e32 vcc_lo, v31, v32
	v_dual_sub_f32 v0, v14, v30 :: v_dual_sub_f32 v1, v15, v1
                                        ; implicit-def: $vgpr15
	s_cbranch_vccz .LBB152_28
; %bb.27:                               ;   in Loop: Header=BB152_20 Depth=2
	v_div_scale_f32 v14, null, v3, v3, v2
	v_div_scale_f32 v30, vcc_lo, v2, v3, v2
	s_mov_b32 s38, 0
	v_rcp_f32_e32 v15, v14
	v_xor_b32_e32 v14, 0x80000000, v14
	s_delay_alu instid0(TRANS32_DEP_1) | instid1(VALU_DEP_1)
	v_fma_f32 v29, v14, v15, 1.0
	s_delay_alu instid0(VALU_DEP_1) | instskip(NEXT) | instid1(VALU_DEP_1)
	v_fmac_f32_e32 v15, v29, v15
	v_mul_f32_e32 v29, v30, v15
	s_delay_alu instid0(VALU_DEP_1) | instskip(NEXT) | instid1(VALU_DEP_1)
	v_fma_f32 v31, v14, v29, v30
	v_fmac_f32_e32 v29, v31, v15
	s_delay_alu instid0(VALU_DEP_1) | instskip(SKIP_1) | instid1(VALU_DEP_1)
	v_fmac_f32_e32 v30, v14, v29
	s_wait_alu 0xfffd
	v_div_fmas_f32 v14, v30, v15, v29
	s_delay_alu instid0(VALU_DEP_1) | instskip(NEXT) | instid1(VALU_DEP_1)
	v_div_fixup_f32 v14, v14, v3, v2
	v_fma_f32 v15, v2, v14, v3
	s_delay_alu instid0(VALU_DEP_1) | instskip(SKIP_1) | instid1(VALU_DEP_2)
	v_div_scale_f32 v29, null, v15, v15, 1.0
	v_div_scale_f32 v32, vcc_lo, 1.0, v15, 1.0
	v_rcp_f32_e32 v30, v29
	v_xor_b32_e32 v29, 0x80000000, v29
	s_delay_alu instid0(TRANS32_DEP_1) | instid1(VALU_DEP_1)
	v_fma_f32 v31, v29, v30, 1.0
	s_delay_alu instid0(VALU_DEP_1) | instskip(NEXT) | instid1(VALU_DEP_1)
	v_fmac_f32_e32 v30, v31, v30
	v_mul_f32_e32 v31, v32, v30
	s_delay_alu instid0(VALU_DEP_1) | instskip(NEXT) | instid1(VALU_DEP_1)
	v_fma_f32 v33, v29, v31, v32
	v_fmac_f32_e32 v31, v33, v30
	s_delay_alu instid0(VALU_DEP_1) | instskip(SKIP_1) | instid1(VALU_DEP_1)
	v_fmac_f32_e32 v32, v29, v31
	s_wait_alu 0xfffd
	v_div_fmas_f32 v29, v32, v30, v31
	v_fma_f32 v30, v14, v0, v1
	s_delay_alu instid0(VALU_DEP_2) | instskip(SKIP_1) | instid1(VALU_DEP_2)
	v_div_fixup_f32 v15, v29, v15, 1.0
	v_fma_f32 v29, v14, v1, -v0
	v_mul_f32_e32 v14, v30, v15
	s_delay_alu instid0(VALU_DEP_2)
	v_mul_f32_e32 v15, v29, v15
.LBB152_28:                             ;   in Loop: Header=BB152_20 Depth=2
	s_wait_alu 0xfffe
	s_and_not1_b32 vcc_lo, exec_lo, s38
	s_wait_alu 0xfffe
	s_cbranch_vccnz .LBB152_30
; %bb.29:                               ;   in Loop: Header=BB152_20 Depth=2
	v_div_scale_f32 v14, null, v2, v2, v3
	v_div_scale_f32 v30, vcc_lo, v3, v2, v3
	s_delay_alu instid0(VALU_DEP_2)
	v_rcp_f32_e32 v15, v14
	v_xor_b32_e32 v14, 0x80000000, v14
	s_delay_alu instid0(TRANS32_DEP_1) | instid1(VALU_DEP_1)
	v_fma_f32 v29, v14, v15, 1.0
	s_delay_alu instid0(VALU_DEP_1) | instskip(NEXT) | instid1(VALU_DEP_1)
	v_fmac_f32_e32 v15, v29, v15
	v_mul_f32_e32 v29, v30, v15
	s_delay_alu instid0(VALU_DEP_1) | instskip(NEXT) | instid1(VALU_DEP_1)
	v_fma_f32 v31, v14, v29, v30
	v_fmac_f32_e32 v29, v31, v15
	s_delay_alu instid0(VALU_DEP_1) | instskip(SKIP_1) | instid1(VALU_DEP_1)
	v_fmac_f32_e32 v30, v14, v29
	s_wait_alu 0xfffd
	v_div_fmas_f32 v14, v30, v15, v29
	s_delay_alu instid0(VALU_DEP_1) | instskip(NEXT) | instid1(VALU_DEP_1)
	v_div_fixup_f32 v14, v14, v2, v3
	v_fmac_f32_e32 v2, v3, v14
	s_delay_alu instid0(VALU_DEP_1) | instskip(SKIP_1) | instid1(VALU_DEP_2)
	v_div_scale_f32 v3, null, v2, v2, 1.0
	v_div_scale_f32 v30, vcc_lo, 1.0, v2, 1.0
	v_rcp_f32_e32 v15, v3
	v_xor_b32_e32 v3, 0x80000000, v3
	s_delay_alu instid0(TRANS32_DEP_1) | instid1(VALU_DEP_1)
	v_fma_f32 v29, v3, v15, 1.0
	s_delay_alu instid0(VALU_DEP_1) | instskip(NEXT) | instid1(VALU_DEP_1)
	v_fmac_f32_e32 v15, v29, v15
	v_mul_f32_e32 v29, v30, v15
	s_delay_alu instid0(VALU_DEP_1) | instskip(NEXT) | instid1(VALU_DEP_1)
	v_fma_f32 v31, v3, v29, v30
	v_fmac_f32_e32 v29, v31, v15
	s_delay_alu instid0(VALU_DEP_1) | instskip(SKIP_1) | instid1(VALU_DEP_1)
	v_fmac_f32_e32 v30, v3, v29
	s_wait_alu 0xfffd
	v_div_fmas_f32 v3, v30, v15, v29
	v_fma_f32 v15, v14, v1, v0
	v_fma_f32 v0, -v14, v0, v1
	s_delay_alu instid0(VALU_DEP_3) | instskip(NEXT) | instid1(VALU_DEP_1)
	v_div_fixup_f32 v2, v3, v2, 1.0
	v_mul_f32_e32 v14, v15, v2
	s_delay_alu instid0(VALU_DEP_3)
	v_mul_f32_e32 v15, v0, v2
.LBB152_30:                             ;   in Loop: Header=BB152_20 Depth=2
	s_add_co_i32 s38, s36, 0x88
	s_lshl_b32 s37, s37, 3
	s_mov_b32 s39, -1
	s_wait_alu 0xfffe
	s_sub_co_i32 s37, s38, s37
	ds_store_b64 v28, v[14:15]
	s_wait_alu 0xfffe
	s_add_co_i32 s37, s37, s35
	s_wait_alu 0xfffe
	v_dual_mov_b32 v0, s36 :: v_dual_mov_b32 v29, s37
	ds_load_2addr_b64 v[0:3], v0 offset0:2 offset1:34
	ds_load_b64 v[29:30], v29 offset:16
	s_wait_dscnt 0x1
	v_dual_mul_f32 v31, v13, v1 :: v_dual_and_b32 v32, 0x7fffffff, v2
	v_mul_f32_e32 v1, v12, v1
	s_delay_alu instid0(VALU_DEP_2) | instskip(SKIP_1) | instid1(VALU_DEP_2)
	v_fma_f32 v31, v12, v0, -v31
	s_wait_dscnt 0x0
	v_dual_fmac_f32 v1, v13, v0 :: v_dual_mul_f32 v0, v15, v30
	v_dual_mul_f32 v30, v14, v30 :: v_dual_and_b32 v33, 0x7fffffff, v3
	s_delay_alu instid0(VALU_DEP_2) | instskip(NEXT) | instid1(VALU_DEP_3)
	v_dual_sub_f32 v10, v10, v31 :: v_dual_sub_f32 v1, v11, v1
	v_fma_f32 v0, v14, v29, -v0
	s_delay_alu instid0(VALU_DEP_3) | instskip(NEXT) | instid1(VALU_DEP_4)
	v_fmac_f32_e32 v30, v15, v29
	v_cmp_ngt_f32_e32 vcc_lo, v32, v33
	s_delay_alu instid0(VALU_DEP_2)
	v_dual_sub_f32 v0, v10, v0 :: v_dual_sub_f32 v1, v1, v30
                                        ; implicit-def: $vgpr11
	s_cbranch_vccz .LBB152_32
; %bb.31:                               ;   in Loop: Header=BB152_20 Depth=2
	v_div_scale_f32 v10, null, v3, v3, v2
	v_div_scale_f32 v29, vcc_lo, v2, v3, v2
	s_mov_b32 s39, 0
	v_rcp_f32_e32 v11, v10
	v_xor_b32_e32 v10, 0x80000000, v10
	s_delay_alu instid0(TRANS32_DEP_1) | instid1(VALU_DEP_1)
	v_fma_f32 v28, v10, v11, 1.0
	s_delay_alu instid0(VALU_DEP_1) | instskip(NEXT) | instid1(VALU_DEP_1)
	v_fmac_f32_e32 v11, v28, v11
	v_mul_f32_e32 v28, v29, v11
	s_delay_alu instid0(VALU_DEP_1) | instskip(NEXT) | instid1(VALU_DEP_1)
	v_fma_f32 v30, v10, v28, v29
	v_fmac_f32_e32 v28, v30, v11
	s_delay_alu instid0(VALU_DEP_1) | instskip(SKIP_1) | instid1(VALU_DEP_1)
	v_fmac_f32_e32 v29, v10, v28
	s_wait_alu 0xfffd
	v_div_fmas_f32 v10, v29, v11, v28
	s_delay_alu instid0(VALU_DEP_1) | instskip(NEXT) | instid1(VALU_DEP_1)
	v_div_fixup_f32 v10, v10, v3, v2
	v_fma_f32 v11, v2, v10, v3
	s_delay_alu instid0(VALU_DEP_1) | instskip(SKIP_1) | instid1(VALU_DEP_2)
	v_div_scale_f32 v28, null, v11, v11, 1.0
	v_div_scale_f32 v31, vcc_lo, 1.0, v11, 1.0
	v_rcp_f32_e32 v29, v28
	v_xor_b32_e32 v28, 0x80000000, v28
	s_delay_alu instid0(TRANS32_DEP_1) | instid1(VALU_DEP_1)
	v_fma_f32 v30, v28, v29, 1.0
	s_delay_alu instid0(VALU_DEP_1) | instskip(NEXT) | instid1(VALU_DEP_1)
	v_fmac_f32_e32 v29, v30, v29
	v_mul_f32_e32 v30, v31, v29
	s_delay_alu instid0(VALU_DEP_1) | instskip(NEXT) | instid1(VALU_DEP_1)
	v_fma_f32 v32, v28, v30, v31
	v_fmac_f32_e32 v30, v32, v29
	s_delay_alu instid0(VALU_DEP_1) | instskip(SKIP_1) | instid1(VALU_DEP_1)
	v_fmac_f32_e32 v31, v28, v30
	s_wait_alu 0xfffd
	v_div_fmas_f32 v28, v31, v29, v30
	v_fma_f32 v29, v10, v0, v1
	s_delay_alu instid0(VALU_DEP_2) | instskip(SKIP_1) | instid1(VALU_DEP_2)
	v_div_fixup_f32 v11, v28, v11, 1.0
	v_fma_f32 v28, v10, v1, -v0
	v_mul_f32_e32 v10, v29, v11
	s_delay_alu instid0(VALU_DEP_2)
	v_mul_f32_e32 v11, v28, v11
.LBB152_32:                             ;   in Loop: Header=BB152_20 Depth=2
	s_wait_alu 0xfffe
	s_and_not1_b32 vcc_lo, exec_lo, s39
	s_wait_alu 0xfffe
	s_cbranch_vccnz .LBB152_34
; %bb.33:                               ;   in Loop: Header=BB152_20 Depth=2
	v_div_scale_f32 v10, null, v2, v2, v3
	v_div_scale_f32 v29, vcc_lo, v3, v2, v3
	s_delay_alu instid0(VALU_DEP_2)
	v_rcp_f32_e32 v11, v10
	v_xor_b32_e32 v10, 0x80000000, v10
	s_delay_alu instid0(TRANS32_DEP_1) | instid1(VALU_DEP_1)
	v_fma_f32 v28, v10, v11, 1.0
	s_delay_alu instid0(VALU_DEP_1) | instskip(NEXT) | instid1(VALU_DEP_1)
	v_fmac_f32_e32 v11, v28, v11
	v_mul_f32_e32 v28, v29, v11
	s_delay_alu instid0(VALU_DEP_1) | instskip(NEXT) | instid1(VALU_DEP_1)
	v_fma_f32 v30, v10, v28, v29
	v_fmac_f32_e32 v28, v30, v11
	s_delay_alu instid0(VALU_DEP_1) | instskip(SKIP_1) | instid1(VALU_DEP_1)
	v_fmac_f32_e32 v29, v10, v28
	s_wait_alu 0xfffd
	v_div_fmas_f32 v10, v29, v11, v28
	s_delay_alu instid0(VALU_DEP_1) | instskip(NEXT) | instid1(VALU_DEP_1)
	v_div_fixup_f32 v10, v10, v2, v3
	v_fmac_f32_e32 v2, v3, v10
	s_delay_alu instid0(VALU_DEP_1) | instskip(SKIP_1) | instid1(VALU_DEP_2)
	v_div_scale_f32 v3, null, v2, v2, 1.0
	v_div_scale_f32 v29, vcc_lo, 1.0, v2, 1.0
	v_rcp_f32_e32 v11, v3
	v_xor_b32_e32 v3, 0x80000000, v3
	s_delay_alu instid0(TRANS32_DEP_1) | instid1(VALU_DEP_1)
	v_fma_f32 v28, v3, v11, 1.0
	s_delay_alu instid0(VALU_DEP_1) | instskip(NEXT) | instid1(VALU_DEP_1)
	v_fmac_f32_e32 v11, v28, v11
	v_mul_f32_e32 v28, v29, v11
	s_delay_alu instid0(VALU_DEP_1) | instskip(NEXT) | instid1(VALU_DEP_1)
	v_fma_f32 v30, v3, v28, v29
	v_fmac_f32_e32 v28, v30, v11
	s_delay_alu instid0(VALU_DEP_1) | instskip(SKIP_1) | instid1(VALU_DEP_1)
	v_fmac_f32_e32 v29, v3, v28
	s_wait_alu 0xfffd
	v_div_fmas_f32 v3, v29, v11, v28
	v_fma_f32 v11, v10, v1, v0
	v_fma_f32 v0, -v10, v0, v1
	s_delay_alu instid0(VALU_DEP_3) | instskip(NEXT) | instid1(VALU_DEP_1)
	v_div_fixup_f32 v2, v3, v2, 1.0
	v_mul_f32_e32 v10, v11, v2
	s_delay_alu instid0(VALU_DEP_3)
	v_mul_f32_e32 v11, v0, v2
.LBB152_34:                             ;   in Loop: Header=BB152_20 Depth=2
	v_mov_b32_e32 v0, s36
	v_mov_b32_e32 v28, s37
	s_lshl_b32 s34, s34, 3
	ds_store_b64 v27, v[10:11]
	s_wait_alu 0xfffe
	s_sub_co_i32 s34, s38, s34
	ds_load_2addr_b64 v[0:3], v0 offset0:3 offset1:51
	ds_load_b64 v[28:29], v28 offset:24
	s_wait_alu 0xfffe
	s_add_co_i32 s34, s34, s35
	s_wait_alu 0xfffe
	v_mov_b32_e32 v30, s34
	s_mov_b32 s34, -1
	ds_load_b64 v[30:31], v30 offset:160
	s_wait_dscnt 0x1
	v_mul_f32_e32 v33, v15, v29
	v_mul_f32_e32 v29, v14, v29
	;; [unrolled: 1-line block ×3, first 2 shown]
	v_dual_mul_f32 v1, v12, v1 :: v_dual_and_b32 v34, 0x7fffffff, v2
	s_delay_alu instid0(VALU_DEP_3) | instskip(NEXT) | instid1(VALU_DEP_3)
	v_fmac_f32_e32 v29, v15, v28
	v_fma_f32 v12, v12, v0, -v32
	s_delay_alu instid0(VALU_DEP_3)
	v_fmac_f32_e32 v1, v13, v0
	v_fma_f32 v0, v14, v28, -v33
	s_wait_dscnt 0x0
	v_mul_f32_e32 v13, v11, v31
	v_mul_f32_e32 v14, v10, v31
	v_dual_sub_f32 v8, v8, v12 :: v_dual_sub_f32 v1, v9, v1
	v_and_b32_e32 v9, 0x7fffffff, v3
	s_delay_alu instid0(VALU_DEP_4) | instskip(NEXT) | instid1(VALU_DEP_4)
	v_fma_f32 v12, v10, v30, -v13
	v_fmac_f32_e32 v14, v11, v30
	s_delay_alu instid0(VALU_DEP_4) | instskip(NEXT) | instid1(VALU_DEP_4)
	v_dual_sub_f32 v0, v8, v0 :: v_dual_sub_f32 v1, v1, v29
	v_cmp_ngt_f32_e32 vcc_lo, v34, v9
	s_delay_alu instid0(VALU_DEP_2)
	v_dual_sub_f32 v8, v0, v12 :: v_dual_sub_f32 v9, v1, v14
                                        ; implicit-def: $vgpr1
	s_cbranch_vccz .LBB152_36
; %bb.35:                               ;   in Loop: Header=BB152_20 Depth=2
	v_div_scale_f32 v0, null, v3, v3, v2
	v_div_scale_f32 v11, vcc_lo, v2, v3, v2
	s_mov_b32 s34, 0
	v_rcp_f32_e32 v1, v0
	v_xor_b32_e32 v0, 0x80000000, v0
	s_delay_alu instid0(TRANS32_DEP_1) | instid1(VALU_DEP_1)
	v_fma_f32 v10, v0, v1, 1.0
	s_delay_alu instid0(VALU_DEP_1) | instskip(NEXT) | instid1(VALU_DEP_1)
	v_fmac_f32_e32 v1, v10, v1
	v_mul_f32_e32 v10, v11, v1
	s_delay_alu instid0(VALU_DEP_1) | instskip(NEXT) | instid1(VALU_DEP_1)
	v_fma_f32 v12, v0, v10, v11
	v_fmac_f32_e32 v10, v12, v1
	s_delay_alu instid0(VALU_DEP_1) | instskip(SKIP_1) | instid1(VALU_DEP_1)
	v_fmac_f32_e32 v11, v0, v10
	s_wait_alu 0xfffd
	v_div_fmas_f32 v0, v11, v1, v10
	s_delay_alu instid0(VALU_DEP_1) | instskip(NEXT) | instid1(VALU_DEP_1)
	v_div_fixup_f32 v0, v0, v3, v2
	v_fma_f32 v1, v2, v0, v3
	s_delay_alu instid0(VALU_DEP_1) | instskip(SKIP_1) | instid1(VALU_DEP_2)
	v_div_scale_f32 v10, null, v1, v1, 1.0
	v_div_scale_f32 v13, vcc_lo, 1.0, v1, 1.0
	v_rcp_f32_e32 v11, v10
	v_xor_b32_e32 v10, 0x80000000, v10
	s_delay_alu instid0(TRANS32_DEP_1) | instid1(VALU_DEP_1)
	v_fma_f32 v12, v10, v11, 1.0
	s_delay_alu instid0(VALU_DEP_1) | instskip(NEXT) | instid1(VALU_DEP_1)
	v_fmac_f32_e32 v11, v12, v11
	v_mul_f32_e32 v12, v13, v11
	s_delay_alu instid0(VALU_DEP_1) | instskip(NEXT) | instid1(VALU_DEP_1)
	v_fma_f32 v14, v10, v12, v13
	v_fmac_f32_e32 v12, v14, v11
	s_delay_alu instid0(VALU_DEP_1) | instskip(SKIP_1) | instid1(VALU_DEP_1)
	v_fmac_f32_e32 v13, v10, v12
	s_wait_alu 0xfffd
	v_div_fmas_f32 v10, v13, v11, v12
	v_fma_f32 v11, v0, v8, v9
	s_delay_alu instid0(VALU_DEP_2) | instskip(SKIP_1) | instid1(VALU_DEP_2)
	v_div_fixup_f32 v1, v10, v1, 1.0
	v_fma_f32 v10, v0, v9, -v8
	v_mul_f32_e32 v0, v11, v1
	s_delay_alu instid0(VALU_DEP_2)
	v_mul_f32_e32 v1, v10, v1
.LBB152_36:                             ;   in Loop: Header=BB152_20 Depth=2
	s_wait_alu 0xfffe
	s_and_not1_b32 vcc_lo, exec_lo, s34
	s_wait_alu 0xfffe
	s_cbranch_vccnz .LBB152_38
; %bb.37:                               ;   in Loop: Header=BB152_20 Depth=2
	v_div_scale_f32 v0, null, v2, v2, v3
	v_div_scale_f32 v11, vcc_lo, v3, v2, v3
	s_delay_alu instid0(VALU_DEP_2)
	v_rcp_f32_e32 v1, v0
	v_xor_b32_e32 v0, 0x80000000, v0
	s_delay_alu instid0(TRANS32_DEP_1) | instid1(VALU_DEP_1)
	v_fma_f32 v10, v0, v1, 1.0
	s_delay_alu instid0(VALU_DEP_1) | instskip(NEXT) | instid1(VALU_DEP_1)
	v_fmac_f32_e32 v1, v10, v1
	v_mul_f32_e32 v10, v11, v1
	s_delay_alu instid0(VALU_DEP_1) | instskip(NEXT) | instid1(VALU_DEP_1)
	v_fma_f32 v12, v0, v10, v11
	v_fmac_f32_e32 v10, v12, v1
	s_delay_alu instid0(VALU_DEP_1) | instskip(SKIP_1) | instid1(VALU_DEP_1)
	v_fmac_f32_e32 v11, v0, v10
	s_wait_alu 0xfffd
	v_div_fmas_f32 v0, v11, v1, v10
	s_delay_alu instid0(VALU_DEP_1) | instskip(NEXT) | instid1(VALU_DEP_1)
	v_div_fixup_f32 v0, v0, v2, v3
	v_fmac_f32_e32 v2, v3, v0
	s_delay_alu instid0(VALU_DEP_1) | instskip(SKIP_1) | instid1(VALU_DEP_2)
	v_div_scale_f32 v1, null, v2, v2, 1.0
	v_div_scale_f32 v11, vcc_lo, 1.0, v2, 1.0
	v_rcp_f32_e32 v3, v1
	v_xor_b32_e32 v1, 0x80000000, v1
	s_delay_alu instid0(TRANS32_DEP_1) | instid1(VALU_DEP_1)
	v_fma_f32 v10, v1, v3, 1.0
	s_delay_alu instid0(VALU_DEP_1) | instskip(NEXT) | instid1(VALU_DEP_1)
	v_fmac_f32_e32 v3, v10, v3
	v_mul_f32_e32 v10, v11, v3
	s_delay_alu instid0(VALU_DEP_1) | instskip(NEXT) | instid1(VALU_DEP_1)
	v_fma_f32 v12, v1, v10, v11
	v_fmac_f32_e32 v10, v12, v3
	s_delay_alu instid0(VALU_DEP_1) | instskip(SKIP_1) | instid1(VALU_DEP_1)
	v_fmac_f32_e32 v11, v1, v10
	s_wait_alu 0xfffd
	v_div_fmas_f32 v1, v11, v3, v10
	v_fma_f32 v3, v0, v9, v8
	s_delay_alu instid0(VALU_DEP_2) | instskip(SKIP_1) | instid1(VALU_DEP_2)
	v_div_fixup_f32 v1, v1, v2, 1.0
	v_fma_f32 v2, -v0, v8, v9
	v_mul_f32_e32 v0, v3, v1
	s_delay_alu instid0(VALU_DEP_2)
	v_mul_f32_e32 v1, v2, v1
.LBB152_38:                             ;   in Loop: Header=BB152_20 Depth=2
	s_add_co_i32 s34, s15, 4
	s_add_co_i32 s15, s15, 7
	;; [unrolled: 1-line block ×3, first 2 shown]
	s_wait_alu 0xfffe
	s_cmp_ge_i32 s15, s26
	ds_store_b64 v26, v[0:1]
	s_cbranch_scc1 .LBB152_40
; %bb.39:                               ;   in Loop: Header=BB152_20 Depth=2
	s_mov_b32 s15, s34
	s_branch .LBB152_20
.LBB152_40:                             ;   in Loop: Header=BB152_3 Depth=1
	s_wait_alu 0xfffe
	s_cmp_ge_i32 s34, s26
	s_cbranch_scc1 .LBB152_49
; %bb.41:                               ;   in Loop: Header=BB152_3 Depth=1
	s_lshl_b32 s14, s34, 3
	s_branch .LBB152_43
.LBB152_42:                             ;   in Loop: Header=BB152_43 Depth=2
	s_add_co_i32 s34, s34, 1
	s_add_co_i32 s14, s14, 8
	s_wait_alu 0xfffe
	s_cmp_ge_i32 s34, s26
	ds_store_b64 v10, v[8:9]
	s_cbranch_scc1 .LBB152_49
.LBB152_43:                             ;   Parent Loop BB152_3 Depth=1
                                        ; =>  This Loop Header: Depth=2
                                        ;       Child Loop BB152_44 Depth 3
	s_lshl_b32 s15, s34, 7
	v_mov_b32_e32 v2, v17
	s_wait_alu 0xfffe
	v_add_nc_u32_e32 v10, s15, v17
	s_cmp_eq_u32 s34, 0
	s_mov_b32 s35, s14
	s_mov_b32 s36, s34
	ds_load_b64 v[0:1], v10
	s_cbranch_scc1 .LBB152_45
.LBB152_44:                             ;   Parent Loop BB152_3 Depth=1
                                        ;     Parent Loop BB152_43 Depth=2
                                        ; =>    This Inner Loop Header: Depth=3
	s_wait_alu 0xfffe
	v_mov_b32_e32 v3, s35
	s_add_co_i32 s36, s36, -1
	s_addk_co_i32 s35, 0x80
	s_wait_alu 0xfffe
	s_cmp_eq_u32 s36, 0
	ds_load_b64 v[8:9], v2
	ds_load_b64 v[11:12], v3
	s_wait_dscnt 0x0
	v_dual_mul_f32 v3, v12, v9 :: v_dual_add_nc_u32 v2, 0x80, v2
	s_delay_alu instid0(VALU_DEP_1) | instskip(NEXT) | instid1(VALU_DEP_1)
	v_fma_f32 v3, v11, v8, -v3
	v_dual_mul_f32 v9, v11, v9 :: v_dual_sub_f32 v0, v0, v3
	s_delay_alu instid0(VALU_DEP_1) | instskip(NEXT) | instid1(VALU_DEP_1)
	v_fmac_f32_e32 v9, v12, v8
	v_sub_f32_e32 v1, v1, v9
	s_cbranch_scc0 .LBB152_44
.LBB152_45:                             ;   in Loop: Header=BB152_43 Depth=2
	s_lshl_b32 s35, s34, 3
	s_wait_alu 0xfffe
	s_add_co_i32 s15, s35, s15
	s_wait_alu 0xfffe
	v_mov_b32_e32 v2, s15
	s_mov_b32 s15, -1
	ds_load_b64 v[2:3], v2
	s_wait_dscnt 0x0
	v_and_b32_e32 v8, 0x7fffffff, v2
	v_and_b32_e32 v9, 0x7fffffff, v3
	s_delay_alu instid0(VALU_DEP_1)
	v_cmp_ngt_f32_e32 vcc_lo, v8, v9
                                        ; implicit-def: $vgpr8
	s_cbranch_vccz .LBB152_47
; %bb.46:                               ;   in Loop: Header=BB152_43 Depth=2
	v_div_scale_f32 v8, null, v3, v3, v2
	v_div_scale_f32 v12, vcc_lo, v2, v3, v2
	s_mov_b32 s15, 0
	v_rcp_f32_e32 v9, v8
	v_xor_b32_e32 v8, 0x80000000, v8
	s_delay_alu instid0(TRANS32_DEP_1) | instid1(VALU_DEP_1)
	v_fma_f32 v11, v8, v9, 1.0
	s_delay_alu instid0(VALU_DEP_1) | instskip(NEXT) | instid1(VALU_DEP_1)
	v_fmac_f32_e32 v9, v11, v9
	v_mul_f32_e32 v11, v12, v9
	s_delay_alu instid0(VALU_DEP_1) | instskip(NEXT) | instid1(VALU_DEP_1)
	v_fma_f32 v13, v8, v11, v12
	v_fmac_f32_e32 v11, v13, v9
	s_delay_alu instid0(VALU_DEP_1) | instskip(SKIP_1) | instid1(VALU_DEP_1)
	v_fmac_f32_e32 v12, v8, v11
	s_wait_alu 0xfffd
	v_div_fmas_f32 v8, v12, v9, v11
	s_delay_alu instid0(VALU_DEP_1) | instskip(NEXT) | instid1(VALU_DEP_1)
	v_div_fixup_f32 v8, v8, v3, v2
	v_fma_f32 v9, v2, v8, v3
	s_delay_alu instid0(VALU_DEP_1) | instskip(SKIP_1) | instid1(VALU_DEP_2)
	v_div_scale_f32 v11, null, v9, v9, 1.0
	v_div_scale_f32 v14, vcc_lo, 1.0, v9, 1.0
	v_rcp_f32_e32 v12, v11
	v_xor_b32_e32 v11, 0x80000000, v11
	s_delay_alu instid0(TRANS32_DEP_1) | instid1(VALU_DEP_1)
	v_fma_f32 v13, v11, v12, 1.0
	s_delay_alu instid0(VALU_DEP_1) | instskip(NEXT) | instid1(VALU_DEP_1)
	v_fmac_f32_e32 v12, v13, v12
	v_mul_f32_e32 v13, v14, v12
	s_delay_alu instid0(VALU_DEP_1) | instskip(NEXT) | instid1(VALU_DEP_1)
	v_fma_f32 v15, v11, v13, v14
	v_fmac_f32_e32 v13, v15, v12
	s_delay_alu instid0(VALU_DEP_1) | instskip(SKIP_1) | instid1(VALU_DEP_1)
	v_fmac_f32_e32 v14, v11, v13
	s_wait_alu 0xfffd
	v_div_fmas_f32 v11, v14, v12, v13
	v_fma_f32 v12, v0, v8, v1
	s_delay_alu instid0(VALU_DEP_2) | instskip(SKIP_1) | instid1(VALU_DEP_2)
	v_div_fixup_f32 v9, v11, v9, 1.0
	v_fma_f32 v11, v1, v8, -v0
	v_mul_f32_e32 v8, v12, v9
	s_delay_alu instid0(VALU_DEP_2)
	v_mul_f32_e32 v9, v11, v9
.LBB152_47:                             ;   in Loop: Header=BB152_43 Depth=2
	s_wait_alu 0xfffe
	s_and_not1_b32 vcc_lo, exec_lo, s15
	s_wait_alu 0xfffe
	s_cbranch_vccnz .LBB152_42
; %bb.48:                               ;   in Loop: Header=BB152_43 Depth=2
	v_div_scale_f32 v8, null, v2, v2, v3
	v_div_scale_f32 v12, vcc_lo, v3, v2, v3
	s_delay_alu instid0(VALU_DEP_2)
	v_rcp_f32_e32 v9, v8
	v_xor_b32_e32 v8, 0x80000000, v8
	s_delay_alu instid0(TRANS32_DEP_1) | instid1(VALU_DEP_1)
	v_fma_f32 v11, v8, v9, 1.0
	s_delay_alu instid0(VALU_DEP_1) | instskip(NEXT) | instid1(VALU_DEP_1)
	v_fmac_f32_e32 v9, v11, v9
	v_mul_f32_e32 v11, v12, v9
	s_delay_alu instid0(VALU_DEP_1) | instskip(NEXT) | instid1(VALU_DEP_1)
	v_fma_f32 v13, v8, v11, v12
	v_fmac_f32_e32 v11, v13, v9
	s_delay_alu instid0(VALU_DEP_1) | instskip(SKIP_1) | instid1(VALU_DEP_1)
	v_fmac_f32_e32 v12, v8, v11
	s_wait_alu 0xfffd
	v_div_fmas_f32 v8, v12, v9, v11
	s_delay_alu instid0(VALU_DEP_1) | instskip(NEXT) | instid1(VALU_DEP_1)
	v_div_fixup_f32 v8, v8, v2, v3
	v_fmac_f32_e32 v2, v3, v8
	s_delay_alu instid0(VALU_DEP_1) | instskip(SKIP_1) | instid1(VALU_DEP_2)
	v_div_scale_f32 v3, null, v2, v2, 1.0
	v_div_scale_f32 v12, vcc_lo, 1.0, v2, 1.0
	v_rcp_f32_e32 v9, v3
	v_xor_b32_e32 v3, 0x80000000, v3
	s_delay_alu instid0(TRANS32_DEP_1) | instid1(VALU_DEP_1)
	v_fma_f32 v11, v3, v9, 1.0
	s_delay_alu instid0(VALU_DEP_1) | instskip(NEXT) | instid1(VALU_DEP_1)
	v_fmac_f32_e32 v9, v11, v9
	v_mul_f32_e32 v11, v12, v9
	s_delay_alu instid0(VALU_DEP_1) | instskip(NEXT) | instid1(VALU_DEP_1)
	v_fma_f32 v13, v3, v11, v12
	v_fmac_f32_e32 v11, v13, v9
	s_delay_alu instid0(VALU_DEP_1) | instskip(SKIP_1) | instid1(VALU_DEP_1)
	v_fmac_f32_e32 v12, v3, v11
	s_wait_alu 0xfffd
	v_div_fmas_f32 v3, v12, v9, v11
	v_fma_f32 v9, v1, v8, v0
	v_fma_f32 v0, -v0, v8, v1
	s_delay_alu instid0(VALU_DEP_3) | instskip(NEXT) | instid1(VALU_DEP_1)
	v_div_fixup_f32 v2, v3, v2, 1.0
	v_mul_f32_e32 v8, v9, v2
	s_delay_alu instid0(VALU_DEP_3)
	v_mul_f32_e32 v9, v0, v2
	s_branch .LBB152_42
.LBB152_49:                             ;   in Loop: Header=BB152_3 Depth=1
	s_mov_b32 s14, 0
.LBB152_50:                             ;   in Loop: Header=BB152_3 Depth=1
	s_wait_alu 0xfffe
	s_and_b32 vcc_lo, exec_lo, s14
	s_wait_alu 0xfffe
	s_cbranch_vccz .LBB152_81
; %bb.51:                               ;   in Loop: Header=BB152_3 Depth=1
	s_mov_b32 s34, s27
	s_and_not1_b32 vcc_lo, exec_lo, s31
	s_mov_b32 s14, s22
	s_mov_b32 s15, s27
	s_wait_alu 0xfffe
	s_cbranch_vccnz .LBB152_72
.LBB152_52:                             ;   Parent Loop BB152_3 Depth=1
                                        ; =>  This Loop Header: Depth=2
                                        ;       Child Loop BB152_53 Depth 3
	s_wait_alu 0xfffe
	s_add_co_i32 s36, s15, -1
	s_add_co_i32 s34, s15, -3
	v_lshl_add_u32 v29, s15, 7, v17
	s_add_co_i32 s37, s15, -2
	s_wait_alu 0xfffe
	v_lshl_add_u32 v28, s36, 7, v17
	s_lshl_b32 s35, s34, 7
	v_lshl_add_u32 v27, s37, 7, v17
	s_wait_alu 0xfffe
	v_add_nc_u32_e32 v26, s35, v17
	ds_load_b64 v[12:13], v29
	ds_load_b64 v[10:11], v28
	;; [unrolled: 1-line block ×4, first 2 shown]
	v_mov_b32_e32 v8, v23
	s_cmp_le_i32 s27, s15
	s_mov_b32 s35, s14
	s_mov_b32 s38, s27
	s_cbranch_scc1 .LBB152_54
.LBB152_53:                             ;   Parent Loop BB152_3 Depth=1
                                        ;     Parent Loop BB152_52 Depth=2
                                        ; =>    This Inner Loop Header: Depth=3
	s_wait_alu 0xfffe
	v_mov_b32_e32 v9, s35
	s_add_co_i32 s38, s38, -1
	s_addk_co_i32 s35, 0xff80
	s_wait_alu 0xfffe
	s_cmp_le_i32 s38, s15
	ds_load_b64 v[14:15], v8
	ds_load_2addr_b64 v[30:33], v9 offset0:2 offset1:3
	ds_load_2addr_b64 v[34:37], v9 offset1:1
	s_wait_dscnt 0x1
	v_dual_mul_f32 v9, v33, v15 :: v_dual_add_nc_u32 v8, 0xffffff80, v8
	v_mul_f32_e32 v38, v32, v15
	v_mul_f32_e32 v39, v31, v15
	s_wait_dscnt 0x0
	v_dual_mul_f32 v31, v31, v14 :: v_dual_mul_f32 v40, v37, v15
	v_mul_f32_e32 v41, v35, v15
	v_mul_f32_e32 v35, v35, v14
	v_fma_f32 v9, v32, v14, -v9
	v_mul_f32_e32 v37, v37, v14
	v_fmac_f32_e32 v38, v33, v14
	v_fma_f32 v32, v30, v14, -v39
	v_fmac_f32_e32 v31, v30, v15
	v_fma_f32 v30, v36, v14, -v40
	v_dual_fmac_f32 v35, v34, v15 :: v_dual_sub_f32 v12, v12, v9
	v_fmac_f32_e32 v37, v36, v15
	v_sub_f32_e32 v13, v13, v38
	s_delay_alu instid0(VALU_DEP_4) | instskip(SKIP_1) | instid1(VALU_DEP_4)
	v_sub_f32_e32 v2, v2, v30
	v_fma_f32 v14, v34, v14, -v41
	v_dual_sub_f32 v10, v10, v32 :: v_dual_sub_f32 v3, v3, v37
	s_delay_alu instid0(VALU_DEP_2)
	v_dual_sub_f32 v1, v1, v35 :: v_dual_sub_f32 v0, v0, v14
	v_sub_f32_e32 v11, v11, v31
	s_cbranch_scc0 .LBB152_53
.LBB152_54:                             ;   in Loop: Header=BB152_52 Depth=2
	s_lshl_b32 s38, s15, 3
	s_lshl_b32 s35, s15, 7
	s_mov_b32 s39, -1
	s_wait_alu 0xfffe
	s_add_co_i32 s35, s38, s35
	s_wait_alu 0xfffe
	v_mov_b32_e32 v8, s35
	ds_load_b64 v[14:15], v8
	s_wait_dscnt 0x0
	v_and_b32_e32 v8, 0x7fffffff, v14
	v_and_b32_e32 v9, 0x7fffffff, v15
	s_delay_alu instid0(VALU_DEP_1)
	v_cmp_ngt_f32_e32 vcc_lo, v8, v9
                                        ; implicit-def: $vgpr9
	s_cbranch_vccz .LBB152_56
; %bb.55:                               ;   in Loop: Header=BB152_52 Depth=2
	v_div_scale_f32 v8, null, v15, v15, v14
	v_div_scale_f32 v31, vcc_lo, v14, v15, v14
	s_mov_b32 s39, 0
	v_rcp_f32_e32 v9, v8
	v_xor_b32_e32 v8, 0x80000000, v8
	s_delay_alu instid0(TRANS32_DEP_1) | instid1(VALU_DEP_1)
	v_fma_f32 v30, v8, v9, 1.0
	s_delay_alu instid0(VALU_DEP_1) | instskip(NEXT) | instid1(VALU_DEP_1)
	v_fmac_f32_e32 v9, v30, v9
	v_mul_f32_e32 v30, v31, v9
	s_delay_alu instid0(VALU_DEP_1) | instskip(NEXT) | instid1(VALU_DEP_1)
	v_fma_f32 v32, v8, v30, v31
	v_fmac_f32_e32 v30, v32, v9
	s_delay_alu instid0(VALU_DEP_1) | instskip(SKIP_1) | instid1(VALU_DEP_1)
	v_fmac_f32_e32 v31, v8, v30
	s_wait_alu 0xfffd
	v_div_fmas_f32 v8, v31, v9, v30
	s_delay_alu instid0(VALU_DEP_1) | instskip(NEXT) | instid1(VALU_DEP_1)
	v_div_fixup_f32 v8, v8, v15, v14
	v_fma_f32 v9, v14, v8, v15
	s_delay_alu instid0(VALU_DEP_1) | instskip(SKIP_1) | instid1(VALU_DEP_2)
	v_div_scale_f32 v30, null, v9, v9, 1.0
	v_div_scale_f32 v33, vcc_lo, 1.0, v9, 1.0
	v_rcp_f32_e32 v31, v30
	v_xor_b32_e32 v30, 0x80000000, v30
	s_delay_alu instid0(TRANS32_DEP_1) | instid1(VALU_DEP_1)
	v_fma_f32 v32, v30, v31, 1.0
	s_delay_alu instid0(VALU_DEP_1) | instskip(NEXT) | instid1(VALU_DEP_1)
	v_fmac_f32_e32 v31, v32, v31
	v_mul_f32_e32 v32, v33, v31
	s_delay_alu instid0(VALU_DEP_1) | instskip(NEXT) | instid1(VALU_DEP_1)
	v_fma_f32 v34, v30, v32, v33
	v_fmac_f32_e32 v32, v34, v31
	s_delay_alu instid0(VALU_DEP_1) | instskip(SKIP_1) | instid1(VALU_DEP_1)
	v_fmac_f32_e32 v33, v30, v32
	s_wait_alu 0xfffd
	v_div_fmas_f32 v30, v33, v31, v32
	v_fma_f32 v31, v12, v8, v13
	s_delay_alu instid0(VALU_DEP_2) | instskip(SKIP_1) | instid1(VALU_DEP_2)
	v_div_fixup_f32 v9, v30, v9, 1.0
	v_fma_f32 v30, v13, v8, -v12
	v_mul_f32_e32 v8, v31, v9
	s_delay_alu instid0(VALU_DEP_2)
	v_mul_f32_e32 v9, v30, v9
.LBB152_56:                             ;   in Loop: Header=BB152_52 Depth=2
	s_wait_alu 0xfffe
	s_and_not1_b32 vcc_lo, exec_lo, s39
	s_wait_alu 0xfffe
	s_cbranch_vccnz .LBB152_58
; %bb.57:                               ;   in Loop: Header=BB152_52 Depth=2
	v_div_scale_f32 v8, null, v14, v14, v15
	v_div_scale_f32 v31, vcc_lo, v15, v14, v15
	s_delay_alu instid0(VALU_DEP_2)
	v_rcp_f32_e32 v9, v8
	v_xor_b32_e32 v8, 0x80000000, v8
	s_delay_alu instid0(TRANS32_DEP_1) | instid1(VALU_DEP_1)
	v_fma_f32 v30, v8, v9, 1.0
	s_delay_alu instid0(VALU_DEP_1) | instskip(NEXT) | instid1(VALU_DEP_1)
	v_fmac_f32_e32 v9, v30, v9
	v_mul_f32_e32 v30, v31, v9
	s_delay_alu instid0(VALU_DEP_1) | instskip(NEXT) | instid1(VALU_DEP_1)
	v_fma_f32 v32, v8, v30, v31
	v_fmac_f32_e32 v30, v32, v9
	s_delay_alu instid0(VALU_DEP_1) | instskip(SKIP_1) | instid1(VALU_DEP_1)
	v_fmac_f32_e32 v31, v8, v30
	s_wait_alu 0xfffd
	v_div_fmas_f32 v8, v31, v9, v30
	s_delay_alu instid0(VALU_DEP_1) | instskip(NEXT) | instid1(VALU_DEP_1)
	v_div_fixup_f32 v8, v8, v14, v15
	v_fmac_f32_e32 v14, v15, v8
	s_delay_alu instid0(VALU_DEP_1) | instskip(SKIP_1) | instid1(VALU_DEP_2)
	v_div_scale_f32 v9, null, v14, v14, 1.0
	v_div_scale_f32 v31, vcc_lo, 1.0, v14, 1.0
	v_rcp_f32_e32 v15, v9
	v_xor_b32_e32 v9, 0x80000000, v9
	s_delay_alu instid0(TRANS32_DEP_1) | instid1(VALU_DEP_1)
	v_fma_f32 v30, v9, v15, 1.0
	s_delay_alu instid0(VALU_DEP_1) | instskip(NEXT) | instid1(VALU_DEP_1)
	v_fmac_f32_e32 v15, v30, v15
	v_mul_f32_e32 v30, v31, v15
	s_delay_alu instid0(VALU_DEP_1) | instskip(NEXT) | instid1(VALU_DEP_1)
	v_fma_f32 v32, v9, v30, v31
	v_fmac_f32_e32 v30, v32, v15
	s_delay_alu instid0(VALU_DEP_1) | instskip(SKIP_1) | instid1(VALU_DEP_1)
	v_fmac_f32_e32 v31, v9, v30
	s_wait_alu 0xfffd
	v_div_fmas_f32 v9, v31, v15, v30
	v_fma_f32 v15, v13, v8, v12
	v_fma_f32 v12, -v12, v8, v13
	s_delay_alu instid0(VALU_DEP_3) | instskip(NEXT) | instid1(VALU_DEP_1)
	v_div_fixup_f32 v9, v9, v14, 1.0
	v_mul_f32_e32 v8, v15, v9
	s_delay_alu instid0(VALU_DEP_3)
	v_mul_f32_e32 v9, v12, v9
.LBB152_58:                             ;   in Loop: Header=BB152_52 Depth=2
	s_lshl_b32 s39, s36, 7
	s_add_co_i32 s40, s35, -8
	s_wait_alu 0xfffe
	s_add_co_i32 s39, s38, s39
	s_wait_alu 0xfffe
	s_add_co_i32 s39, s39, -8
	s_wait_alu 0xfffe
	v_dual_mov_b32 v12, s40 :: v_dual_mov_b32 v13, s39
	s_mov_b32 s40, -1
	ds_load_b64 v[14:15], v12
	ds_load_b64 v[12:13], v13
	ds_store_b64 v29, v[8:9]
	s_wait_dscnt 0x1
	v_dual_mul_f32 v30, v9, v15 :: v_dual_and_b32 v31, 0x7fffffff, v12
	v_dual_mul_f32 v15, v8, v15 :: v_dual_and_b32 v32, 0x7fffffff, v13
	s_delay_alu instid0(VALU_DEP_2) | instskip(NEXT) | instid1(VALU_DEP_2)
	v_fma_f32 v30, v8, v14, -v30
	v_fmac_f32_e32 v15, v9, v14
	s_delay_alu instid0(VALU_DEP_3) | instskip(NEXT) | instid1(VALU_DEP_2)
	v_cmp_ngt_f32_e32 vcc_lo, v31, v32
	v_dual_sub_f32 v14, v10, v30 :: v_dual_sub_f32 v15, v11, v15
                                        ; implicit-def: $vgpr11
	s_cbranch_vccz .LBB152_60
; %bb.59:                               ;   in Loop: Header=BB152_52 Depth=2
	v_div_scale_f32 v10, null, v13, v13, v12
	v_div_scale_f32 v30, vcc_lo, v12, v13, v12
	s_mov_b32 s40, 0
	v_rcp_f32_e32 v11, v10
	v_xor_b32_e32 v10, 0x80000000, v10
	s_delay_alu instid0(TRANS32_DEP_1) | instid1(VALU_DEP_1)
	v_fma_f32 v29, v10, v11, 1.0
	s_delay_alu instid0(VALU_DEP_1) | instskip(NEXT) | instid1(VALU_DEP_1)
	v_fmac_f32_e32 v11, v29, v11
	v_mul_f32_e32 v29, v30, v11
	s_delay_alu instid0(VALU_DEP_1) | instskip(NEXT) | instid1(VALU_DEP_1)
	v_fma_f32 v31, v10, v29, v30
	v_fmac_f32_e32 v29, v31, v11
	s_delay_alu instid0(VALU_DEP_1) | instskip(SKIP_1) | instid1(VALU_DEP_1)
	v_fmac_f32_e32 v30, v10, v29
	s_wait_alu 0xfffd
	v_div_fmas_f32 v10, v30, v11, v29
	s_delay_alu instid0(VALU_DEP_1) | instskip(NEXT) | instid1(VALU_DEP_1)
	v_div_fixup_f32 v10, v10, v13, v12
	v_fma_f32 v11, v12, v10, v13
	s_delay_alu instid0(VALU_DEP_1) | instskip(SKIP_1) | instid1(VALU_DEP_2)
	v_div_scale_f32 v29, null, v11, v11, 1.0
	v_div_scale_f32 v32, vcc_lo, 1.0, v11, 1.0
	v_rcp_f32_e32 v30, v29
	v_xor_b32_e32 v29, 0x80000000, v29
	s_delay_alu instid0(TRANS32_DEP_1) | instid1(VALU_DEP_1)
	v_fma_f32 v31, v29, v30, 1.0
	s_delay_alu instid0(VALU_DEP_1) | instskip(NEXT) | instid1(VALU_DEP_1)
	v_fmac_f32_e32 v30, v31, v30
	v_mul_f32_e32 v31, v32, v30
	s_delay_alu instid0(VALU_DEP_1) | instskip(NEXT) | instid1(VALU_DEP_1)
	v_fma_f32 v33, v29, v31, v32
	v_fmac_f32_e32 v31, v33, v30
	s_delay_alu instid0(VALU_DEP_1) | instskip(SKIP_1) | instid1(VALU_DEP_1)
	v_fmac_f32_e32 v32, v29, v31
	s_wait_alu 0xfffd
	v_div_fmas_f32 v29, v32, v30, v31
	v_fma_f32 v30, v10, v14, v15
	s_delay_alu instid0(VALU_DEP_2) | instskip(SKIP_1) | instid1(VALU_DEP_2)
	v_div_fixup_f32 v11, v29, v11, 1.0
	v_fma_f32 v29, v10, v15, -v14
	v_mul_f32_e32 v10, v30, v11
	s_delay_alu instid0(VALU_DEP_2)
	v_mul_f32_e32 v11, v29, v11
.LBB152_60:                             ;   in Loop: Header=BB152_52 Depth=2
	s_wait_alu 0xfffe
	s_and_not1_b32 vcc_lo, exec_lo, s40
	s_wait_alu 0xfffe
	s_cbranch_vccnz .LBB152_62
; %bb.61:                               ;   in Loop: Header=BB152_52 Depth=2
	v_div_scale_f32 v10, null, v12, v12, v13
	v_div_scale_f32 v30, vcc_lo, v13, v12, v13
	s_delay_alu instid0(VALU_DEP_2)
	v_rcp_f32_e32 v11, v10
	v_xor_b32_e32 v10, 0x80000000, v10
	s_delay_alu instid0(TRANS32_DEP_1) | instid1(VALU_DEP_1)
	v_fma_f32 v29, v10, v11, 1.0
	s_delay_alu instid0(VALU_DEP_1) | instskip(NEXT) | instid1(VALU_DEP_1)
	v_fmac_f32_e32 v11, v29, v11
	v_mul_f32_e32 v29, v30, v11
	s_delay_alu instid0(VALU_DEP_1) | instskip(NEXT) | instid1(VALU_DEP_1)
	v_fma_f32 v31, v10, v29, v30
	v_fmac_f32_e32 v29, v31, v11
	s_delay_alu instid0(VALU_DEP_1) | instskip(SKIP_1) | instid1(VALU_DEP_1)
	v_fmac_f32_e32 v30, v10, v29
	s_wait_alu 0xfffd
	v_div_fmas_f32 v10, v30, v11, v29
	s_delay_alu instid0(VALU_DEP_1) | instskip(NEXT) | instid1(VALU_DEP_1)
	v_div_fixup_f32 v10, v10, v12, v13
	v_fmac_f32_e32 v12, v13, v10
	s_delay_alu instid0(VALU_DEP_1) | instskip(SKIP_1) | instid1(VALU_DEP_2)
	v_div_scale_f32 v11, null, v12, v12, 1.0
	v_div_scale_f32 v30, vcc_lo, 1.0, v12, 1.0
	v_rcp_f32_e32 v13, v11
	v_xor_b32_e32 v11, 0x80000000, v11
	s_delay_alu instid0(TRANS32_DEP_1) | instid1(VALU_DEP_1)
	v_fma_f32 v29, v11, v13, 1.0
	s_delay_alu instid0(VALU_DEP_1) | instskip(NEXT) | instid1(VALU_DEP_1)
	v_fmac_f32_e32 v13, v29, v13
	v_mul_f32_e32 v29, v30, v13
	s_delay_alu instid0(VALU_DEP_1) | instskip(NEXT) | instid1(VALU_DEP_1)
	v_fma_f32 v31, v11, v29, v30
	v_fmac_f32_e32 v29, v31, v13
	s_delay_alu instid0(VALU_DEP_1) | instskip(SKIP_1) | instid1(VALU_DEP_1)
	v_fmac_f32_e32 v30, v11, v29
	s_wait_alu 0xfffd
	v_div_fmas_f32 v11, v30, v13, v29
	v_fma_f32 v13, v10, v15, v14
	s_delay_alu instid0(VALU_DEP_2) | instskip(SKIP_1) | instid1(VALU_DEP_2)
	v_div_fixup_f32 v11, v11, v12, 1.0
	v_fma_f32 v12, -v10, v14, v15
	v_mul_f32_e32 v10, v13, v11
	s_delay_alu instid0(VALU_DEP_2)
	v_mul_f32_e32 v11, v12, v11
.LBB152_62:                             ;   in Loop: Header=BB152_52 Depth=2
	s_lshl_b32 s40, s37, 7
	s_lshl_b32 s36, s36, 3
	s_wait_alu 0xfffe
	s_add_co_i32 s40, s38, s40
	s_sub_co_i32 s38, s39, s36
	s_lshl_b32 s37, s37, 3
	s_add_co_i32 s36, s35, -16
	s_wait_alu 0xfffe
	s_add_co_i32 s39, s38, s37
	s_wait_alu 0xfffe
	v_dual_mov_b32 v12, s36 :: v_dual_mov_b32 v13, s39
	s_add_co_i32 s36, s40, -16
	s_mov_b32 s39, -1
	s_wait_alu 0xfffe
	v_mov_b32_e32 v31, s36
	ds_load_b64 v[14:15], v12
	ds_load_b64 v[29:30], v13
	;; [unrolled: 1-line block ×3, first 2 shown]
	ds_store_b64 v28, v[10:11]
	s_wait_dscnt 0x3
	v_mul_f32_e32 v31, v9, v15
	s_wait_dscnt 0x2
	v_dual_mul_f32 v15, v8, v15 :: v_dual_mul_f32 v32, v11, v30
	s_wait_dscnt 0x1
	v_dual_mul_f32 v30, v10, v30 :: v_dual_and_b32 v33, 0x7fffffff, v12
	v_fma_f32 v31, v8, v14, -v31
	s_delay_alu instid0(VALU_DEP_3) | instskip(SKIP_1) | instid1(VALU_DEP_4)
	v_dual_fmac_f32 v15, v9, v14 :: v_dual_and_b32 v14, 0x7fffffff, v13
	v_fma_f32 v32, v10, v29, -v32
	v_fmac_f32_e32 v30, v11, v29
	s_delay_alu instid0(VALU_DEP_4) | instskip(NEXT) | instid1(VALU_DEP_4)
	v_sub_f32_e32 v2, v2, v31
	v_sub_f32_e32 v3, v3, v15
	v_cmp_ngt_f32_e32 vcc_lo, v33, v14
                                        ; implicit-def: $vgpr15
	s_delay_alu instid0(VALU_DEP_2)
	v_dual_sub_f32 v2, v2, v32 :: v_dual_sub_f32 v3, v3, v30
	s_cbranch_vccz .LBB152_64
; %bb.63:                               ;   in Loop: Header=BB152_52 Depth=2
	v_div_scale_f32 v14, null, v13, v13, v12
	v_div_scale_f32 v29, vcc_lo, v12, v13, v12
	s_mov_b32 s39, 0
	v_rcp_f32_e32 v15, v14
	v_xor_b32_e32 v14, 0x80000000, v14
	s_delay_alu instid0(TRANS32_DEP_1) | instid1(VALU_DEP_1)
	v_fma_f32 v28, v14, v15, 1.0
	s_delay_alu instid0(VALU_DEP_1) | instskip(NEXT) | instid1(VALU_DEP_1)
	v_fmac_f32_e32 v15, v28, v15
	v_mul_f32_e32 v28, v29, v15
	s_delay_alu instid0(VALU_DEP_1) | instskip(NEXT) | instid1(VALU_DEP_1)
	v_fma_f32 v30, v14, v28, v29
	v_fmac_f32_e32 v28, v30, v15
	s_delay_alu instid0(VALU_DEP_1) | instskip(SKIP_1) | instid1(VALU_DEP_1)
	v_fmac_f32_e32 v29, v14, v28
	s_wait_alu 0xfffd
	v_div_fmas_f32 v14, v29, v15, v28
	s_delay_alu instid0(VALU_DEP_1) | instskip(NEXT) | instid1(VALU_DEP_1)
	v_div_fixup_f32 v14, v14, v13, v12
	v_fma_f32 v15, v12, v14, v13
	s_delay_alu instid0(VALU_DEP_1) | instskip(SKIP_1) | instid1(VALU_DEP_2)
	v_div_scale_f32 v28, null, v15, v15, 1.0
	v_div_scale_f32 v31, vcc_lo, 1.0, v15, 1.0
	v_rcp_f32_e32 v29, v28
	v_xor_b32_e32 v28, 0x80000000, v28
	s_delay_alu instid0(TRANS32_DEP_1) | instid1(VALU_DEP_1)
	v_fma_f32 v30, v28, v29, 1.0
	s_delay_alu instid0(VALU_DEP_1) | instskip(NEXT) | instid1(VALU_DEP_1)
	v_fmac_f32_e32 v29, v30, v29
	v_mul_f32_e32 v30, v31, v29
	s_delay_alu instid0(VALU_DEP_1) | instskip(NEXT) | instid1(VALU_DEP_1)
	v_fma_f32 v32, v28, v30, v31
	v_fmac_f32_e32 v30, v32, v29
	s_delay_alu instid0(VALU_DEP_1) | instskip(SKIP_1) | instid1(VALU_DEP_1)
	v_fmac_f32_e32 v31, v28, v30
	s_wait_alu 0xfffd
	v_div_fmas_f32 v28, v31, v29, v30
	v_fma_f32 v29, v14, v2, v3
	s_delay_alu instid0(VALU_DEP_2) | instskip(SKIP_1) | instid1(VALU_DEP_2)
	v_div_fixup_f32 v15, v28, v15, 1.0
	v_fma_f32 v28, v14, v3, -v2
	v_mul_f32_e32 v14, v29, v15
	s_delay_alu instid0(VALU_DEP_2)
	v_mul_f32_e32 v15, v28, v15
.LBB152_64:                             ;   in Loop: Header=BB152_52 Depth=2
	s_wait_alu 0xfffe
	s_and_not1_b32 vcc_lo, exec_lo, s39
	s_wait_alu 0xfffe
	s_cbranch_vccnz .LBB152_66
; %bb.65:                               ;   in Loop: Header=BB152_52 Depth=2
	v_div_scale_f32 v14, null, v12, v12, v13
	v_div_scale_f32 v29, vcc_lo, v13, v12, v13
	s_delay_alu instid0(VALU_DEP_2)
	v_rcp_f32_e32 v15, v14
	v_xor_b32_e32 v14, 0x80000000, v14
	s_delay_alu instid0(TRANS32_DEP_1) | instid1(VALU_DEP_1)
	v_fma_f32 v28, v14, v15, 1.0
	s_delay_alu instid0(VALU_DEP_1) | instskip(NEXT) | instid1(VALU_DEP_1)
	v_fmac_f32_e32 v15, v28, v15
	v_mul_f32_e32 v28, v29, v15
	s_delay_alu instid0(VALU_DEP_1) | instskip(NEXT) | instid1(VALU_DEP_1)
	v_fma_f32 v30, v14, v28, v29
	v_fmac_f32_e32 v28, v30, v15
	s_delay_alu instid0(VALU_DEP_1) | instskip(SKIP_1) | instid1(VALU_DEP_1)
	v_fmac_f32_e32 v29, v14, v28
	s_wait_alu 0xfffd
	v_div_fmas_f32 v14, v29, v15, v28
	s_delay_alu instid0(VALU_DEP_1) | instskip(NEXT) | instid1(VALU_DEP_1)
	v_div_fixup_f32 v14, v14, v12, v13
	v_fmac_f32_e32 v12, v13, v14
	s_delay_alu instid0(VALU_DEP_1) | instskip(SKIP_1) | instid1(VALU_DEP_2)
	v_div_scale_f32 v13, null, v12, v12, 1.0
	v_div_scale_f32 v29, vcc_lo, 1.0, v12, 1.0
	v_rcp_f32_e32 v15, v13
	v_xor_b32_e32 v13, 0x80000000, v13
	s_delay_alu instid0(TRANS32_DEP_1) | instid1(VALU_DEP_1)
	v_fma_f32 v28, v13, v15, 1.0
	s_delay_alu instid0(VALU_DEP_1) | instskip(NEXT) | instid1(VALU_DEP_1)
	v_fmac_f32_e32 v15, v28, v15
	v_mul_f32_e32 v28, v29, v15
	s_delay_alu instid0(VALU_DEP_1) | instskip(NEXT) | instid1(VALU_DEP_1)
	v_fma_f32 v30, v13, v28, v29
	v_fmac_f32_e32 v28, v30, v15
	s_delay_alu instid0(VALU_DEP_1) | instskip(SKIP_1) | instid1(VALU_DEP_1)
	v_fmac_f32_e32 v29, v13, v28
	s_wait_alu 0xfffd
	v_div_fmas_f32 v13, v29, v15, v28
	v_fma_f32 v15, v14, v3, v2
	v_fma_f32 v2, -v14, v2, v3
	s_delay_alu instid0(VALU_DEP_3) | instskip(NEXT) | instid1(VALU_DEP_1)
	v_div_fixup_f32 v12, v13, v12, 1.0
	v_mul_f32_e32 v14, v15, v12
	s_delay_alu instid0(VALU_DEP_3)
	v_mul_f32_e32 v15, v2, v12
.LBB152_66:                             ;   in Loop: Header=BB152_52 Depth=2
	s_sub_co_i32 s35, s35, 24
	s_lshl_b32 s34, s34, 3
	s_wait_alu 0xfffe
	v_mov_b32_e32 v2, s35
	s_add_co_i32 s35, s38, s34
	s_sub_co_i32 s37, s36, s37
	s_wait_alu 0xfffe
	v_mov_b32_e32 v3, s35
	s_add_co_i32 s34, s37, s34
	ds_load_b64 v[12:13], v2
	ds_load_b64 v[28:29], v3
	s_wait_alu 0xfffe
	v_mov_b32_e32 v30, s34
	s_add_co_i32 s34, s36, 0xffffff78
	s_wait_alu 0xfffe
	v_mov_b32_e32 v2, s34
	s_mov_b32 s34, -1
	s_wait_dscnt 0x1
	v_mul_f32_e32 v32, v9, v13
	v_mul_f32_e32 v13, v8, v13
	s_wait_dscnt 0x0
	v_mul_f32_e32 v33, v11, v29
	ds_load_b64 v[30:31], v30
	ds_load_b64 v[2:3], v2
	v_mul_f32_e32 v29, v10, v29
	v_fmac_f32_e32 v13, v9, v12
	ds_store_b64 v27, v[14:15]
	v_fma_f32 v10, v10, v28, -v33
	s_wait_dscnt 0x2
	v_mul_f32_e32 v34, v15, v31
	v_mul_f32_e32 v31, v14, v31
	v_fma_f32 v8, v8, v12, -v32
	s_wait_dscnt 0x1
	v_and_b32_e32 v9, 0x7fffffff, v2
	s_delay_alu instid0(VALU_DEP_2) | instskip(SKIP_2) | instid1(VALU_DEP_3)
	v_dual_fmac_f32 v31, v15, v30 :: v_dual_sub_f32 v0, v0, v8
	v_dual_fmac_f32 v29, v11, v28 :: v_dual_and_b32 v8, 0x7fffffff, v3
	v_fma_f32 v11, v14, v30, -v34
	v_dual_sub_f32 v0, v0, v10 :: v_dual_sub_f32 v1, v1, v13
	s_delay_alu instid0(VALU_DEP_3) | instskip(NEXT) | instid1(VALU_DEP_2)
	v_cmp_ngt_f32_e32 vcc_lo, v9, v8
	v_dual_sub_f32 v8, v0, v11 :: v_dual_sub_f32 v1, v1, v29
	s_delay_alu instid0(VALU_DEP_1)
	v_sub_f32_e32 v9, v1, v31
                                        ; implicit-def: $vgpr1
	s_cbranch_vccz .LBB152_68
; %bb.67:                               ;   in Loop: Header=BB152_52 Depth=2
	v_div_scale_f32 v0, null, v3, v3, v2
	v_div_scale_f32 v11, vcc_lo, v2, v3, v2
	s_mov_b32 s34, 0
	v_rcp_f32_e32 v1, v0
	v_xor_b32_e32 v0, 0x80000000, v0
	s_delay_alu instid0(TRANS32_DEP_1) | instid1(VALU_DEP_1)
	v_fma_f32 v10, v0, v1, 1.0
	s_delay_alu instid0(VALU_DEP_1) | instskip(NEXT) | instid1(VALU_DEP_1)
	v_fmac_f32_e32 v1, v10, v1
	v_mul_f32_e32 v10, v11, v1
	s_delay_alu instid0(VALU_DEP_1) | instskip(NEXT) | instid1(VALU_DEP_1)
	v_fma_f32 v12, v0, v10, v11
	v_fmac_f32_e32 v10, v12, v1
	s_delay_alu instid0(VALU_DEP_1) | instskip(SKIP_1) | instid1(VALU_DEP_1)
	v_fmac_f32_e32 v11, v0, v10
	s_wait_alu 0xfffd
	v_div_fmas_f32 v0, v11, v1, v10
	s_delay_alu instid0(VALU_DEP_1) | instskip(NEXT) | instid1(VALU_DEP_1)
	v_div_fixup_f32 v0, v0, v3, v2
	v_fma_f32 v1, v2, v0, v3
	s_delay_alu instid0(VALU_DEP_1) | instskip(SKIP_1) | instid1(VALU_DEP_2)
	v_div_scale_f32 v10, null, v1, v1, 1.0
	v_div_scale_f32 v13, vcc_lo, 1.0, v1, 1.0
	v_rcp_f32_e32 v11, v10
	v_xor_b32_e32 v10, 0x80000000, v10
	s_delay_alu instid0(TRANS32_DEP_1) | instid1(VALU_DEP_1)
	v_fma_f32 v12, v10, v11, 1.0
	s_delay_alu instid0(VALU_DEP_1) | instskip(NEXT) | instid1(VALU_DEP_1)
	v_fmac_f32_e32 v11, v12, v11
	v_mul_f32_e32 v12, v13, v11
	s_delay_alu instid0(VALU_DEP_1) | instskip(NEXT) | instid1(VALU_DEP_1)
	v_fma_f32 v14, v10, v12, v13
	v_fmac_f32_e32 v12, v14, v11
	s_delay_alu instid0(VALU_DEP_1) | instskip(SKIP_1) | instid1(VALU_DEP_1)
	v_fmac_f32_e32 v13, v10, v12
	s_wait_alu 0xfffd
	v_div_fmas_f32 v10, v13, v11, v12
	v_fma_f32 v11, v0, v8, v9
	s_delay_alu instid0(VALU_DEP_2) | instskip(SKIP_1) | instid1(VALU_DEP_2)
	v_div_fixup_f32 v1, v10, v1, 1.0
	v_fma_f32 v10, v0, v9, -v8
	v_mul_f32_e32 v0, v11, v1
	s_delay_alu instid0(VALU_DEP_2)
	v_mul_f32_e32 v1, v10, v1
.LBB152_68:                             ;   in Loop: Header=BB152_52 Depth=2
	s_wait_alu 0xfffe
	s_and_not1_b32 vcc_lo, exec_lo, s34
	s_wait_alu 0xfffe
	s_cbranch_vccnz .LBB152_70
; %bb.69:                               ;   in Loop: Header=BB152_52 Depth=2
	v_div_scale_f32 v0, null, v2, v2, v3
	v_div_scale_f32 v11, vcc_lo, v3, v2, v3
	s_delay_alu instid0(VALU_DEP_2)
	v_rcp_f32_e32 v1, v0
	v_xor_b32_e32 v0, 0x80000000, v0
	s_delay_alu instid0(TRANS32_DEP_1) | instid1(VALU_DEP_1)
	v_fma_f32 v10, v0, v1, 1.0
	s_delay_alu instid0(VALU_DEP_1) | instskip(NEXT) | instid1(VALU_DEP_1)
	v_fmac_f32_e32 v1, v10, v1
	v_mul_f32_e32 v10, v11, v1
	s_delay_alu instid0(VALU_DEP_1) | instskip(NEXT) | instid1(VALU_DEP_1)
	v_fma_f32 v12, v0, v10, v11
	v_fmac_f32_e32 v10, v12, v1
	s_delay_alu instid0(VALU_DEP_1) | instskip(SKIP_1) | instid1(VALU_DEP_1)
	v_fmac_f32_e32 v11, v0, v10
	s_wait_alu 0xfffd
	v_div_fmas_f32 v0, v11, v1, v10
	s_delay_alu instid0(VALU_DEP_1) | instskip(NEXT) | instid1(VALU_DEP_1)
	v_div_fixup_f32 v0, v0, v2, v3
	v_fmac_f32_e32 v2, v3, v0
	s_delay_alu instid0(VALU_DEP_1) | instskip(SKIP_1) | instid1(VALU_DEP_2)
	v_div_scale_f32 v1, null, v2, v2, 1.0
	v_div_scale_f32 v11, vcc_lo, 1.0, v2, 1.0
	v_rcp_f32_e32 v3, v1
	v_xor_b32_e32 v1, 0x80000000, v1
	s_delay_alu instid0(TRANS32_DEP_1) | instid1(VALU_DEP_1)
	v_fma_f32 v10, v1, v3, 1.0
	s_delay_alu instid0(VALU_DEP_1) | instskip(NEXT) | instid1(VALU_DEP_1)
	v_fmac_f32_e32 v3, v10, v3
	v_mul_f32_e32 v10, v11, v3
	s_delay_alu instid0(VALU_DEP_1) | instskip(NEXT) | instid1(VALU_DEP_1)
	v_fma_f32 v12, v1, v10, v11
	v_fmac_f32_e32 v10, v12, v3
	s_delay_alu instid0(VALU_DEP_1) | instskip(SKIP_1) | instid1(VALU_DEP_1)
	v_fmac_f32_e32 v11, v1, v10
	s_wait_alu 0xfffd
	v_div_fmas_f32 v1, v11, v3, v10
	v_fma_f32 v3, v0, v9, v8
	s_delay_alu instid0(VALU_DEP_2) | instskip(SKIP_1) | instid1(VALU_DEP_2)
	v_div_fixup_f32 v1, v1, v2, 1.0
	v_fma_f32 v2, -v0, v8, v9
	v_mul_f32_e32 v0, v3, v1
	s_delay_alu instid0(VALU_DEP_2)
	v_mul_f32_e32 v1, v2, v1
.LBB152_70:                             ;   in Loop: Header=BB152_52 Depth=2
	s_add_co_i32 s34, s15, -4
	s_sub_co_i32 s14, s14, 32
	s_cmp_lt_i32 s15, 7
	ds_store_b64 v26, v[0:1]
	s_cbranch_scc1 .LBB152_72
; %bb.71:                               ;   in Loop: Header=BB152_52 Depth=2
	s_wait_alu 0xfffe
	s_mov_b32 s15, s34
	s_branch .LBB152_52
.LBB152_72:                             ;   in Loop: Header=BB152_3 Depth=1
	s_wait_alu 0xfffe
	s_cmp_lt_i32 s34, 0
	s_cbranch_scc1 .LBB152_81
; %bb.73:                               ;   in Loop: Header=BB152_3 Depth=1
	s_lshl_b32 s14, s34, 3
	s_wait_alu 0xfffe
	s_add_co_i32 s14, s23, s14
	s_branch .LBB152_75
.LBB152_74:                             ;   in Loop: Header=BB152_75 Depth=2
	s_add_co_i32 s15, s34, -1
	s_add_co_i32 s14, s14, -8
	s_cmp_lt_i32 s34, 1
	s_wait_alu 0xfffe
	s_mov_b32 s34, s15
	ds_store_b64 v10, v[8:9]
	s_cbranch_scc1 .LBB152_81
.LBB152_75:                             ;   Parent Loop BB152_3 Depth=1
                                        ; =>  This Loop Header: Depth=2
                                        ;       Child Loop BB152_76 Depth 3
	s_wait_alu 0xfffe
	s_lshl_b32 s15, s34, 7
	v_mov_b32_e32 v2, v23
	s_wait_alu 0xfffe
	v_add_nc_u32_e32 v10, s15, v17
	s_cmp_le_i32 s27, s34
	s_mov_b32 s35, s14
	s_mov_b32 s36, s27
	ds_load_b64 v[0:1], v10
	s_cbranch_scc1 .LBB152_77
.LBB152_76:                             ;   Parent Loop BB152_3 Depth=1
                                        ;     Parent Loop BB152_75 Depth=2
                                        ; =>    This Inner Loop Header: Depth=3
	s_wait_alu 0xfffe
	v_mov_b32_e32 v3, s35
	s_add_co_i32 s36, s36, -1
	s_addk_co_i32 s35, 0xff80
	s_wait_alu 0xfffe
	s_cmp_le_i32 s36, s34
	ds_load_b64 v[8:9], v2
	ds_load_b64 v[11:12], v3
	s_wait_dscnt 0x0
	v_dual_mul_f32 v3, v12, v9 :: v_dual_add_nc_u32 v2, 0xffffff80, v2
	s_delay_alu instid0(VALU_DEP_1) | instskip(NEXT) | instid1(VALU_DEP_1)
	v_fma_f32 v3, v11, v8, -v3
	v_dual_mul_f32 v9, v11, v9 :: v_dual_sub_f32 v0, v0, v3
	s_delay_alu instid0(VALU_DEP_1) | instskip(NEXT) | instid1(VALU_DEP_1)
	v_fmac_f32_e32 v9, v12, v8
	v_sub_f32_e32 v1, v1, v9
	s_cbranch_scc0 .LBB152_76
.LBB152_77:                             ;   in Loop: Header=BB152_75 Depth=2
	s_lshl_b32 s35, s34, 3
	s_wait_alu 0xfffe
	s_add_co_i32 s15, s35, s15
	s_wait_alu 0xfffe
	v_mov_b32_e32 v2, s15
	s_mov_b32 s15, -1
	ds_load_b64 v[2:3], v2
	s_wait_dscnt 0x0
	v_and_b32_e32 v8, 0x7fffffff, v2
	v_and_b32_e32 v9, 0x7fffffff, v3
	s_delay_alu instid0(VALU_DEP_1)
	v_cmp_ngt_f32_e32 vcc_lo, v8, v9
                                        ; implicit-def: $vgpr8
	s_cbranch_vccz .LBB152_79
; %bb.78:                               ;   in Loop: Header=BB152_75 Depth=2
	v_div_scale_f32 v8, null, v3, v3, v2
	v_div_scale_f32 v12, vcc_lo, v2, v3, v2
	s_mov_b32 s15, 0
	v_rcp_f32_e32 v9, v8
	v_xor_b32_e32 v8, 0x80000000, v8
	s_delay_alu instid0(TRANS32_DEP_1) | instid1(VALU_DEP_1)
	v_fma_f32 v11, v8, v9, 1.0
	s_delay_alu instid0(VALU_DEP_1) | instskip(NEXT) | instid1(VALU_DEP_1)
	v_fmac_f32_e32 v9, v11, v9
	v_mul_f32_e32 v11, v12, v9
	s_delay_alu instid0(VALU_DEP_1) | instskip(NEXT) | instid1(VALU_DEP_1)
	v_fma_f32 v13, v8, v11, v12
	v_fmac_f32_e32 v11, v13, v9
	s_delay_alu instid0(VALU_DEP_1) | instskip(SKIP_1) | instid1(VALU_DEP_1)
	v_fmac_f32_e32 v12, v8, v11
	s_wait_alu 0xfffd
	v_div_fmas_f32 v8, v12, v9, v11
	s_delay_alu instid0(VALU_DEP_1) | instskip(NEXT) | instid1(VALU_DEP_1)
	v_div_fixup_f32 v8, v8, v3, v2
	v_fma_f32 v9, v2, v8, v3
	s_delay_alu instid0(VALU_DEP_1) | instskip(SKIP_1) | instid1(VALU_DEP_2)
	v_div_scale_f32 v11, null, v9, v9, 1.0
	v_div_scale_f32 v14, vcc_lo, 1.0, v9, 1.0
	v_rcp_f32_e32 v12, v11
	v_xor_b32_e32 v11, 0x80000000, v11
	s_delay_alu instid0(TRANS32_DEP_1) | instid1(VALU_DEP_1)
	v_fma_f32 v13, v11, v12, 1.0
	s_delay_alu instid0(VALU_DEP_1) | instskip(NEXT) | instid1(VALU_DEP_1)
	v_fmac_f32_e32 v12, v13, v12
	v_mul_f32_e32 v13, v14, v12
	s_delay_alu instid0(VALU_DEP_1) | instskip(NEXT) | instid1(VALU_DEP_1)
	v_fma_f32 v15, v11, v13, v14
	v_fmac_f32_e32 v13, v15, v12
	s_delay_alu instid0(VALU_DEP_1) | instskip(SKIP_1) | instid1(VALU_DEP_1)
	v_fmac_f32_e32 v14, v11, v13
	s_wait_alu 0xfffd
	v_div_fmas_f32 v11, v14, v12, v13
	v_fma_f32 v12, v0, v8, v1
	s_delay_alu instid0(VALU_DEP_2) | instskip(SKIP_1) | instid1(VALU_DEP_2)
	v_div_fixup_f32 v9, v11, v9, 1.0
	v_fma_f32 v11, v1, v8, -v0
	v_mul_f32_e32 v8, v12, v9
	s_delay_alu instid0(VALU_DEP_2)
	v_mul_f32_e32 v9, v11, v9
.LBB152_79:                             ;   in Loop: Header=BB152_75 Depth=2
	s_wait_alu 0xfffe
	s_and_not1_b32 vcc_lo, exec_lo, s15
	s_wait_alu 0xfffe
	s_cbranch_vccnz .LBB152_74
; %bb.80:                               ;   in Loop: Header=BB152_75 Depth=2
	v_div_scale_f32 v8, null, v2, v2, v3
	v_div_scale_f32 v12, vcc_lo, v3, v2, v3
	s_delay_alu instid0(VALU_DEP_2)
	v_rcp_f32_e32 v9, v8
	v_xor_b32_e32 v8, 0x80000000, v8
	s_delay_alu instid0(TRANS32_DEP_1) | instid1(VALU_DEP_1)
	v_fma_f32 v11, v8, v9, 1.0
	s_delay_alu instid0(VALU_DEP_1) | instskip(NEXT) | instid1(VALU_DEP_1)
	v_fmac_f32_e32 v9, v11, v9
	v_mul_f32_e32 v11, v12, v9
	s_delay_alu instid0(VALU_DEP_1) | instskip(NEXT) | instid1(VALU_DEP_1)
	v_fma_f32 v13, v8, v11, v12
	v_fmac_f32_e32 v11, v13, v9
	s_delay_alu instid0(VALU_DEP_1) | instskip(SKIP_1) | instid1(VALU_DEP_1)
	v_fmac_f32_e32 v12, v8, v11
	s_wait_alu 0xfffd
	v_div_fmas_f32 v8, v12, v9, v11
	s_delay_alu instid0(VALU_DEP_1) | instskip(NEXT) | instid1(VALU_DEP_1)
	v_div_fixup_f32 v8, v8, v2, v3
	v_fmac_f32_e32 v2, v3, v8
	s_delay_alu instid0(VALU_DEP_1) | instskip(SKIP_1) | instid1(VALU_DEP_2)
	v_div_scale_f32 v3, null, v2, v2, 1.0
	v_div_scale_f32 v12, vcc_lo, 1.0, v2, 1.0
	v_rcp_f32_e32 v9, v3
	v_xor_b32_e32 v3, 0x80000000, v3
	s_delay_alu instid0(TRANS32_DEP_1) | instid1(VALU_DEP_1)
	v_fma_f32 v11, v3, v9, 1.0
	s_delay_alu instid0(VALU_DEP_1) | instskip(NEXT) | instid1(VALU_DEP_1)
	v_fmac_f32_e32 v9, v11, v9
	v_mul_f32_e32 v11, v12, v9
	s_delay_alu instid0(VALU_DEP_1) | instskip(NEXT) | instid1(VALU_DEP_1)
	v_fma_f32 v13, v3, v11, v12
	v_fmac_f32_e32 v11, v13, v9
	s_delay_alu instid0(VALU_DEP_1) | instskip(SKIP_1) | instid1(VALU_DEP_1)
	v_fmac_f32_e32 v12, v3, v11
	s_wait_alu 0xfffd
	v_div_fmas_f32 v3, v12, v9, v11
	v_fma_f32 v9, v1, v8, v0
	v_fma_f32 v0, -v0, v8, v1
	s_delay_alu instid0(VALU_DEP_3) | instskip(NEXT) | instid1(VALU_DEP_1)
	v_div_fixup_f32 v2, v3, v2, 1.0
	v_mul_f32_e32 v8, v9, v2
	s_delay_alu instid0(VALU_DEP_3)
	v_mul_f32_e32 v9, v0, v2
	s_branch .LBB152_74
.LBB152_81:                             ;   in Loop: Header=BB152_3 Depth=1
	s_mov_b32 s14, 0
.LBB152_82:                             ;   in Loop: Header=BB152_3 Depth=1
	s_wait_alu 0xfffe
	s_and_not1_b32 vcc_lo, exec_lo, s14
	s_wait_alu 0xfffe
	s_cbranch_vccnz .LBB152_114
; %bb.83:                               ;   in Loop: Header=BB152_3 Depth=1
	s_mov_b32 s34, s27
	s_and_not1_b32 vcc_lo, exec_lo, s31
	s_mov_b32 s14, s24
	s_mov_b32 s15, s27
	s_wait_alu 0xfffe
	s_cbranch_vccnz .LBB152_105
.LBB152_84:                             ;   Parent Loop BB152_3 Depth=1
                                        ; =>  This Loop Header: Depth=2
                                        ;       Child Loop BB152_85 Depth 3
	s_wait_alu 0xfffe
	s_add_co_i32 s37, s15, -1
	v_lshl_add_u32 v29, s15, 7, v17
	s_add_co_i32 s36, s15, -2
	s_wait_alu 0xfffe
	v_lshl_add_u32 v28, s37, 7, v17
	s_add_co_i32 s34, s15, -3
	v_lshl_add_u32 v27, s36, 7, v17
	s_wait_alu 0xfffe
	v_lshl_add_u32 v26, s34, 7, v17
	ds_load_b64 v[0:1], v29
	ds_load_b64 v[14:15], v28
	;; [unrolled: 1-line block ×4, first 2 shown]
	v_mov_b32_e32 v2, v23
	s_cmp_le_i32 s27, s15
	s_mov_b32 s35, s14
	s_mov_b32 s38, s27
	s_cbranch_scc1 .LBB152_86
.LBB152_85:                             ;   Parent Loop BB152_3 Depth=1
                                        ;     Parent Loop BB152_84 Depth=2
                                        ; =>    This Inner Loop Header: Depth=3
	s_wait_alu 0xfffe
	v_mov_b32_e32 v3, s35
	s_add_co_i32 s38, s38, -1
	s_add_co_i32 s35, s35, -8
	s_wait_alu 0xfffe
	s_cmp_le_i32 s38, s15
	ds_load_b64 v[12:13], v2
	ds_load_2addr_b64 v[30:33], v3 offset0:32 offset1:48
	ds_load_2addr_b64 v[34:37], v3 offset1:16
	s_wait_dscnt 0x1
	v_dual_mul_f32 v3, v33, v13 :: v_dual_add_nc_u32 v2, 0xffffff80, v2
	v_mul_f32_e32 v38, v32, v13
	v_mul_f32_e32 v39, v31, v13
	s_wait_dscnt 0x0
	v_dual_mul_f32 v31, v31, v12 :: v_dual_mul_f32 v40, v37, v13
	v_mul_f32_e32 v41, v35, v13
	v_mul_f32_e32 v35, v35, v12
	v_fma_f32 v3, v32, v12, -v3
	v_mul_f32_e32 v37, v37, v12
	v_fmac_f32_e32 v38, v33, v12
	v_fma_f32 v32, v30, v12, -v39
	v_fmac_f32_e32 v31, v30, v13
	v_fma_f32 v30, v36, v12, -v40
	v_dual_fmac_f32 v35, v34, v13 :: v_dual_sub_f32 v0, v0, v3
	v_fmac_f32_e32 v37, v36, v13
	v_sub_f32_e32 v1, v1, v38
	s_delay_alu instid0(VALU_DEP_4) | instskip(SKIP_1) | instid1(VALU_DEP_4)
	v_sub_f32_e32 v10, v10, v30
	v_fma_f32 v12, v34, v12, -v41
	v_dual_sub_f32 v14, v14, v32 :: v_dual_sub_f32 v11, v11, v37
	s_delay_alu instid0(VALU_DEP_2)
	v_dual_sub_f32 v9, v9, v35 :: v_dual_sub_f32 v8, v8, v12
	v_sub_f32_e32 v15, v15, v31
	s_cbranch_scc0 .LBB152_85
.LBB152_86:                             ;   in Loop: Header=BB152_84 Depth=2
	s_lshl_b32 s39, s37, 4
	s_lshl_b32 s38, s36, 4
	;; [unrolled: 1-line block ×3, first 2 shown]
; %bb.87:                               ;   in Loop: Header=BB152_84 Depth=2
	s_mul_i32 s40, s15, 0x88
	s_wait_alu 0xfffe
	v_mov_b32_e32 v2, s40
	s_mov_b32 s40, -1
	ds_load_b64 v[2:3], v2
	s_wait_dscnt 0x0
	v_and_b32_e32 v12, 0x7fffffff, v2
	v_and_b32_e32 v13, 0x7fffffff, v3
	s_delay_alu instid0(VALU_DEP_1)
	v_cmp_ngt_f32_e32 vcc_lo, v12, v13
                                        ; implicit-def: $vgpr13
	s_cbranch_vccz .LBB152_89
; %bb.88:                               ;   in Loop: Header=BB152_84 Depth=2
	v_div_scale_f32 v12, null, v3, v3, v2
	v_div_scale_f32 v31, vcc_lo, v2, v3, v2
	s_mov_b32 s40, 0
	v_rcp_f32_e32 v13, v12
	v_xor_b32_e32 v12, 0x80000000, v12
	s_delay_alu instid0(TRANS32_DEP_1) | instid1(VALU_DEP_1)
	v_fma_f32 v30, v12, v13, 1.0
	s_delay_alu instid0(VALU_DEP_1) | instskip(NEXT) | instid1(VALU_DEP_1)
	v_fmac_f32_e32 v13, v30, v13
	v_mul_f32_e32 v30, v31, v13
	s_delay_alu instid0(VALU_DEP_1) | instskip(NEXT) | instid1(VALU_DEP_1)
	v_fma_f32 v32, v12, v30, v31
	v_fmac_f32_e32 v30, v32, v13
	s_delay_alu instid0(VALU_DEP_1) | instskip(SKIP_1) | instid1(VALU_DEP_1)
	v_fmac_f32_e32 v31, v12, v30
	s_wait_alu 0xfffd
	v_div_fmas_f32 v12, v31, v13, v30
	s_delay_alu instid0(VALU_DEP_1) | instskip(NEXT) | instid1(VALU_DEP_1)
	v_div_fixup_f32 v12, v12, v3, v2
	v_fma_f32 v13, v2, v12, v3
	s_delay_alu instid0(VALU_DEP_1) | instskip(SKIP_1) | instid1(VALU_DEP_2)
	v_div_scale_f32 v30, null, v13, v13, 1.0
	v_div_scale_f32 v33, vcc_lo, 1.0, v13, 1.0
	v_rcp_f32_e32 v31, v30
	v_xor_b32_e32 v30, 0x80000000, v30
	s_delay_alu instid0(TRANS32_DEP_1) | instid1(VALU_DEP_1)
	v_fma_f32 v32, v30, v31, 1.0
	s_delay_alu instid0(VALU_DEP_1) | instskip(NEXT) | instid1(VALU_DEP_1)
	v_fmac_f32_e32 v31, v32, v31
	v_mul_f32_e32 v32, v33, v31
	s_delay_alu instid0(VALU_DEP_1) | instskip(NEXT) | instid1(VALU_DEP_1)
	v_fma_f32 v34, v30, v32, v33
	v_fmac_f32_e32 v32, v34, v31
	s_delay_alu instid0(VALU_DEP_1) | instskip(SKIP_1) | instid1(VALU_DEP_1)
	v_fmac_f32_e32 v33, v30, v32
	s_wait_alu 0xfffd
	v_div_fmas_f32 v30, v33, v31, v32
	v_fma_f32 v31, v0, v12, v1
	s_delay_alu instid0(VALU_DEP_2) | instskip(SKIP_1) | instid1(VALU_DEP_2)
	v_div_fixup_f32 v13, v30, v13, 1.0
	v_fma_f32 v30, v1, v12, -v0
	v_mul_f32_e32 v12, v31, v13
	s_delay_alu instid0(VALU_DEP_2)
	v_mul_f32_e32 v13, v30, v13
.LBB152_89:                             ;   in Loop: Header=BB152_84 Depth=2
	s_wait_alu 0xfffe
	s_and_not1_b32 vcc_lo, exec_lo, s40
	s_wait_alu 0xfffe
	s_cbranch_vccnz .LBB152_91
; %bb.90:                               ;   in Loop: Header=BB152_84 Depth=2
	v_div_scale_f32 v12, null, v2, v2, v3
	v_div_scale_f32 v31, vcc_lo, v3, v2, v3
	s_delay_alu instid0(VALU_DEP_2)
	v_rcp_f32_e32 v13, v12
	v_xor_b32_e32 v12, 0x80000000, v12
	s_delay_alu instid0(TRANS32_DEP_1) | instid1(VALU_DEP_1)
	v_fma_f32 v30, v12, v13, 1.0
	s_delay_alu instid0(VALU_DEP_1) | instskip(NEXT) | instid1(VALU_DEP_1)
	v_fmac_f32_e32 v13, v30, v13
	v_mul_f32_e32 v30, v31, v13
	s_delay_alu instid0(VALU_DEP_1) | instskip(NEXT) | instid1(VALU_DEP_1)
	v_fma_f32 v32, v12, v30, v31
	v_fmac_f32_e32 v30, v32, v13
	s_delay_alu instid0(VALU_DEP_1) | instskip(SKIP_1) | instid1(VALU_DEP_1)
	v_fmac_f32_e32 v31, v12, v30
	s_wait_alu 0xfffd
	v_div_fmas_f32 v12, v31, v13, v30
	s_delay_alu instid0(VALU_DEP_1) | instskip(NEXT) | instid1(VALU_DEP_1)
	v_div_fixup_f32 v12, v12, v2, v3
	v_fmac_f32_e32 v2, v3, v12
	s_delay_alu instid0(VALU_DEP_1) | instskip(SKIP_1) | instid1(VALU_DEP_2)
	v_div_scale_f32 v3, null, v2, v2, 1.0
	v_div_scale_f32 v31, vcc_lo, 1.0, v2, 1.0
	v_rcp_f32_e32 v13, v3
	v_xor_b32_e32 v3, 0x80000000, v3
	s_delay_alu instid0(TRANS32_DEP_1) | instid1(VALU_DEP_1)
	v_fma_f32 v30, v3, v13, 1.0
	s_delay_alu instid0(VALU_DEP_1) | instskip(NEXT) | instid1(VALU_DEP_1)
	v_fmac_f32_e32 v13, v30, v13
	v_mul_f32_e32 v30, v31, v13
	s_delay_alu instid0(VALU_DEP_1) | instskip(NEXT) | instid1(VALU_DEP_1)
	v_fma_f32 v32, v3, v30, v31
	v_fmac_f32_e32 v30, v32, v13
	s_delay_alu instid0(VALU_DEP_1) | instskip(SKIP_1) | instid1(VALU_DEP_1)
	v_fmac_f32_e32 v31, v3, v30
	s_wait_alu 0xfffd
	v_div_fmas_f32 v3, v31, v13, v30
	v_fma_f32 v13, v1, v12, v0
	v_fma_f32 v0, -v0, v12, v1
	s_delay_alu instid0(VALU_DEP_3) | instskip(NEXT) | instid1(VALU_DEP_1)
	v_div_fixup_f32 v2, v3, v2, 1.0
	v_mul_f32_e32 v12, v13, v2
	s_delay_alu instid0(VALU_DEP_3)
	v_mul_f32_e32 v13, v0, v2
.LBB152_91:                             ;   in Loop: Header=BB152_84 Depth=2
	s_lshl_b32 s39, s39, 3
	s_lshl_b32 s37, s37, 3
	ds_store_b64 v29, v[12:13]
	s_wait_alu 0xfffe
	s_add_co_i32 s37, s39, s37
	s_wait_alu 0xfffe
	v_mov_b32_e32 v0, s37
	s_mov_b32 s37, -1
	ds_load_2addr_b64 v[0:3], v0 offset1:1
	s_wait_dscnt 0x0
	v_dual_mul_f32 v30, v13, v3 :: v_dual_and_b32 v31, 0x7fffffff, v0
	v_dual_mul_f32 v3, v12, v3 :: v_dual_and_b32 v32, 0x7fffffff, v1
	s_delay_alu instid0(VALU_DEP_2) | instskip(NEXT) | instid1(VALU_DEP_2)
	v_fma_f32 v30, v12, v2, -v30
	v_fmac_f32_e32 v3, v13, v2
	s_delay_alu instid0(VALU_DEP_3) | instskip(NEXT) | instid1(VALU_DEP_2)
	v_cmp_ngt_f32_e32 vcc_lo, v31, v32
	v_dual_sub_f32 v2, v14, v30 :: v_dual_sub_f32 v3, v15, v3
                                        ; implicit-def: $vgpr15
	s_cbranch_vccz .LBB152_93
; %bb.92:                               ;   in Loop: Header=BB152_84 Depth=2
	v_div_scale_f32 v14, null, v1, v1, v0
	v_div_scale_f32 v30, vcc_lo, v0, v1, v0
	s_mov_b32 s37, 0
	v_rcp_f32_e32 v15, v14
	v_xor_b32_e32 v14, 0x80000000, v14
	s_delay_alu instid0(TRANS32_DEP_1) | instid1(VALU_DEP_1)
	v_fma_f32 v29, v14, v15, 1.0
	s_delay_alu instid0(VALU_DEP_1) | instskip(NEXT) | instid1(VALU_DEP_1)
	v_fmac_f32_e32 v15, v29, v15
	v_mul_f32_e32 v29, v30, v15
	s_delay_alu instid0(VALU_DEP_1) | instskip(NEXT) | instid1(VALU_DEP_1)
	v_fma_f32 v31, v14, v29, v30
	v_fmac_f32_e32 v29, v31, v15
	s_delay_alu instid0(VALU_DEP_1) | instskip(SKIP_1) | instid1(VALU_DEP_1)
	v_fmac_f32_e32 v30, v14, v29
	s_wait_alu 0xfffd
	v_div_fmas_f32 v14, v30, v15, v29
	s_delay_alu instid0(VALU_DEP_1) | instskip(NEXT) | instid1(VALU_DEP_1)
	v_div_fixup_f32 v14, v14, v1, v0
	v_fma_f32 v15, v0, v14, v1
	s_delay_alu instid0(VALU_DEP_1) | instskip(SKIP_1) | instid1(VALU_DEP_2)
	v_div_scale_f32 v29, null, v15, v15, 1.0
	v_div_scale_f32 v32, vcc_lo, 1.0, v15, 1.0
	v_rcp_f32_e32 v30, v29
	v_xor_b32_e32 v29, 0x80000000, v29
	s_delay_alu instid0(TRANS32_DEP_1) | instid1(VALU_DEP_1)
	v_fma_f32 v31, v29, v30, 1.0
	s_delay_alu instid0(VALU_DEP_1) | instskip(NEXT) | instid1(VALU_DEP_1)
	v_fmac_f32_e32 v30, v31, v30
	v_mul_f32_e32 v31, v32, v30
	s_delay_alu instid0(VALU_DEP_1) | instskip(NEXT) | instid1(VALU_DEP_1)
	v_fma_f32 v33, v29, v31, v32
	v_fmac_f32_e32 v31, v33, v30
	s_delay_alu instid0(VALU_DEP_1) | instskip(SKIP_1) | instid1(VALU_DEP_1)
	v_fmac_f32_e32 v32, v29, v31
	s_wait_alu 0xfffd
	v_div_fmas_f32 v29, v32, v30, v31
	v_fma_f32 v30, v14, v2, v3
	s_delay_alu instid0(VALU_DEP_2) | instskip(SKIP_1) | instid1(VALU_DEP_2)
	v_div_fixup_f32 v15, v29, v15, 1.0
	v_fma_f32 v29, v14, v3, -v2
	v_mul_f32_e32 v14, v30, v15
	s_delay_alu instid0(VALU_DEP_2)
	v_mul_f32_e32 v15, v29, v15
.LBB152_93:                             ;   in Loop: Header=BB152_84 Depth=2
	s_wait_alu 0xfffe
	s_and_not1_b32 vcc_lo, exec_lo, s37
	s_wait_alu 0xfffe
	s_cbranch_vccnz .LBB152_95
; %bb.94:                               ;   in Loop: Header=BB152_84 Depth=2
	v_div_scale_f32 v14, null, v0, v0, v1
	v_div_scale_f32 v30, vcc_lo, v1, v0, v1
	s_delay_alu instid0(VALU_DEP_2)
	v_rcp_f32_e32 v15, v14
	v_xor_b32_e32 v14, 0x80000000, v14
	s_delay_alu instid0(TRANS32_DEP_1) | instid1(VALU_DEP_1)
	v_fma_f32 v29, v14, v15, 1.0
	s_delay_alu instid0(VALU_DEP_1) | instskip(NEXT) | instid1(VALU_DEP_1)
	v_fmac_f32_e32 v15, v29, v15
	v_mul_f32_e32 v29, v30, v15
	s_delay_alu instid0(VALU_DEP_1) | instskip(NEXT) | instid1(VALU_DEP_1)
	v_fma_f32 v31, v14, v29, v30
	v_fmac_f32_e32 v29, v31, v15
	s_delay_alu instid0(VALU_DEP_1) | instskip(SKIP_1) | instid1(VALU_DEP_1)
	v_fmac_f32_e32 v30, v14, v29
	s_wait_alu 0xfffd
	v_div_fmas_f32 v14, v30, v15, v29
	s_delay_alu instid0(VALU_DEP_1) | instskip(NEXT) | instid1(VALU_DEP_1)
	v_div_fixup_f32 v14, v14, v0, v1
	v_fmac_f32_e32 v0, v1, v14
	s_delay_alu instid0(VALU_DEP_1) | instskip(SKIP_1) | instid1(VALU_DEP_2)
	v_div_scale_f32 v1, null, v0, v0, 1.0
	v_div_scale_f32 v30, vcc_lo, 1.0, v0, 1.0
	v_rcp_f32_e32 v15, v1
	v_xor_b32_e32 v1, 0x80000000, v1
	s_delay_alu instid0(TRANS32_DEP_1) | instid1(VALU_DEP_1)
	v_fma_f32 v29, v1, v15, 1.0
	s_delay_alu instid0(VALU_DEP_1) | instskip(NEXT) | instid1(VALU_DEP_1)
	v_fmac_f32_e32 v15, v29, v15
	v_mul_f32_e32 v29, v30, v15
	s_delay_alu instid0(VALU_DEP_1) | instskip(NEXT) | instid1(VALU_DEP_1)
	v_fma_f32 v31, v1, v29, v30
	v_fmac_f32_e32 v29, v31, v15
	s_delay_alu instid0(VALU_DEP_1) | instskip(SKIP_1) | instid1(VALU_DEP_1)
	v_fmac_f32_e32 v30, v1, v29
	s_wait_alu 0xfffd
	v_div_fmas_f32 v1, v30, v15, v29
	v_fma_f32 v15, v14, v3, v2
	s_delay_alu instid0(VALU_DEP_2) | instskip(SKIP_1) | instid1(VALU_DEP_2)
	v_div_fixup_f32 v0, v1, v0, 1.0
	v_fma_f32 v1, -v14, v2, v3
	v_mul_f32_e32 v14, v15, v0
	s_delay_alu instid0(VALU_DEP_2)
	v_mul_f32_e32 v15, v1, v0
.LBB152_95:                             ;   in Loop: Header=BB152_84 Depth=2
	s_lshl_b32 s38, s38, 3
	s_lshl_b32 s37, s15, 3
	;; [unrolled: 1-line block ×3, first 2 shown]
	s_wait_alu 0xfffe
	s_add_co_i32 s39, s38, s37
	s_add_co_i32 s36, s38, s36
	s_wait_alu 0xfffe
	v_dual_mov_b32 v0, s39 :: v_dual_mov_b32 v1, s36
	s_mov_b32 s36, -1
	ds_load_b64 v[29:30], v0
	ds_load_2addr_b64 v[0:3], v1 offset1:1
	ds_store_b64 v28, v[14:15]
	s_wait_dscnt 0x1
	v_dual_mul_f32 v31, v13, v30 :: v_dual_mul_f32 v32, v15, v3
	v_dual_mul_f32 v30, v12, v30 :: v_dual_mul_f32 v3, v14, v3
	v_and_b32_e32 v33, 0x7fffffff, v0
	s_delay_alu instid0(VALU_DEP_3) | instskip(NEXT) | instid1(VALU_DEP_4)
	v_fma_f32 v31, v12, v29, -v31
	v_fma_f32 v32, v14, v2, -v32
	s_delay_alu instid0(VALU_DEP_4) | instskip(SKIP_1) | instid1(VALU_DEP_4)
	v_fmac_f32_e32 v30, v13, v29
	v_and_b32_e32 v29, 0x7fffffff, v1
	v_dual_fmac_f32 v3, v15, v2 :: v_dual_sub_f32 v2, v10, v31
	s_delay_alu instid0(VALU_DEP_3) | instskip(NEXT) | instid1(VALU_DEP_3)
	v_sub_f32_e32 v10, v11, v30
	v_cmp_ngt_f32_e32 vcc_lo, v33, v29
	s_delay_alu instid0(VALU_DEP_3) | instskip(NEXT) | instid1(VALU_DEP_3)
	v_sub_f32_e32 v2, v2, v32
	v_sub_f32_e32 v3, v10, v3
                                        ; implicit-def: $vgpr11
	s_cbranch_vccz .LBB152_97
; %bb.96:                               ;   in Loop: Header=BB152_84 Depth=2
	v_div_scale_f32 v10, null, v1, v1, v0
	v_div_scale_f32 v29, vcc_lo, v0, v1, v0
	s_mov_b32 s36, 0
	v_rcp_f32_e32 v11, v10
	v_xor_b32_e32 v10, 0x80000000, v10
	s_delay_alu instid0(TRANS32_DEP_1) | instid1(VALU_DEP_1)
	v_fma_f32 v28, v10, v11, 1.0
	s_delay_alu instid0(VALU_DEP_1) | instskip(NEXT) | instid1(VALU_DEP_1)
	v_fmac_f32_e32 v11, v28, v11
	v_mul_f32_e32 v28, v29, v11
	s_delay_alu instid0(VALU_DEP_1) | instskip(NEXT) | instid1(VALU_DEP_1)
	v_fma_f32 v30, v10, v28, v29
	v_fmac_f32_e32 v28, v30, v11
	s_delay_alu instid0(VALU_DEP_1) | instskip(SKIP_1) | instid1(VALU_DEP_1)
	v_fmac_f32_e32 v29, v10, v28
	s_wait_alu 0xfffd
	v_div_fmas_f32 v10, v29, v11, v28
	s_delay_alu instid0(VALU_DEP_1) | instskip(NEXT) | instid1(VALU_DEP_1)
	v_div_fixup_f32 v10, v10, v1, v0
	v_fma_f32 v11, v0, v10, v1
	s_delay_alu instid0(VALU_DEP_1) | instskip(SKIP_1) | instid1(VALU_DEP_2)
	v_div_scale_f32 v28, null, v11, v11, 1.0
	v_div_scale_f32 v31, vcc_lo, 1.0, v11, 1.0
	v_rcp_f32_e32 v29, v28
	v_xor_b32_e32 v28, 0x80000000, v28
	s_delay_alu instid0(TRANS32_DEP_1) | instid1(VALU_DEP_1)
	v_fma_f32 v30, v28, v29, 1.0
	s_delay_alu instid0(VALU_DEP_1) | instskip(NEXT) | instid1(VALU_DEP_1)
	v_fmac_f32_e32 v29, v30, v29
	v_mul_f32_e32 v30, v31, v29
	s_delay_alu instid0(VALU_DEP_1) | instskip(NEXT) | instid1(VALU_DEP_1)
	v_fma_f32 v32, v28, v30, v31
	v_fmac_f32_e32 v30, v32, v29
	s_delay_alu instid0(VALU_DEP_1) | instskip(SKIP_1) | instid1(VALU_DEP_1)
	v_fmac_f32_e32 v31, v28, v30
	s_wait_alu 0xfffd
	v_div_fmas_f32 v28, v31, v29, v30
	v_fma_f32 v29, v10, v2, v3
	s_delay_alu instid0(VALU_DEP_2) | instskip(SKIP_1) | instid1(VALU_DEP_2)
	v_div_fixup_f32 v11, v28, v11, 1.0
	v_fma_f32 v28, v10, v3, -v2
	v_mul_f32_e32 v10, v29, v11
	s_delay_alu instid0(VALU_DEP_2)
	v_mul_f32_e32 v11, v28, v11
.LBB152_97:                             ;   in Loop: Header=BB152_84 Depth=2
	s_wait_alu 0xfffe
	s_and_not1_b32 vcc_lo, exec_lo, s36
	s_wait_alu 0xfffe
	s_cbranch_vccnz .LBB152_99
; %bb.98:                               ;   in Loop: Header=BB152_84 Depth=2
	v_div_scale_f32 v10, null, v0, v0, v1
	v_div_scale_f32 v29, vcc_lo, v1, v0, v1
	s_delay_alu instid0(VALU_DEP_2)
	v_rcp_f32_e32 v11, v10
	v_xor_b32_e32 v10, 0x80000000, v10
	s_delay_alu instid0(TRANS32_DEP_1) | instid1(VALU_DEP_1)
	v_fma_f32 v28, v10, v11, 1.0
	s_delay_alu instid0(VALU_DEP_1) | instskip(NEXT) | instid1(VALU_DEP_1)
	v_fmac_f32_e32 v11, v28, v11
	v_mul_f32_e32 v28, v29, v11
	s_delay_alu instid0(VALU_DEP_1) | instskip(NEXT) | instid1(VALU_DEP_1)
	v_fma_f32 v30, v10, v28, v29
	v_fmac_f32_e32 v28, v30, v11
	s_delay_alu instid0(VALU_DEP_1) | instskip(SKIP_1) | instid1(VALU_DEP_1)
	v_fmac_f32_e32 v29, v10, v28
	s_wait_alu 0xfffd
	v_div_fmas_f32 v10, v29, v11, v28
	s_delay_alu instid0(VALU_DEP_1) | instskip(NEXT) | instid1(VALU_DEP_1)
	v_div_fixup_f32 v10, v10, v0, v1
	v_fmac_f32_e32 v0, v1, v10
	s_delay_alu instid0(VALU_DEP_1) | instskip(SKIP_1) | instid1(VALU_DEP_2)
	v_div_scale_f32 v1, null, v0, v0, 1.0
	v_div_scale_f32 v29, vcc_lo, 1.0, v0, 1.0
	v_rcp_f32_e32 v11, v1
	v_xor_b32_e32 v1, 0x80000000, v1
	s_delay_alu instid0(TRANS32_DEP_1) | instid1(VALU_DEP_1)
	v_fma_f32 v28, v1, v11, 1.0
	s_delay_alu instid0(VALU_DEP_1) | instskip(NEXT) | instid1(VALU_DEP_1)
	v_fmac_f32_e32 v11, v28, v11
	v_mul_f32_e32 v28, v29, v11
	s_delay_alu instid0(VALU_DEP_1) | instskip(NEXT) | instid1(VALU_DEP_1)
	v_fma_f32 v30, v1, v28, v29
	v_fmac_f32_e32 v28, v30, v11
	s_delay_alu instid0(VALU_DEP_1) | instskip(SKIP_1) | instid1(VALU_DEP_1)
	v_fmac_f32_e32 v29, v1, v28
	s_wait_alu 0xfffd
	v_div_fmas_f32 v1, v29, v11, v28
	v_fma_f32 v11, v10, v3, v2
	s_delay_alu instid0(VALU_DEP_2) | instskip(SKIP_1) | instid1(VALU_DEP_2)
	v_div_fixup_f32 v0, v1, v0, 1.0
	v_fma_f32 v1, -v10, v2, v3
	v_mul_f32_e32 v10, v11, v0
	s_delay_alu instid0(VALU_DEP_2)
	v_mul_f32_e32 v11, v1, v0
.LBB152_99:                             ;   in Loop: Header=BB152_84 Depth=2
	s_lshl_b32 s35, s35, 3
	s_lshl_b32 s34, s34, 3
	s_wait_alu 0xfffe
	s_add_co_i32 s36, s35, s37
	s_add_co_i32 s34, s35, s34
	s_wait_alu 0xfffe
	s_add_co_i32 s36, s36, -8
	s_wait_alu 0xfffe
	v_dual_mov_b32 v1, s34 :: v_dual_mov_b32 v0, s36
	s_mov_b32 s34, -1
	ds_load_2addr_b64 v[28:31], v0 offset1:1
	ds_load_2addr_b64 v[0:3], v1 offset1:1
	ds_store_b64 v27, v[10:11]
	s_wait_dscnt 0x2
	v_dual_mul_f32 v32, v13, v31 :: v_dual_mul_f32 v33, v15, v29
	v_mul_f32_e32 v31, v12, v31
	s_wait_dscnt 0x1
	v_dual_mul_f32 v29, v14, v29 :: v_dual_mul_f32 v34, v11, v3
	s_delay_alu instid0(VALU_DEP_3) | instskip(SKIP_2) | instid1(VALU_DEP_3)
	v_fma_f32 v12, v12, v30, -v32
	v_mul_f32_e32 v3, v10, v3
	v_fma_f32 v14, v14, v28, -v33
	v_sub_f32_e32 v8, v8, v12
	v_dual_fmac_f32 v29, v15, v28 :: v_dual_and_b32 v12, 0x7fffffff, v1
	v_fma_f32 v15, v10, v2, -v34
	v_fmac_f32_e32 v3, v11, v2
	s_delay_alu instid0(VALU_DEP_4) | instskip(SKIP_1) | instid1(VALU_DEP_2)
	v_sub_f32_e32 v2, v8, v14
	v_fmac_f32_e32 v31, v13, v30
	v_dual_sub_f32 v8, v2, v15 :: v_dual_and_b32 v13, 0x7fffffff, v0
	s_delay_alu instid0(VALU_DEP_2) | instskip(NEXT) | instid1(VALU_DEP_2)
	v_sub_f32_e32 v9, v9, v31
	v_cmp_ngt_f32_e32 vcc_lo, v13, v12
	s_delay_alu instid0(VALU_DEP_2) | instskip(NEXT) | instid1(VALU_DEP_1)
	v_sub_f32_e32 v9, v9, v29
	v_sub_f32_e32 v9, v9, v3
                                        ; implicit-def: $vgpr3
	s_cbranch_vccz .LBB152_101
; %bb.100:                              ;   in Loop: Header=BB152_84 Depth=2
	v_div_scale_f32 v2, null, v1, v1, v0
	v_div_scale_f32 v11, vcc_lo, v0, v1, v0
	s_mov_b32 s34, 0
	v_rcp_f32_e32 v3, v2
	v_xor_b32_e32 v2, 0x80000000, v2
	s_delay_alu instid0(TRANS32_DEP_1) | instid1(VALU_DEP_1)
	v_fma_f32 v10, v2, v3, 1.0
	s_delay_alu instid0(VALU_DEP_1) | instskip(NEXT) | instid1(VALU_DEP_1)
	v_fmac_f32_e32 v3, v10, v3
	v_mul_f32_e32 v10, v11, v3
	s_delay_alu instid0(VALU_DEP_1) | instskip(NEXT) | instid1(VALU_DEP_1)
	v_fma_f32 v12, v2, v10, v11
	v_fmac_f32_e32 v10, v12, v3
	s_delay_alu instid0(VALU_DEP_1) | instskip(SKIP_1) | instid1(VALU_DEP_1)
	v_fmac_f32_e32 v11, v2, v10
	s_wait_alu 0xfffd
	v_div_fmas_f32 v2, v11, v3, v10
	s_delay_alu instid0(VALU_DEP_1) | instskip(NEXT) | instid1(VALU_DEP_1)
	v_div_fixup_f32 v2, v2, v1, v0
	v_fma_f32 v3, v0, v2, v1
	s_delay_alu instid0(VALU_DEP_1) | instskip(SKIP_1) | instid1(VALU_DEP_2)
	v_div_scale_f32 v10, null, v3, v3, 1.0
	v_div_scale_f32 v13, vcc_lo, 1.0, v3, 1.0
	v_rcp_f32_e32 v11, v10
	v_xor_b32_e32 v10, 0x80000000, v10
	s_delay_alu instid0(TRANS32_DEP_1) | instid1(VALU_DEP_1)
	v_fma_f32 v12, v10, v11, 1.0
	s_delay_alu instid0(VALU_DEP_1) | instskip(NEXT) | instid1(VALU_DEP_1)
	v_fmac_f32_e32 v11, v12, v11
	v_mul_f32_e32 v12, v13, v11
	s_delay_alu instid0(VALU_DEP_1) | instskip(NEXT) | instid1(VALU_DEP_1)
	v_fma_f32 v14, v10, v12, v13
	v_fmac_f32_e32 v12, v14, v11
	s_delay_alu instid0(VALU_DEP_1) | instskip(SKIP_1) | instid1(VALU_DEP_1)
	v_fmac_f32_e32 v13, v10, v12
	s_wait_alu 0xfffd
	v_div_fmas_f32 v10, v13, v11, v12
	v_fma_f32 v11, v2, v8, v9
	s_delay_alu instid0(VALU_DEP_2) | instskip(SKIP_1) | instid1(VALU_DEP_2)
	v_div_fixup_f32 v3, v10, v3, 1.0
	v_fma_f32 v10, v2, v9, -v8
	v_mul_f32_e32 v2, v11, v3
	s_delay_alu instid0(VALU_DEP_2)
	v_mul_f32_e32 v3, v10, v3
.LBB152_101:                            ;   in Loop: Header=BB152_84 Depth=2
	s_wait_alu 0xfffe
	s_and_not1_b32 vcc_lo, exec_lo, s34
	s_wait_alu 0xfffe
	s_cbranch_vccnz .LBB152_103
; %bb.102:                              ;   in Loop: Header=BB152_84 Depth=2
	v_div_scale_f32 v2, null, v0, v0, v1
	v_div_scale_f32 v11, vcc_lo, v1, v0, v1
	s_delay_alu instid0(VALU_DEP_2)
	v_rcp_f32_e32 v3, v2
	v_xor_b32_e32 v2, 0x80000000, v2
	s_delay_alu instid0(TRANS32_DEP_1) | instid1(VALU_DEP_1)
	v_fma_f32 v10, v2, v3, 1.0
	s_delay_alu instid0(VALU_DEP_1) | instskip(NEXT) | instid1(VALU_DEP_1)
	v_fmac_f32_e32 v3, v10, v3
	v_mul_f32_e32 v10, v11, v3
	s_delay_alu instid0(VALU_DEP_1) | instskip(NEXT) | instid1(VALU_DEP_1)
	v_fma_f32 v12, v2, v10, v11
	v_fmac_f32_e32 v10, v12, v3
	s_delay_alu instid0(VALU_DEP_1) | instskip(SKIP_1) | instid1(VALU_DEP_1)
	v_fmac_f32_e32 v11, v2, v10
	s_wait_alu 0xfffd
	v_div_fmas_f32 v2, v11, v3, v10
	s_delay_alu instid0(VALU_DEP_1) | instskip(NEXT) | instid1(VALU_DEP_1)
	v_div_fixup_f32 v2, v2, v0, v1
	v_fmac_f32_e32 v0, v1, v2
	s_delay_alu instid0(VALU_DEP_1) | instskip(SKIP_1) | instid1(VALU_DEP_2)
	v_div_scale_f32 v1, null, v0, v0, 1.0
	v_div_scale_f32 v11, vcc_lo, 1.0, v0, 1.0
	v_rcp_f32_e32 v3, v1
	v_xor_b32_e32 v1, 0x80000000, v1
	s_delay_alu instid0(TRANS32_DEP_1) | instid1(VALU_DEP_1)
	v_fma_f32 v10, v1, v3, 1.0
	s_delay_alu instid0(VALU_DEP_1) | instskip(NEXT) | instid1(VALU_DEP_1)
	v_fmac_f32_e32 v3, v10, v3
	v_mul_f32_e32 v10, v11, v3
	s_delay_alu instid0(VALU_DEP_1) | instskip(NEXT) | instid1(VALU_DEP_1)
	v_fma_f32 v12, v1, v10, v11
	v_fmac_f32_e32 v10, v12, v3
	s_delay_alu instid0(VALU_DEP_1) | instskip(SKIP_1) | instid1(VALU_DEP_1)
	v_fmac_f32_e32 v11, v1, v10
	s_wait_alu 0xfffd
	v_div_fmas_f32 v1, v11, v3, v10
	v_fma_f32 v3, v2, v9, v8
	s_delay_alu instid0(VALU_DEP_2) | instskip(SKIP_1) | instid1(VALU_DEP_2)
	v_div_fixup_f32 v0, v1, v0, 1.0
	v_fma_f32 v1, -v2, v8, v9
	v_mul_f32_e32 v2, v3, v0
	s_delay_alu instid0(VALU_DEP_2)
	v_mul_f32_e32 v3, v1, v0
.LBB152_103:                            ;   in Loop: Header=BB152_84 Depth=2
	s_add_co_i32 s34, s15, -4
	s_addk_co_i32 s14, 0xfe00
	s_cmp_lt_i32 s15, 7
	ds_store_b64 v26, v[2:3]
	s_cbranch_scc1 .LBB152_105
; %bb.104:                              ;   in Loop: Header=BB152_84 Depth=2
	s_wait_alu 0xfffe
	s_mov_b32 s15, s34
	s_branch .LBB152_84
.LBB152_105:                            ;   in Loop: Header=BB152_3 Depth=1
	s_wait_alu 0xfffe
	s_cmp_lt_i32 s34, 0
	s_cbranch_scc1 .LBB152_114
; %bb.106:                              ;   in Loop: Header=BB152_3 Depth=1
	s_lshl_b32 s14, s34, 7
	s_wait_alu 0xfffe
	s_add_co_i32 s14, s25, s14
	s_branch .LBB152_108
.LBB152_107:                            ;   in Loop: Header=BB152_108 Depth=2
	v_sub_co_u32 v0, s15, s34, 1
	s_and_b32 vcc_lo, exec_lo, s15
	s_addk_co_i32 s14, 0xff80
	ds_store_b64 v10, v[8:9]
	v_readfirstlane_b32 s34, v0
	s_wait_alu 0xfffe
	s_cbranch_vccnz .LBB152_114
.LBB152_108:                            ;   Parent Loop BB152_3 Depth=1
                                        ; =>  This Loop Header: Depth=2
                                        ;       Child Loop BB152_109 Depth 3
	s_wait_alu 0xf1ff
	v_lshl_add_u32 v10, s34, 7, v17
	v_mov_b32_e32 v2, v23
	s_cmp_le_i32 s27, s34
	s_wait_alu 0xfffe
	s_mov_b32 s15, s14
	s_mov_b32 s35, s27
	ds_load_b64 v[0:1], v10
	s_cbranch_scc1 .LBB152_110
.LBB152_109:                            ;   Parent Loop BB152_3 Depth=1
                                        ;     Parent Loop BB152_108 Depth=2
                                        ; =>    This Inner Loop Header: Depth=3
	s_wait_alu 0xfffe
	v_mov_b32_e32 v3, s15
	s_add_co_i32 s35, s35, -1
	s_add_co_i32 s15, s15, -8
	s_wait_alu 0xfffe
	s_cmp_le_u32 s35, s34
	ds_load_b64 v[8:9], v2
	ds_load_b64 v[11:12], v3
	s_wait_dscnt 0x0
	v_dual_mul_f32 v3, v12, v9 :: v_dual_add_nc_u32 v2, 0xffffff80, v2
	s_delay_alu instid0(VALU_DEP_1) | instskip(NEXT) | instid1(VALU_DEP_1)
	v_fma_f32 v3, v11, v8, -v3
	v_dual_mul_f32 v9, v11, v9 :: v_dual_sub_f32 v0, v0, v3
	s_delay_alu instid0(VALU_DEP_1) | instskip(NEXT) | instid1(VALU_DEP_1)
	v_fmac_f32_e32 v9, v12, v8
	v_sub_f32_e32 v1, v1, v9
	s_cbranch_scc0 .LBB152_109
.LBB152_110:                            ;   in Loop: Header=BB152_108 Depth=2
	s_mul_i32 s15, s34, 0x88
	s_wait_alu 0xfffe
	v_mov_b32_e32 v2, s15
	s_mov_b32 s15, -1
	ds_load_b64 v[2:3], v2
	s_wait_dscnt 0x0
	v_and_b32_e32 v8, 0x7fffffff, v2
	v_and_b32_e32 v9, 0x7fffffff, v3
	s_delay_alu instid0(VALU_DEP_1)
	v_cmp_ngt_f32_e32 vcc_lo, v8, v9
                                        ; implicit-def: $vgpr8
	s_cbranch_vccz .LBB152_112
; %bb.111:                              ;   in Loop: Header=BB152_108 Depth=2
	v_div_scale_f32 v8, null, v3, v3, v2
	v_div_scale_f32 v12, vcc_lo, v2, v3, v2
	s_mov_b32 s15, 0
	v_rcp_f32_e32 v9, v8
	v_xor_b32_e32 v8, 0x80000000, v8
	s_delay_alu instid0(TRANS32_DEP_1) | instid1(VALU_DEP_1)
	v_fma_f32 v11, v8, v9, 1.0
	s_delay_alu instid0(VALU_DEP_1) | instskip(NEXT) | instid1(VALU_DEP_1)
	v_fmac_f32_e32 v9, v11, v9
	v_mul_f32_e32 v11, v12, v9
	s_delay_alu instid0(VALU_DEP_1) | instskip(NEXT) | instid1(VALU_DEP_1)
	v_fma_f32 v13, v8, v11, v12
	v_fmac_f32_e32 v11, v13, v9
	s_delay_alu instid0(VALU_DEP_1) | instskip(SKIP_1) | instid1(VALU_DEP_1)
	v_fmac_f32_e32 v12, v8, v11
	s_wait_alu 0xfffd
	v_div_fmas_f32 v8, v12, v9, v11
	s_delay_alu instid0(VALU_DEP_1) | instskip(NEXT) | instid1(VALU_DEP_1)
	v_div_fixup_f32 v8, v8, v3, v2
	v_fma_f32 v9, v2, v8, v3
	s_delay_alu instid0(VALU_DEP_1) | instskip(SKIP_1) | instid1(VALU_DEP_2)
	v_div_scale_f32 v11, null, v9, v9, 1.0
	v_div_scale_f32 v14, vcc_lo, 1.0, v9, 1.0
	v_rcp_f32_e32 v12, v11
	v_xor_b32_e32 v11, 0x80000000, v11
	s_delay_alu instid0(TRANS32_DEP_1) | instid1(VALU_DEP_1)
	v_fma_f32 v13, v11, v12, 1.0
	s_delay_alu instid0(VALU_DEP_1) | instskip(NEXT) | instid1(VALU_DEP_1)
	v_fmac_f32_e32 v12, v13, v12
	v_mul_f32_e32 v13, v14, v12
	s_delay_alu instid0(VALU_DEP_1) | instskip(NEXT) | instid1(VALU_DEP_1)
	v_fma_f32 v15, v11, v13, v14
	v_fmac_f32_e32 v13, v15, v12
	s_delay_alu instid0(VALU_DEP_1) | instskip(SKIP_1) | instid1(VALU_DEP_1)
	v_fmac_f32_e32 v14, v11, v13
	s_wait_alu 0xfffd
	v_div_fmas_f32 v11, v14, v12, v13
	v_fma_f32 v12, v0, v8, v1
	s_delay_alu instid0(VALU_DEP_2) | instskip(SKIP_1) | instid1(VALU_DEP_2)
	v_div_fixup_f32 v9, v11, v9, 1.0
	v_fma_f32 v11, v1, v8, -v0
	v_mul_f32_e32 v8, v12, v9
	s_delay_alu instid0(VALU_DEP_2)
	v_mul_f32_e32 v9, v11, v9
.LBB152_112:                            ;   in Loop: Header=BB152_108 Depth=2
	s_wait_alu 0xfffe
	s_and_not1_b32 vcc_lo, exec_lo, s15
	s_wait_alu 0xfffe
	s_cbranch_vccnz .LBB152_107
; %bb.113:                              ;   in Loop: Header=BB152_108 Depth=2
	v_div_scale_f32 v8, null, v2, v2, v3
	v_div_scale_f32 v12, vcc_lo, v3, v2, v3
	s_delay_alu instid0(VALU_DEP_2)
	v_rcp_f32_e32 v9, v8
	v_xor_b32_e32 v8, 0x80000000, v8
	s_delay_alu instid0(TRANS32_DEP_1) | instid1(VALU_DEP_1)
	v_fma_f32 v11, v8, v9, 1.0
	s_delay_alu instid0(VALU_DEP_1) | instskip(NEXT) | instid1(VALU_DEP_1)
	v_fmac_f32_e32 v9, v11, v9
	v_mul_f32_e32 v11, v12, v9
	s_delay_alu instid0(VALU_DEP_1) | instskip(NEXT) | instid1(VALU_DEP_1)
	v_fma_f32 v13, v8, v11, v12
	v_fmac_f32_e32 v11, v13, v9
	s_delay_alu instid0(VALU_DEP_1) | instskip(SKIP_1) | instid1(VALU_DEP_1)
	v_fmac_f32_e32 v12, v8, v11
	s_wait_alu 0xfffd
	v_div_fmas_f32 v8, v12, v9, v11
	s_delay_alu instid0(VALU_DEP_1) | instskip(NEXT) | instid1(VALU_DEP_1)
	v_div_fixup_f32 v8, v8, v2, v3
	v_fmac_f32_e32 v2, v3, v8
	s_delay_alu instid0(VALU_DEP_1) | instskip(SKIP_1) | instid1(VALU_DEP_2)
	v_div_scale_f32 v3, null, v2, v2, 1.0
	v_div_scale_f32 v12, vcc_lo, 1.0, v2, 1.0
	v_rcp_f32_e32 v9, v3
	v_xor_b32_e32 v3, 0x80000000, v3
	s_delay_alu instid0(TRANS32_DEP_1) | instid1(VALU_DEP_1)
	v_fma_f32 v11, v3, v9, 1.0
	s_delay_alu instid0(VALU_DEP_1) | instskip(NEXT) | instid1(VALU_DEP_1)
	v_fmac_f32_e32 v9, v11, v9
	v_mul_f32_e32 v11, v12, v9
	s_delay_alu instid0(VALU_DEP_1) | instskip(NEXT) | instid1(VALU_DEP_1)
	v_fma_f32 v13, v3, v11, v12
	v_fmac_f32_e32 v11, v13, v9
	s_delay_alu instid0(VALU_DEP_1) | instskip(SKIP_1) | instid1(VALU_DEP_1)
	v_fmac_f32_e32 v12, v3, v11
	s_wait_alu 0xfffd
	v_div_fmas_f32 v3, v12, v9, v11
	v_fma_f32 v9, v1, v8, v0
	v_fma_f32 v0, -v0, v8, v1
	s_delay_alu instid0(VALU_DEP_3) | instskip(NEXT) | instid1(VALU_DEP_1)
	v_div_fixup_f32 v2, v3, v2, 1.0
	v_mul_f32_e32 v8, v9, v2
	s_delay_alu instid0(VALU_DEP_3)
	v_mul_f32_e32 v9, v0, v2
	s_branch .LBB152_107
.LBB152_114:                            ;   in Loop: Header=BB152_3 Depth=1
	s_mov_b32 s14, 0
.LBB152_115:                            ;   in Loop: Header=BB152_3 Depth=1
	s_wait_alu 0xfffe
	s_and_not1_b32 vcc_lo, exec_lo, s14
	s_wait_alu 0xfffe
	s_cbranch_vccnz .LBB152_147
; %bb.116:                              ;   in Loop: Header=BB152_3 Depth=1
	s_and_not1_b32 vcc_lo, exec_lo, s31
	s_mov_b32 s34, 0
	s_wait_alu 0xfffe
	s_cbranch_vccnz .LBB152_138
; %bb.117:                              ;   in Loop: Header=BB152_3 Depth=1
	s_mov_b32 s14, 0
	s_mov_b32 s15, 0
.LBB152_118:                            ;   Parent Loop BB152_3 Depth=1
                                        ; =>  This Loop Header: Depth=2
                                        ;       Child Loop BB152_119 Depth 3
	s_wait_alu 0xfffe
	s_or_b32 s36, s15, 1
	v_lshl_add_u32 v29, s15, 7, v17
	s_or_b32 s34, s15, 2
	s_or_b32 s35, s15, 3
	s_wait_alu 0xfffe
	v_lshl_add_u32 v28, s36, 7, v17
	v_lshl_add_u32 v27, s34, 7, v17
	;; [unrolled: 1-line block ×3, first 2 shown]
	ds_load_b64 v[0:1], v29
	ds_load_b64 v[14:15], v28
	;; [unrolled: 1-line block ×4, first 2 shown]
	v_mov_b32_e32 v2, v17
	s_cmp_eq_u32 s15, 0
	s_mov_b32 s37, s14
	s_mov_b32 s38, s15
	s_cbranch_scc1 .LBB152_120
.LBB152_119:                            ;   Parent Loop BB152_3 Depth=1
                                        ;     Parent Loop BB152_118 Depth=2
                                        ; =>    This Inner Loop Header: Depth=3
	s_wait_alu 0xfffe
	v_mov_b32_e32 v3, s37
	s_add_co_i32 s38, s38, -1
	s_add_co_i32 s37, s37, 8
	s_wait_alu 0xfffe
	s_cmp_eq_u32 s38, 0
	ds_load_b64 v[12:13], v2
	ds_load_2addr_b64 v[30:33], v3 offset1:16
	ds_load_2addr_b64 v[34:37], v3 offset0:32 offset1:48
	s_wait_dscnt 0x1
	v_dual_mul_f32 v3, v31, v13 :: v_dual_add_nc_u32 v2, 0x80, v2
	v_mul_f32_e32 v38, v30, v13
	s_wait_dscnt 0x0
	v_mul_f32_e32 v40, v35, v13
	v_mul_f32_e32 v39, v33, v13
	;; [unrolled: 1-line block ×5, first 2 shown]
	v_fma_f32 v3, v30, v12, -v3
	v_mul_f32_e32 v35, v35, v12
	v_fmac_f32_e32 v38, v31, v12
	v_fma_f32 v31, v34, v12, -v40
	v_fma_f32 v30, v32, v12, -v39
	v_fmac_f32_e32 v33, v32, v13
	v_fmac_f32_e32 v37, v36, v13
	v_sub_f32_e32 v0, v0, v3
	v_sub_f32_e32 v10, v10, v31
	v_fma_f32 v12, v36, v12, -v41
	v_fmac_f32_e32 v35, v34, v13
	v_sub_f32_e32 v1, v1, v38
	v_dual_sub_f32 v14, v14, v30 :: v_dual_sub_f32 v15, v15, v33
	s_delay_alu instid0(VALU_DEP_3)
	v_dual_sub_f32 v8, v8, v12 :: v_dual_sub_f32 v11, v11, v35
	v_sub_f32_e32 v9, v9, v37
	s_cbranch_scc0 .LBB152_119
.LBB152_120:                            ;   in Loop: Header=BB152_118 Depth=2
	s_mul_i32 s38, s15, 0x88
	s_lshl_b32 s36, s36, 4
	s_wait_alu 0xfffe
	v_mov_b32_e32 v2, s38
	s_lshl_b32 s37, s34, 4
	s_lshl_b32 s35, s35, 4
	s_mov_b32 s38, -1
	ds_load_b64 v[2:3], v2
	s_wait_dscnt 0x0
	v_and_b32_e32 v12, 0x7fffffff, v2
	v_and_b32_e32 v13, 0x7fffffff, v3
	s_delay_alu instid0(VALU_DEP_1)
	v_cmp_ngt_f32_e32 vcc_lo, v12, v13
                                        ; implicit-def: $vgpr13
	s_cbranch_vccz .LBB152_122
; %bb.121:                              ;   in Loop: Header=BB152_118 Depth=2
	v_div_scale_f32 v12, null, v3, v3, v2
	v_div_scale_f32 v31, vcc_lo, v2, v3, v2
	s_mov_b32 s38, 0
	v_rcp_f32_e32 v13, v12
	v_xor_b32_e32 v12, 0x80000000, v12
	s_delay_alu instid0(TRANS32_DEP_1) | instid1(VALU_DEP_1)
	v_fma_f32 v30, v12, v13, 1.0
	s_delay_alu instid0(VALU_DEP_1) | instskip(NEXT) | instid1(VALU_DEP_1)
	v_fmac_f32_e32 v13, v30, v13
	v_mul_f32_e32 v30, v31, v13
	s_delay_alu instid0(VALU_DEP_1) | instskip(NEXT) | instid1(VALU_DEP_1)
	v_fma_f32 v32, v12, v30, v31
	v_fmac_f32_e32 v30, v32, v13
	s_delay_alu instid0(VALU_DEP_1) | instskip(SKIP_1) | instid1(VALU_DEP_1)
	v_fmac_f32_e32 v31, v12, v30
	s_wait_alu 0xfffd
	v_div_fmas_f32 v12, v31, v13, v30
	s_delay_alu instid0(VALU_DEP_1) | instskip(NEXT) | instid1(VALU_DEP_1)
	v_div_fixup_f32 v12, v12, v3, v2
	v_fma_f32 v13, v2, v12, v3
	s_delay_alu instid0(VALU_DEP_1) | instskip(SKIP_1) | instid1(VALU_DEP_2)
	v_div_scale_f32 v30, null, v13, v13, 1.0
	v_div_scale_f32 v33, vcc_lo, 1.0, v13, 1.0
	v_rcp_f32_e32 v31, v30
	v_xor_b32_e32 v30, 0x80000000, v30
	s_delay_alu instid0(TRANS32_DEP_1) | instid1(VALU_DEP_1)
	v_fma_f32 v32, v30, v31, 1.0
	s_delay_alu instid0(VALU_DEP_1) | instskip(NEXT) | instid1(VALU_DEP_1)
	v_fmac_f32_e32 v31, v32, v31
	v_mul_f32_e32 v32, v33, v31
	s_delay_alu instid0(VALU_DEP_1) | instskip(NEXT) | instid1(VALU_DEP_1)
	v_fma_f32 v34, v30, v32, v33
	v_fmac_f32_e32 v32, v34, v31
	s_delay_alu instid0(VALU_DEP_1) | instskip(SKIP_1) | instid1(VALU_DEP_1)
	v_fmac_f32_e32 v33, v30, v32
	s_wait_alu 0xfffd
	v_div_fmas_f32 v30, v33, v31, v32
	v_fma_f32 v31, v0, v12, v1
	s_delay_alu instid0(VALU_DEP_2) | instskip(SKIP_1) | instid1(VALU_DEP_2)
	v_div_fixup_f32 v13, v30, v13, 1.0
	v_fma_f32 v30, v1, v12, -v0
	v_mul_f32_e32 v12, v31, v13
	s_delay_alu instid0(VALU_DEP_2)
	v_mul_f32_e32 v13, v30, v13
.LBB152_122:                            ;   in Loop: Header=BB152_118 Depth=2
	s_wait_alu 0xfffe
	s_and_not1_b32 vcc_lo, exec_lo, s38
	s_wait_alu 0xfffe
	s_cbranch_vccnz .LBB152_124
; %bb.123:                              ;   in Loop: Header=BB152_118 Depth=2
	v_div_scale_f32 v12, null, v2, v2, v3
	v_div_scale_f32 v31, vcc_lo, v3, v2, v3
	s_delay_alu instid0(VALU_DEP_2)
	v_rcp_f32_e32 v13, v12
	v_xor_b32_e32 v12, 0x80000000, v12
	s_delay_alu instid0(TRANS32_DEP_1) | instid1(VALU_DEP_1)
	v_fma_f32 v30, v12, v13, 1.0
	s_delay_alu instid0(VALU_DEP_1) | instskip(NEXT) | instid1(VALU_DEP_1)
	v_fmac_f32_e32 v13, v30, v13
	v_mul_f32_e32 v30, v31, v13
	s_delay_alu instid0(VALU_DEP_1) | instskip(NEXT) | instid1(VALU_DEP_1)
	v_fma_f32 v32, v12, v30, v31
	v_fmac_f32_e32 v30, v32, v13
	s_delay_alu instid0(VALU_DEP_1) | instskip(SKIP_1) | instid1(VALU_DEP_1)
	v_fmac_f32_e32 v31, v12, v30
	s_wait_alu 0xfffd
	v_div_fmas_f32 v12, v31, v13, v30
	s_delay_alu instid0(VALU_DEP_1) | instskip(NEXT) | instid1(VALU_DEP_1)
	v_div_fixup_f32 v12, v12, v2, v3
	v_fmac_f32_e32 v2, v3, v12
	s_delay_alu instid0(VALU_DEP_1) | instskip(SKIP_1) | instid1(VALU_DEP_2)
	v_div_scale_f32 v3, null, v2, v2, 1.0
	v_div_scale_f32 v31, vcc_lo, 1.0, v2, 1.0
	v_rcp_f32_e32 v13, v3
	v_xor_b32_e32 v3, 0x80000000, v3
	s_delay_alu instid0(TRANS32_DEP_1) | instid1(VALU_DEP_1)
	v_fma_f32 v30, v3, v13, 1.0
	s_delay_alu instid0(VALU_DEP_1) | instskip(NEXT) | instid1(VALU_DEP_1)
	v_fmac_f32_e32 v13, v30, v13
	v_mul_f32_e32 v30, v31, v13
	s_delay_alu instid0(VALU_DEP_1) | instskip(NEXT) | instid1(VALU_DEP_1)
	v_fma_f32 v32, v3, v30, v31
	v_fmac_f32_e32 v30, v32, v13
	s_delay_alu instid0(VALU_DEP_1) | instskip(SKIP_1) | instid1(VALU_DEP_1)
	v_fmac_f32_e32 v31, v3, v30
	s_wait_alu 0xfffd
	v_div_fmas_f32 v3, v31, v13, v30
	v_fma_f32 v13, v1, v12, v0
	v_fma_f32 v0, -v0, v12, v1
	s_delay_alu instid0(VALU_DEP_3) | instskip(NEXT) | instid1(VALU_DEP_1)
	v_div_fixup_f32 v2, v3, v2, 1.0
	v_mul_f32_e32 v12, v13, v2
	s_delay_alu instid0(VALU_DEP_3)
	v_mul_f32_e32 v13, v0, v2
.LBB152_124:                            ;   in Loop: Header=BB152_118 Depth=2
	s_lshl_b32 s38, s36, 3
	s_lshl_b32 s36, s15, 3
	ds_store_b64 v29, v[12:13]
	s_wait_alu 0xfffe
	s_add_co_i32 s38, s38, s36
	s_wait_alu 0xfffe
	v_mov_b32_e32 v0, s38
	s_mov_b32 s38, -1
	ds_load_b128 v[0:3], v0
	s_wait_dscnt 0x0
	v_dual_mul_f32 v30, v13, v1 :: v_dual_and_b32 v31, 0x7fffffff, v2
	v_dual_mul_f32 v1, v12, v1 :: v_dual_and_b32 v32, 0x7fffffff, v3
	s_delay_alu instid0(VALU_DEP_2) | instskip(NEXT) | instid1(VALU_DEP_2)
	v_fma_f32 v30, v12, v0, -v30
	v_fmac_f32_e32 v1, v13, v0
	s_delay_alu instid0(VALU_DEP_3) | instskip(NEXT) | instid1(VALU_DEP_2)
	v_cmp_ngt_f32_e32 vcc_lo, v31, v32
	v_dual_sub_f32 v0, v14, v30 :: v_dual_sub_f32 v1, v15, v1
                                        ; implicit-def: $vgpr15
	s_cbranch_vccz .LBB152_126
; %bb.125:                              ;   in Loop: Header=BB152_118 Depth=2
	v_div_scale_f32 v14, null, v3, v3, v2
	v_div_scale_f32 v30, vcc_lo, v2, v3, v2
	s_mov_b32 s38, 0
	v_rcp_f32_e32 v15, v14
	v_xor_b32_e32 v14, 0x80000000, v14
	s_delay_alu instid0(TRANS32_DEP_1) | instid1(VALU_DEP_1)
	v_fma_f32 v29, v14, v15, 1.0
	s_delay_alu instid0(VALU_DEP_1) | instskip(NEXT) | instid1(VALU_DEP_1)
	v_fmac_f32_e32 v15, v29, v15
	v_mul_f32_e32 v29, v30, v15
	s_delay_alu instid0(VALU_DEP_1) | instskip(NEXT) | instid1(VALU_DEP_1)
	v_fma_f32 v31, v14, v29, v30
	v_fmac_f32_e32 v29, v31, v15
	s_delay_alu instid0(VALU_DEP_1) | instskip(SKIP_1) | instid1(VALU_DEP_1)
	v_fmac_f32_e32 v30, v14, v29
	s_wait_alu 0xfffd
	v_div_fmas_f32 v14, v30, v15, v29
	s_delay_alu instid0(VALU_DEP_1) | instskip(NEXT) | instid1(VALU_DEP_1)
	v_div_fixup_f32 v14, v14, v3, v2
	v_fma_f32 v15, v2, v14, v3
	s_delay_alu instid0(VALU_DEP_1) | instskip(SKIP_1) | instid1(VALU_DEP_2)
	v_div_scale_f32 v29, null, v15, v15, 1.0
	v_div_scale_f32 v32, vcc_lo, 1.0, v15, 1.0
	v_rcp_f32_e32 v30, v29
	v_xor_b32_e32 v29, 0x80000000, v29
	s_delay_alu instid0(TRANS32_DEP_1) | instid1(VALU_DEP_1)
	v_fma_f32 v31, v29, v30, 1.0
	s_delay_alu instid0(VALU_DEP_1) | instskip(NEXT) | instid1(VALU_DEP_1)
	v_fmac_f32_e32 v30, v31, v30
	v_mul_f32_e32 v31, v32, v30
	s_delay_alu instid0(VALU_DEP_1) | instskip(NEXT) | instid1(VALU_DEP_1)
	v_fma_f32 v33, v29, v31, v32
	v_fmac_f32_e32 v31, v33, v30
	s_delay_alu instid0(VALU_DEP_1) | instskip(SKIP_1) | instid1(VALU_DEP_1)
	v_fmac_f32_e32 v32, v29, v31
	s_wait_alu 0xfffd
	v_div_fmas_f32 v29, v32, v30, v31
	v_fma_f32 v30, v14, v0, v1
	s_delay_alu instid0(VALU_DEP_2) | instskip(SKIP_1) | instid1(VALU_DEP_2)
	v_div_fixup_f32 v15, v29, v15, 1.0
	v_fma_f32 v29, v14, v1, -v0
	v_mul_f32_e32 v14, v30, v15
	s_delay_alu instid0(VALU_DEP_2)
	v_mul_f32_e32 v15, v29, v15
.LBB152_126:                            ;   in Loop: Header=BB152_118 Depth=2
	s_wait_alu 0xfffe
	s_and_not1_b32 vcc_lo, exec_lo, s38
	s_wait_alu 0xfffe
	s_cbranch_vccnz .LBB152_128
; %bb.127:                              ;   in Loop: Header=BB152_118 Depth=2
	v_div_scale_f32 v14, null, v2, v2, v3
	v_div_scale_f32 v30, vcc_lo, v3, v2, v3
	s_delay_alu instid0(VALU_DEP_2)
	v_rcp_f32_e32 v15, v14
	v_xor_b32_e32 v14, 0x80000000, v14
	s_delay_alu instid0(TRANS32_DEP_1) | instid1(VALU_DEP_1)
	v_fma_f32 v29, v14, v15, 1.0
	s_delay_alu instid0(VALU_DEP_1) | instskip(NEXT) | instid1(VALU_DEP_1)
	v_fmac_f32_e32 v15, v29, v15
	v_mul_f32_e32 v29, v30, v15
	s_delay_alu instid0(VALU_DEP_1) | instskip(NEXT) | instid1(VALU_DEP_1)
	v_fma_f32 v31, v14, v29, v30
	v_fmac_f32_e32 v29, v31, v15
	s_delay_alu instid0(VALU_DEP_1) | instskip(SKIP_1) | instid1(VALU_DEP_1)
	v_fmac_f32_e32 v30, v14, v29
	s_wait_alu 0xfffd
	v_div_fmas_f32 v14, v30, v15, v29
	s_delay_alu instid0(VALU_DEP_1) | instskip(NEXT) | instid1(VALU_DEP_1)
	v_div_fixup_f32 v14, v14, v2, v3
	v_fmac_f32_e32 v2, v3, v14
	s_delay_alu instid0(VALU_DEP_1) | instskip(SKIP_1) | instid1(VALU_DEP_2)
	v_div_scale_f32 v3, null, v2, v2, 1.0
	v_div_scale_f32 v30, vcc_lo, 1.0, v2, 1.0
	v_rcp_f32_e32 v15, v3
	v_xor_b32_e32 v3, 0x80000000, v3
	s_delay_alu instid0(TRANS32_DEP_1) | instid1(VALU_DEP_1)
	v_fma_f32 v29, v3, v15, 1.0
	s_delay_alu instid0(VALU_DEP_1) | instskip(NEXT) | instid1(VALU_DEP_1)
	v_fmac_f32_e32 v15, v29, v15
	v_mul_f32_e32 v29, v30, v15
	s_delay_alu instid0(VALU_DEP_1) | instskip(NEXT) | instid1(VALU_DEP_1)
	v_fma_f32 v31, v3, v29, v30
	v_fmac_f32_e32 v29, v31, v15
	s_delay_alu instid0(VALU_DEP_1) | instskip(SKIP_1) | instid1(VALU_DEP_1)
	v_fmac_f32_e32 v30, v3, v29
	s_wait_alu 0xfffd
	v_div_fmas_f32 v3, v30, v15, v29
	v_fma_f32 v15, v14, v1, v0
	v_fma_f32 v0, -v14, v0, v1
	s_delay_alu instid0(VALU_DEP_3) | instskip(NEXT) | instid1(VALU_DEP_1)
	v_div_fixup_f32 v2, v3, v2, 1.0
	v_mul_f32_e32 v14, v15, v2
	s_delay_alu instid0(VALU_DEP_3)
	v_mul_f32_e32 v15, v0, v2
.LBB152_128:                            ;   in Loop: Header=BB152_118 Depth=2
	s_lshl_b32 s37, s37, 3
	s_lshl_b32 s34, s34, 3
	s_wait_alu 0xfffe
	s_add_co_i32 s38, s37, s36
	s_add_co_i32 s34, s37, s34
	s_wait_alu 0xfffe
	v_dual_mov_b32 v0, s38 :: v_dual_mov_b32 v1, s34
	s_mov_b32 s34, -1
	ds_load_b128 v[29:32], v0
	ds_load_b64 v[0:1], v1
	ds_store_b64 v28, v[14:15]
	s_wait_dscnt 0x1
	v_dual_mul_f32 v2, v13, v30 :: v_dual_and_b32 v33, 0x7fffffff, v0
	v_dual_mul_f32 v3, v12, v30 :: v_dual_mul_f32 v30, v15, v32
	v_mul_f32_e32 v32, v14, v32
	s_delay_alu instid0(VALU_DEP_3) | instskip(NEXT) | instid1(VALU_DEP_3)
	v_fma_f32 v2, v12, v29, -v2
	v_fmac_f32_e32 v3, v13, v29
	s_delay_alu instid0(VALU_DEP_3) | instskip(SKIP_1) | instid1(VALU_DEP_3)
	v_dual_fmac_f32 v32, v15, v31 :: v_dual_and_b32 v29, 0x7fffffff, v1
	v_fma_f32 v30, v14, v31, -v30
	v_dual_sub_f32 v2, v10, v2 :: v_dual_sub_f32 v3, v11, v3
	s_delay_alu instid0(VALU_DEP_3) | instskip(NEXT) | instid1(VALU_DEP_2)
	v_cmp_ngt_f32_e32 vcc_lo, v33, v29
                                        ; implicit-def: $vgpr11
	v_dual_sub_f32 v2, v2, v30 :: v_dual_sub_f32 v3, v3, v32
	s_cbranch_vccz .LBB152_130
; %bb.129:                              ;   in Loop: Header=BB152_118 Depth=2
	v_div_scale_f32 v10, null, v1, v1, v0
	v_div_scale_f32 v29, vcc_lo, v0, v1, v0
	s_mov_b32 s34, 0
	v_rcp_f32_e32 v11, v10
	v_xor_b32_e32 v10, 0x80000000, v10
	s_delay_alu instid0(TRANS32_DEP_1) | instid1(VALU_DEP_1)
	v_fma_f32 v28, v10, v11, 1.0
	s_delay_alu instid0(VALU_DEP_1) | instskip(NEXT) | instid1(VALU_DEP_1)
	v_fmac_f32_e32 v11, v28, v11
	v_mul_f32_e32 v28, v29, v11
	s_delay_alu instid0(VALU_DEP_1) | instskip(NEXT) | instid1(VALU_DEP_1)
	v_fma_f32 v30, v10, v28, v29
	v_fmac_f32_e32 v28, v30, v11
	s_delay_alu instid0(VALU_DEP_1) | instskip(SKIP_1) | instid1(VALU_DEP_1)
	v_fmac_f32_e32 v29, v10, v28
	s_wait_alu 0xfffd
	v_div_fmas_f32 v10, v29, v11, v28
	s_delay_alu instid0(VALU_DEP_1) | instskip(NEXT) | instid1(VALU_DEP_1)
	v_div_fixup_f32 v10, v10, v1, v0
	v_fma_f32 v11, v0, v10, v1
	s_delay_alu instid0(VALU_DEP_1) | instskip(SKIP_1) | instid1(VALU_DEP_2)
	v_div_scale_f32 v28, null, v11, v11, 1.0
	v_div_scale_f32 v31, vcc_lo, 1.0, v11, 1.0
	v_rcp_f32_e32 v29, v28
	v_xor_b32_e32 v28, 0x80000000, v28
	s_delay_alu instid0(TRANS32_DEP_1) | instid1(VALU_DEP_1)
	v_fma_f32 v30, v28, v29, 1.0
	s_delay_alu instid0(VALU_DEP_1) | instskip(NEXT) | instid1(VALU_DEP_1)
	v_fmac_f32_e32 v29, v30, v29
	v_mul_f32_e32 v30, v31, v29
	s_delay_alu instid0(VALU_DEP_1) | instskip(NEXT) | instid1(VALU_DEP_1)
	v_fma_f32 v32, v28, v30, v31
	v_fmac_f32_e32 v30, v32, v29
	s_delay_alu instid0(VALU_DEP_1) | instskip(SKIP_1) | instid1(VALU_DEP_1)
	v_fmac_f32_e32 v31, v28, v30
	s_wait_alu 0xfffd
	v_div_fmas_f32 v28, v31, v29, v30
	v_fma_f32 v29, v10, v2, v3
	s_delay_alu instid0(VALU_DEP_2) | instskip(SKIP_1) | instid1(VALU_DEP_2)
	v_div_fixup_f32 v11, v28, v11, 1.0
	v_fma_f32 v28, v10, v3, -v2
	v_mul_f32_e32 v10, v29, v11
	s_delay_alu instid0(VALU_DEP_2)
	v_mul_f32_e32 v11, v28, v11
.LBB152_130:                            ;   in Loop: Header=BB152_118 Depth=2
	s_wait_alu 0xfffe
	s_and_not1_b32 vcc_lo, exec_lo, s34
	s_wait_alu 0xfffe
	s_cbranch_vccnz .LBB152_132
; %bb.131:                              ;   in Loop: Header=BB152_118 Depth=2
	v_div_scale_f32 v10, null, v0, v0, v1
	v_div_scale_f32 v29, vcc_lo, v1, v0, v1
	s_delay_alu instid0(VALU_DEP_2)
	v_rcp_f32_e32 v11, v10
	v_xor_b32_e32 v10, 0x80000000, v10
	s_delay_alu instid0(TRANS32_DEP_1) | instid1(VALU_DEP_1)
	v_fma_f32 v28, v10, v11, 1.0
	s_delay_alu instid0(VALU_DEP_1) | instskip(NEXT) | instid1(VALU_DEP_1)
	v_fmac_f32_e32 v11, v28, v11
	v_mul_f32_e32 v28, v29, v11
	s_delay_alu instid0(VALU_DEP_1) | instskip(NEXT) | instid1(VALU_DEP_1)
	v_fma_f32 v30, v10, v28, v29
	v_fmac_f32_e32 v28, v30, v11
	s_delay_alu instid0(VALU_DEP_1) | instskip(SKIP_1) | instid1(VALU_DEP_1)
	v_fmac_f32_e32 v29, v10, v28
	s_wait_alu 0xfffd
	v_div_fmas_f32 v10, v29, v11, v28
	s_delay_alu instid0(VALU_DEP_1) | instskip(NEXT) | instid1(VALU_DEP_1)
	v_div_fixup_f32 v10, v10, v0, v1
	v_fmac_f32_e32 v0, v1, v10
	s_delay_alu instid0(VALU_DEP_1) | instskip(SKIP_1) | instid1(VALU_DEP_2)
	v_div_scale_f32 v1, null, v0, v0, 1.0
	v_div_scale_f32 v29, vcc_lo, 1.0, v0, 1.0
	v_rcp_f32_e32 v11, v1
	v_xor_b32_e32 v1, 0x80000000, v1
	s_delay_alu instid0(TRANS32_DEP_1) | instid1(VALU_DEP_1)
	v_fma_f32 v28, v1, v11, 1.0
	s_delay_alu instid0(VALU_DEP_1) | instskip(NEXT) | instid1(VALU_DEP_1)
	v_fmac_f32_e32 v11, v28, v11
	v_mul_f32_e32 v28, v29, v11
	s_delay_alu instid0(VALU_DEP_1) | instskip(NEXT) | instid1(VALU_DEP_1)
	v_fma_f32 v30, v1, v28, v29
	v_fmac_f32_e32 v28, v30, v11
	s_delay_alu instid0(VALU_DEP_1) | instskip(SKIP_1) | instid1(VALU_DEP_1)
	v_fmac_f32_e32 v29, v1, v28
	s_wait_alu 0xfffd
	v_div_fmas_f32 v1, v29, v11, v28
	v_fma_f32 v11, v10, v3, v2
	s_delay_alu instid0(VALU_DEP_2) | instskip(SKIP_1) | instid1(VALU_DEP_2)
	v_div_fixup_f32 v0, v1, v0, 1.0
	v_fma_f32 v1, -v10, v2, v3
	v_mul_f32_e32 v10, v11, v0
	s_delay_alu instid0(VALU_DEP_2)
	v_mul_f32_e32 v11, v1, v0
.LBB152_132:                            ;   in Loop: Header=BB152_118 Depth=2
	s_lshl_b32 s34, s35, 3
	s_wait_alu 0xfffe
	s_add_co_i32 s34, s34, s36
	s_wait_alu 0xfffe
	v_mov_b32_e32 v0, s34
	s_mov_b32 s34, -1
	ds_load_b128 v[28:31], v0
	ds_load_b128 v[0:3], v0 offset:16
	ds_store_b64 v27, v[10:11]
	s_wait_dscnt 0x2
	v_dual_mul_f32 v32, v13, v29 :: v_dual_mul_f32 v33, v15, v31
	v_mul_f32_e32 v29, v12, v29
	s_wait_dscnt 0x1
	v_dual_mul_f32 v31, v14, v31 :: v_dual_mul_f32 v34, v11, v1
	s_delay_alu instid0(VALU_DEP_3) | instskip(SKIP_3) | instid1(VALU_DEP_4)
	v_fma_f32 v12, v12, v28, -v32
	v_mul_f32_e32 v1, v10, v1
	v_fmac_f32_e32 v29, v13, v28
	v_fma_f32 v14, v14, v30, -v33
	v_dual_fmac_f32 v31, v15, v30 :: v_dual_sub_f32 v8, v8, v12
	s_delay_alu instid0(VALU_DEP_3) | instskip(SKIP_1) | instid1(VALU_DEP_3)
	v_dual_sub_f32 v9, v9, v29 :: v_dual_and_b32 v12, 0x7fffffff, v3
	v_fma_f32 v15, v10, v0, -v34
	v_dual_fmac_f32 v1, v11, v0 :: v_dual_sub_f32 v0, v8, v14
	v_and_b32_e32 v13, 0x7fffffff, v2
	s_delay_alu instid0(VALU_DEP_4) | instskip(NEXT) | instid1(VALU_DEP_3)
	v_sub_f32_e32 v9, v9, v31
	v_sub_f32_e32 v8, v0, v15
	s_delay_alu instid0(VALU_DEP_3) | instskip(NEXT) | instid1(VALU_DEP_3)
	v_cmp_ngt_f32_e32 vcc_lo, v13, v12
	v_sub_f32_e32 v9, v9, v1
                                        ; implicit-def: $vgpr1
	s_cbranch_vccz .LBB152_134
; %bb.133:                              ;   in Loop: Header=BB152_118 Depth=2
	v_div_scale_f32 v0, null, v3, v3, v2
	v_div_scale_f32 v11, vcc_lo, v2, v3, v2
	s_mov_b32 s34, 0
	v_rcp_f32_e32 v1, v0
	v_xor_b32_e32 v0, 0x80000000, v0
	s_delay_alu instid0(TRANS32_DEP_1) | instid1(VALU_DEP_1)
	v_fma_f32 v10, v0, v1, 1.0
	s_delay_alu instid0(VALU_DEP_1) | instskip(NEXT) | instid1(VALU_DEP_1)
	v_fmac_f32_e32 v1, v10, v1
	v_mul_f32_e32 v10, v11, v1
	s_delay_alu instid0(VALU_DEP_1) | instskip(NEXT) | instid1(VALU_DEP_1)
	v_fma_f32 v12, v0, v10, v11
	v_fmac_f32_e32 v10, v12, v1
	s_delay_alu instid0(VALU_DEP_1) | instskip(SKIP_1) | instid1(VALU_DEP_1)
	v_fmac_f32_e32 v11, v0, v10
	s_wait_alu 0xfffd
	v_div_fmas_f32 v0, v11, v1, v10
	s_delay_alu instid0(VALU_DEP_1) | instskip(NEXT) | instid1(VALU_DEP_1)
	v_div_fixup_f32 v0, v0, v3, v2
	v_fma_f32 v1, v2, v0, v3
	s_delay_alu instid0(VALU_DEP_1) | instskip(SKIP_1) | instid1(VALU_DEP_2)
	v_div_scale_f32 v10, null, v1, v1, 1.0
	v_div_scale_f32 v13, vcc_lo, 1.0, v1, 1.0
	v_rcp_f32_e32 v11, v10
	v_xor_b32_e32 v10, 0x80000000, v10
	s_delay_alu instid0(TRANS32_DEP_1) | instid1(VALU_DEP_1)
	v_fma_f32 v12, v10, v11, 1.0
	s_delay_alu instid0(VALU_DEP_1) | instskip(NEXT) | instid1(VALU_DEP_1)
	v_fmac_f32_e32 v11, v12, v11
	v_mul_f32_e32 v12, v13, v11
	s_delay_alu instid0(VALU_DEP_1) | instskip(NEXT) | instid1(VALU_DEP_1)
	v_fma_f32 v14, v10, v12, v13
	v_fmac_f32_e32 v12, v14, v11
	s_delay_alu instid0(VALU_DEP_1) | instskip(SKIP_1) | instid1(VALU_DEP_1)
	v_fmac_f32_e32 v13, v10, v12
	s_wait_alu 0xfffd
	v_div_fmas_f32 v10, v13, v11, v12
	v_fma_f32 v11, v0, v8, v9
	s_delay_alu instid0(VALU_DEP_2) | instskip(SKIP_1) | instid1(VALU_DEP_2)
	v_div_fixup_f32 v1, v10, v1, 1.0
	v_fma_f32 v10, v0, v9, -v8
	v_mul_f32_e32 v0, v11, v1
	s_delay_alu instid0(VALU_DEP_2)
	v_mul_f32_e32 v1, v10, v1
.LBB152_134:                            ;   in Loop: Header=BB152_118 Depth=2
	s_wait_alu 0xfffe
	s_and_not1_b32 vcc_lo, exec_lo, s34
	s_wait_alu 0xfffe
	s_cbranch_vccnz .LBB152_136
; %bb.135:                              ;   in Loop: Header=BB152_118 Depth=2
	v_div_scale_f32 v0, null, v2, v2, v3
	v_div_scale_f32 v11, vcc_lo, v3, v2, v3
	s_delay_alu instid0(VALU_DEP_2)
	v_rcp_f32_e32 v1, v0
	v_xor_b32_e32 v0, 0x80000000, v0
	s_delay_alu instid0(TRANS32_DEP_1) | instid1(VALU_DEP_1)
	v_fma_f32 v10, v0, v1, 1.0
	s_delay_alu instid0(VALU_DEP_1) | instskip(NEXT) | instid1(VALU_DEP_1)
	v_fmac_f32_e32 v1, v10, v1
	v_mul_f32_e32 v10, v11, v1
	s_delay_alu instid0(VALU_DEP_1) | instskip(NEXT) | instid1(VALU_DEP_1)
	v_fma_f32 v12, v0, v10, v11
	v_fmac_f32_e32 v10, v12, v1
	s_delay_alu instid0(VALU_DEP_1) | instskip(SKIP_1) | instid1(VALU_DEP_1)
	v_fmac_f32_e32 v11, v0, v10
	s_wait_alu 0xfffd
	v_div_fmas_f32 v0, v11, v1, v10
	s_delay_alu instid0(VALU_DEP_1) | instskip(NEXT) | instid1(VALU_DEP_1)
	v_div_fixup_f32 v0, v0, v2, v3
	v_fmac_f32_e32 v2, v3, v0
	s_delay_alu instid0(VALU_DEP_1) | instskip(SKIP_1) | instid1(VALU_DEP_2)
	v_div_scale_f32 v1, null, v2, v2, 1.0
	v_div_scale_f32 v11, vcc_lo, 1.0, v2, 1.0
	v_rcp_f32_e32 v3, v1
	v_xor_b32_e32 v1, 0x80000000, v1
	s_delay_alu instid0(TRANS32_DEP_1) | instid1(VALU_DEP_1)
	v_fma_f32 v10, v1, v3, 1.0
	s_delay_alu instid0(VALU_DEP_1) | instskip(NEXT) | instid1(VALU_DEP_1)
	v_fmac_f32_e32 v3, v10, v3
	v_mul_f32_e32 v10, v11, v3
	s_delay_alu instid0(VALU_DEP_1) | instskip(NEXT) | instid1(VALU_DEP_1)
	v_fma_f32 v12, v1, v10, v11
	v_fmac_f32_e32 v10, v12, v3
	s_delay_alu instid0(VALU_DEP_1) | instskip(SKIP_1) | instid1(VALU_DEP_1)
	v_fmac_f32_e32 v11, v1, v10
	s_wait_alu 0xfffd
	v_div_fmas_f32 v1, v11, v3, v10
	v_fma_f32 v3, v0, v9, v8
	s_delay_alu instid0(VALU_DEP_2) | instskip(SKIP_1) | instid1(VALU_DEP_2)
	v_div_fixup_f32 v1, v1, v2, 1.0
	v_fma_f32 v2, -v0, v8, v9
	v_mul_f32_e32 v0, v3, v1
	s_delay_alu instid0(VALU_DEP_2)
	v_mul_f32_e32 v1, v2, v1
.LBB152_136:                            ;   in Loop: Header=BB152_118 Depth=2
	s_add_co_i32 s34, s15, 4
	s_add_co_i32 s15, s15, 7
	s_addk_co_i32 s14, 0x200
	s_wait_alu 0xfffe
	s_cmp_ge_i32 s15, s26
	ds_store_b64 v26, v[0:1]
	s_cbranch_scc1 .LBB152_138
; %bb.137:                              ;   in Loop: Header=BB152_118 Depth=2
	s_mov_b32 s15, s34
	s_branch .LBB152_118
.LBB152_138:                            ;   in Loop: Header=BB152_3 Depth=1
	s_cmp_ge_i32 s34, s26
	s_cbranch_scc1 .LBB152_147
; %bb.139:                              ;   in Loop: Header=BB152_3 Depth=1
	s_lshl_b32 s14, s34, 7
	s_branch .LBB152_141
.LBB152_140:                            ;   in Loop: Header=BB152_141 Depth=2
	s_add_co_i32 s34, s34, 1
	s_addk_co_i32 s14, 0x80
	s_wait_alu 0xfffe
	s_cmp_ge_i32 s34, s26
	ds_store_b64 v10, v[8:9]
	s_cbranch_scc1 .LBB152_147
.LBB152_141:                            ;   Parent Loop BB152_3 Depth=1
                                        ; =>  This Loop Header: Depth=2
                                        ;       Child Loop BB152_142 Depth 3
	v_lshl_add_u32 v10, s34, 7, v17
	v_mov_b32_e32 v2, v17
	s_cmp_eq_u32 s34, 0
	s_wait_alu 0xfffe
	s_mov_b32 s15, s14
	s_mov_b32 s35, s34
	ds_load_b64 v[0:1], v10
	s_cbranch_scc1 .LBB152_143
.LBB152_142:                            ;   Parent Loop BB152_3 Depth=1
                                        ;     Parent Loop BB152_141 Depth=2
                                        ; =>    This Inner Loop Header: Depth=3
	s_wait_alu 0xfffe
	v_mov_b32_e32 v3, s15
	s_add_co_i32 s35, s35, -1
	s_add_co_i32 s15, s15, 8
	s_wait_alu 0xfffe
	s_cmp_eq_u32 s35, 0
	ds_load_b64 v[8:9], v2
	ds_load_b64 v[11:12], v3
	s_wait_dscnt 0x0
	v_dual_mul_f32 v3, v12, v9 :: v_dual_add_nc_u32 v2, 0x80, v2
	s_delay_alu instid0(VALU_DEP_1) | instskip(NEXT) | instid1(VALU_DEP_1)
	v_fma_f32 v3, v11, v8, -v3
	v_dual_mul_f32 v9, v11, v9 :: v_dual_sub_f32 v0, v0, v3
	s_delay_alu instid0(VALU_DEP_1) | instskip(NEXT) | instid1(VALU_DEP_1)
	v_fmac_f32_e32 v9, v12, v8
	v_sub_f32_e32 v1, v1, v9
	s_cbranch_scc0 .LBB152_142
.LBB152_143:                            ;   in Loop: Header=BB152_141 Depth=2
	s_mul_i32 s15, s34, 0x88
	s_wait_alu 0xfffe
	v_mov_b32_e32 v2, s15
	s_mov_b32 s15, -1
	ds_load_b64 v[2:3], v2
	s_wait_dscnt 0x0
	v_and_b32_e32 v8, 0x7fffffff, v2
	v_and_b32_e32 v9, 0x7fffffff, v3
	s_delay_alu instid0(VALU_DEP_1)
	v_cmp_ngt_f32_e32 vcc_lo, v8, v9
                                        ; implicit-def: $vgpr8
	s_cbranch_vccz .LBB152_145
; %bb.144:                              ;   in Loop: Header=BB152_141 Depth=2
	v_div_scale_f32 v8, null, v3, v3, v2
	v_div_scale_f32 v12, vcc_lo, v2, v3, v2
	s_mov_b32 s15, 0
	v_rcp_f32_e32 v9, v8
	v_xor_b32_e32 v8, 0x80000000, v8
	s_delay_alu instid0(TRANS32_DEP_1) | instid1(VALU_DEP_1)
	v_fma_f32 v11, v8, v9, 1.0
	s_delay_alu instid0(VALU_DEP_1) | instskip(NEXT) | instid1(VALU_DEP_1)
	v_fmac_f32_e32 v9, v11, v9
	v_mul_f32_e32 v11, v12, v9
	s_delay_alu instid0(VALU_DEP_1) | instskip(NEXT) | instid1(VALU_DEP_1)
	v_fma_f32 v13, v8, v11, v12
	v_fmac_f32_e32 v11, v13, v9
	s_delay_alu instid0(VALU_DEP_1) | instskip(SKIP_1) | instid1(VALU_DEP_1)
	v_fmac_f32_e32 v12, v8, v11
	s_wait_alu 0xfffd
	v_div_fmas_f32 v8, v12, v9, v11
	s_delay_alu instid0(VALU_DEP_1) | instskip(NEXT) | instid1(VALU_DEP_1)
	v_div_fixup_f32 v8, v8, v3, v2
	v_fma_f32 v9, v2, v8, v3
	s_delay_alu instid0(VALU_DEP_1) | instskip(SKIP_1) | instid1(VALU_DEP_2)
	v_div_scale_f32 v11, null, v9, v9, 1.0
	v_div_scale_f32 v14, vcc_lo, 1.0, v9, 1.0
	v_rcp_f32_e32 v12, v11
	v_xor_b32_e32 v11, 0x80000000, v11
	s_delay_alu instid0(TRANS32_DEP_1) | instid1(VALU_DEP_1)
	v_fma_f32 v13, v11, v12, 1.0
	s_delay_alu instid0(VALU_DEP_1) | instskip(NEXT) | instid1(VALU_DEP_1)
	v_fmac_f32_e32 v12, v13, v12
	v_mul_f32_e32 v13, v14, v12
	s_delay_alu instid0(VALU_DEP_1) | instskip(NEXT) | instid1(VALU_DEP_1)
	v_fma_f32 v15, v11, v13, v14
	v_fmac_f32_e32 v13, v15, v12
	s_delay_alu instid0(VALU_DEP_1) | instskip(SKIP_1) | instid1(VALU_DEP_1)
	v_fmac_f32_e32 v14, v11, v13
	s_wait_alu 0xfffd
	v_div_fmas_f32 v11, v14, v12, v13
	v_fma_f32 v12, v0, v8, v1
	s_delay_alu instid0(VALU_DEP_2) | instskip(SKIP_1) | instid1(VALU_DEP_2)
	v_div_fixup_f32 v9, v11, v9, 1.0
	v_fma_f32 v11, v1, v8, -v0
	v_mul_f32_e32 v8, v12, v9
	s_delay_alu instid0(VALU_DEP_2)
	v_mul_f32_e32 v9, v11, v9
.LBB152_145:                            ;   in Loop: Header=BB152_141 Depth=2
	s_wait_alu 0xfffe
	s_and_not1_b32 vcc_lo, exec_lo, s15
	s_wait_alu 0xfffe
	s_cbranch_vccnz .LBB152_140
; %bb.146:                              ;   in Loop: Header=BB152_141 Depth=2
	v_div_scale_f32 v8, null, v2, v2, v3
	v_div_scale_f32 v12, vcc_lo, v3, v2, v3
	s_delay_alu instid0(VALU_DEP_2)
	v_rcp_f32_e32 v9, v8
	v_xor_b32_e32 v8, 0x80000000, v8
	s_delay_alu instid0(TRANS32_DEP_1) | instid1(VALU_DEP_1)
	v_fma_f32 v11, v8, v9, 1.0
	s_delay_alu instid0(VALU_DEP_1) | instskip(NEXT) | instid1(VALU_DEP_1)
	v_fmac_f32_e32 v9, v11, v9
	v_mul_f32_e32 v11, v12, v9
	s_delay_alu instid0(VALU_DEP_1) | instskip(NEXT) | instid1(VALU_DEP_1)
	v_fma_f32 v13, v8, v11, v12
	v_fmac_f32_e32 v11, v13, v9
	s_delay_alu instid0(VALU_DEP_1) | instskip(SKIP_1) | instid1(VALU_DEP_1)
	v_fmac_f32_e32 v12, v8, v11
	s_wait_alu 0xfffd
	v_div_fmas_f32 v8, v12, v9, v11
	s_delay_alu instid0(VALU_DEP_1) | instskip(NEXT) | instid1(VALU_DEP_1)
	v_div_fixup_f32 v8, v8, v2, v3
	v_fmac_f32_e32 v2, v3, v8
	s_delay_alu instid0(VALU_DEP_1) | instskip(SKIP_1) | instid1(VALU_DEP_2)
	v_div_scale_f32 v3, null, v2, v2, 1.0
	v_div_scale_f32 v12, vcc_lo, 1.0, v2, 1.0
	v_rcp_f32_e32 v9, v3
	v_xor_b32_e32 v3, 0x80000000, v3
	s_delay_alu instid0(TRANS32_DEP_1) | instid1(VALU_DEP_1)
	v_fma_f32 v11, v3, v9, 1.0
	s_delay_alu instid0(VALU_DEP_1) | instskip(NEXT) | instid1(VALU_DEP_1)
	v_fmac_f32_e32 v9, v11, v9
	v_mul_f32_e32 v11, v12, v9
	s_delay_alu instid0(VALU_DEP_1) | instskip(NEXT) | instid1(VALU_DEP_1)
	v_fma_f32 v13, v3, v11, v12
	v_fmac_f32_e32 v11, v13, v9
	s_delay_alu instid0(VALU_DEP_1) | instskip(SKIP_1) | instid1(VALU_DEP_1)
	v_fmac_f32_e32 v12, v3, v11
	s_wait_alu 0xfffd
	v_div_fmas_f32 v3, v12, v9, v11
	v_fma_f32 v9, v1, v8, v0
	v_fma_f32 v0, -v0, v8, v1
	s_delay_alu instid0(VALU_DEP_3) | instskip(NEXT) | instid1(VALU_DEP_1)
	v_div_fixup_f32 v2, v3, v2, 1.0
	v_mul_f32_e32 v8, v9, v2
	s_delay_alu instid0(VALU_DEP_3)
	v_mul_f32_e32 v9, v0, v2
	s_branch .LBB152_140
.LBB152_147:                            ;   in Loop: Header=BB152_3 Depth=1
	s_and_saveexec_b32 s14, s33
	s_cbranch_execz .LBB152_2
; %bb.148:                              ;   in Loop: Header=BB152_3 Depth=1
	v_add_co_u32 v0, vcc_lo, v6, s10
	s_wait_alu 0xfffd
	v_add_co_ci_u32_e64 v1, null, s11, v7, vcc_lo
	v_mov_b32_e32 v2, v17
	s_delay_alu instid0(VALU_DEP_3) | instskip(SKIP_1) | instid1(VALU_DEP_3)
	v_add_co_u32 v0, vcc_lo, v0, s20
	s_wait_alu 0xfffd
	v_add_co_ci_u32_e64 v1, null, s21, v1, vcc_lo
	s_mov_b32 s15, s16
	v_add_co_u32 v0, vcc_lo, v0, v25
	s_wait_alu 0xfffd
	v_add_co_ci_u32_e64 v1, null, 0, v1, vcc_lo
.LBB152_149:                            ;   Parent Loop BB152_3 Depth=1
                                        ; =>  This Inner Loop Header: Depth=2
	ds_load_b64 v[6:7], v2
	v_add_nc_u32_e32 v2, 0x80, v2
	s_wait_alu 0xfffe
	s_add_co_i32 s15, s15, -1
	s_wait_alu 0xfffe
	s_cmp_lg_u32 s15, 0
	s_wait_dscnt 0x0
	flat_store_b64 v[0:1], v[6:7]
	v_add_co_u32 v0, vcc_lo, v0, s12
	s_wait_alu 0xfffd
	v_add_co_ci_u32_e64 v1, null, s13, v1, vcc_lo
	s_cbranch_scc1 .LBB152_149
	s_branch .LBB152_2
.LBB152_150:
	s_endpgm
	.section	.rodata,"a",@progbits
	.p2align	6, 0x0
	.amdhsa_kernel _ZL31rocblas_trsm_small_right_deviceI19rocblas_complex_numIfES1_PKPKS1_PKPS1_Li16EEv13rocblas_fill_18rocblas_operation_17rocblas_diagonal_iiT0_T1_lilT2_lili
		.amdhsa_group_segment_fixed_size 4096
		.amdhsa_private_segment_fixed_size 0
		.amdhsa_kernarg_size 360
		.amdhsa_user_sgpr_count 2
		.amdhsa_user_sgpr_dispatch_ptr 0
		.amdhsa_user_sgpr_queue_ptr 0
		.amdhsa_user_sgpr_kernarg_segment_ptr 1
		.amdhsa_user_sgpr_dispatch_id 0
		.amdhsa_user_sgpr_private_segment_size 0
		.amdhsa_wavefront_size32 1
		.amdhsa_uses_dynamic_stack 0
		.amdhsa_enable_private_segment 0
		.amdhsa_system_sgpr_workgroup_id_x 1
		.amdhsa_system_sgpr_workgroup_id_y 0
		.amdhsa_system_sgpr_workgroup_id_z 1
		.amdhsa_system_sgpr_workgroup_info 0
		.amdhsa_system_vgpr_workitem_id 0
		.amdhsa_next_free_vgpr 169
		.amdhsa_next_free_sgpr 41
		.amdhsa_reserve_vcc 1
		.amdhsa_float_round_mode_32 0
		.amdhsa_float_round_mode_16_64 0
		.amdhsa_float_denorm_mode_32 3
		.amdhsa_float_denorm_mode_16_64 3
		.amdhsa_fp16_overflow 0
		.amdhsa_workgroup_processor_mode 1
		.amdhsa_memory_ordered 1
		.amdhsa_forward_progress 1
		.amdhsa_inst_pref_size 124
		.amdhsa_round_robin_scheduling 0
		.amdhsa_exception_fp_ieee_invalid_op 0
		.amdhsa_exception_fp_denorm_src 0
		.amdhsa_exception_fp_ieee_div_zero 0
		.amdhsa_exception_fp_ieee_overflow 0
		.amdhsa_exception_fp_ieee_underflow 0
		.amdhsa_exception_fp_ieee_inexact 0
		.amdhsa_exception_int_div_zero 0
	.end_amdhsa_kernel
	.section	.text._ZL31rocblas_trsm_small_right_deviceI19rocblas_complex_numIfES1_PKPKS1_PKPS1_Li16EEv13rocblas_fill_18rocblas_operation_17rocblas_diagonal_iiT0_T1_lilT2_lili,"axG",@progbits,_ZL31rocblas_trsm_small_right_deviceI19rocblas_complex_numIfES1_PKPKS1_PKPS1_Li16EEv13rocblas_fill_18rocblas_operation_17rocblas_diagonal_iiT0_T1_lilT2_lili,comdat
.Lfunc_end152:
	.size	_ZL31rocblas_trsm_small_right_deviceI19rocblas_complex_numIfES1_PKPKS1_PKPS1_Li16EEv13rocblas_fill_18rocblas_operation_17rocblas_diagonal_iiT0_T1_lilT2_lili, .Lfunc_end152-_ZL31rocblas_trsm_small_right_deviceI19rocblas_complex_numIfES1_PKPKS1_PKPS1_Li16EEv13rocblas_fill_18rocblas_operation_17rocblas_diagonal_iiT0_T1_lilT2_lili
                                        ; -- End function
	.set _ZL31rocblas_trsm_small_right_deviceI19rocblas_complex_numIfES1_PKPKS1_PKPS1_Li16EEv13rocblas_fill_18rocblas_operation_17rocblas_diagonal_iiT0_T1_lilT2_lili.num_vgpr, 42
	.set _ZL31rocblas_trsm_small_right_deviceI19rocblas_complex_numIfES1_PKPKS1_PKPS1_Li16EEv13rocblas_fill_18rocblas_operation_17rocblas_diagonal_iiT0_T1_lilT2_lili.num_agpr, 0
	.set _ZL31rocblas_trsm_small_right_deviceI19rocblas_complex_numIfES1_PKPKS1_PKPS1_Li16EEv13rocblas_fill_18rocblas_operation_17rocblas_diagonal_iiT0_T1_lilT2_lili.numbered_sgpr, 41
	.set _ZL31rocblas_trsm_small_right_deviceI19rocblas_complex_numIfES1_PKPKS1_PKPS1_Li16EEv13rocblas_fill_18rocblas_operation_17rocblas_diagonal_iiT0_T1_lilT2_lili.num_named_barrier, 0
	.set _ZL31rocblas_trsm_small_right_deviceI19rocblas_complex_numIfES1_PKPKS1_PKPS1_Li16EEv13rocblas_fill_18rocblas_operation_17rocblas_diagonal_iiT0_T1_lilT2_lili.private_seg_size, 0
	.set _ZL31rocblas_trsm_small_right_deviceI19rocblas_complex_numIfES1_PKPKS1_PKPS1_Li16EEv13rocblas_fill_18rocblas_operation_17rocblas_diagonal_iiT0_T1_lilT2_lili.uses_vcc, 1
	.set _ZL31rocblas_trsm_small_right_deviceI19rocblas_complex_numIfES1_PKPKS1_PKPS1_Li16EEv13rocblas_fill_18rocblas_operation_17rocblas_diagonal_iiT0_T1_lilT2_lili.uses_flat_scratch, 0
	.set _ZL31rocblas_trsm_small_right_deviceI19rocblas_complex_numIfES1_PKPKS1_PKPS1_Li16EEv13rocblas_fill_18rocblas_operation_17rocblas_diagonal_iiT0_T1_lilT2_lili.has_dyn_sized_stack, 0
	.set _ZL31rocblas_trsm_small_right_deviceI19rocblas_complex_numIfES1_PKPKS1_PKPS1_Li16EEv13rocblas_fill_18rocblas_operation_17rocblas_diagonal_iiT0_T1_lilT2_lili.has_recursion, 0
	.set _ZL31rocblas_trsm_small_right_deviceI19rocblas_complex_numIfES1_PKPKS1_PKPS1_Li16EEv13rocblas_fill_18rocblas_operation_17rocblas_diagonal_iiT0_T1_lilT2_lili.has_indirect_call, 0
	.section	.AMDGPU.csdata,"",@progbits
; Kernel info:
; codeLenInByte = 15784
; TotalNumSgprs: 43
; NumVgprs: 42
; ScratchSize: 0
; MemoryBound: 0
; FloatMode: 240
; IeeeMode: 1
; LDSByteSize: 4096 bytes/workgroup (compile time only)
; SGPRBlocks: 0
; VGPRBlocks: 21
; NumSGPRsForWavesPerEU: 43
; NumVGPRsForWavesPerEU: 169
; Occupancy: 8
; WaveLimiterHint : 0
; COMPUTE_PGM_RSRC2:SCRATCH_EN: 0
; COMPUTE_PGM_RSRC2:USER_SGPR: 2
; COMPUTE_PGM_RSRC2:TRAP_HANDLER: 0
; COMPUTE_PGM_RSRC2:TGID_X_EN: 1
; COMPUTE_PGM_RSRC2:TGID_Y_EN: 0
; COMPUTE_PGM_RSRC2:TGID_Z_EN: 1
; COMPUTE_PGM_RSRC2:TIDIG_COMP_CNT: 0
	.section	.text._ZL38rocblas_trsm_small_left_device_sharedBILi20ELi20ELb0E19rocblas_complex_numIfES1_PKPKS1_PKPS1_Ev13rocblas_fill_18rocblas_operation_17rocblas_diagonal_iiT3_T4_lilT5_lili,"axG",@progbits,_ZL38rocblas_trsm_small_left_device_sharedBILi20ELi20ELb0E19rocblas_complex_numIfES1_PKPKS1_PKPS1_Ev13rocblas_fill_18rocblas_operation_17rocblas_diagonal_iiT3_T4_lilT5_lili,comdat
	.globl	_ZL38rocblas_trsm_small_left_device_sharedBILi20ELi20ELb0E19rocblas_complex_numIfES1_PKPKS1_PKPS1_Ev13rocblas_fill_18rocblas_operation_17rocblas_diagonal_iiT3_T4_lilT5_lili ; -- Begin function _ZL38rocblas_trsm_small_left_device_sharedBILi20ELi20ELb0E19rocblas_complex_numIfES1_PKPKS1_PKPS1_Ev13rocblas_fill_18rocblas_operation_17rocblas_diagonal_iiT3_T4_lilT5_lili
	.p2align	8
	.type	_ZL38rocblas_trsm_small_left_device_sharedBILi20ELi20ELb0E19rocblas_complex_numIfES1_PKPKS1_PKPS1_Ev13rocblas_fill_18rocblas_operation_17rocblas_diagonal_iiT3_T4_lilT5_lili,@function
_ZL38rocblas_trsm_small_left_device_sharedBILi20ELi20ELb0E19rocblas_complex_numIfES1_PKPKS1_PKPS1_Ev13rocblas_fill_18rocblas_operation_17rocblas_diagonal_iiT3_T4_lilT5_lili: ; @_ZL38rocblas_trsm_small_left_device_sharedBILi20ELi20ELb0E19rocblas_complex_numIfES1_PKPKS1_PKPS1_Ev13rocblas_fill_18rocblas_operation_17rocblas_diagonal_iiT3_T4_lilT5_lili
; %bb.0:
	s_load_b32 s22, s[0:1], 0x60
	s_lshr_b32 s2, ttmp7, 16
	s_wait_kmcnt 0x0
	s_cmp_ge_u32 s2, s22
	s_cbranch_scc1 .LBB153_66
; %bb.1:
	s_clause 0x6
	s_load_b32 s20, s[0:1], 0x30
	s_load_b32 s28, s[0:1], 0x50
	s_load_b128 s[12:15], s[0:1], 0x4
	s_load_b32 s3, s[0:1], 0x68
	s_load_b128 s[4:7], s[0:1], 0x20
	s_load_b128 s[8:11], s[0:1], 0x40
	s_load_b64 s[16:17], s[0:1], 0x14
	s_mul_i32 s0, ttmp9, 0xffffffec
	s_mul_i32 s30, ttmp9, 20
	v_lshlrev_b32_e32 v12, 3, v0
	v_mul_u32_u24_e32 v2, 0xa0, v0
	s_mov_b32 s19, 0
	s_wait_kmcnt 0x0
	s_ashr_i32 s21, s20, 31
	s_ashr_i32 s29, s28, 31
	s_cmp_lg_u32 s12, 0x71
	v_mad_co_i64_i32 v[4:5], null, s28, v0, 0
	s_cselect_b32 s1, -1, 0
	s_min_i32 s23, s14, 20
	s_add_co_i32 s3, s3, -1
	s_add_co_i32 s0, s15, s0
	s_add_co_i32 s24, s23, -1
	s_cmp_ge_u32 ttmp9, s3
	v_lshlrev_b64_e32 v[4:5], 3, v[4:5]
	s_cselect_b32 s3, s0, 20
	s_ashr_i32 s31, s30, 31
	s_cmp_lg_u32 s13, 0x84
	v_cmp_gt_i32_e64 s0, s23, v0
	s_cselect_b32 s25, -1, 0
	s_cmp_gt_i32 s14, 0
	v_cmp_gt_i32_e32 vcc_lo, s3, v0
	s_cselect_b32 s18, -1, 0
	s_cmp_lg_u32 s12, 0x6f
	s_mul_u64 s[14:15], s[28:29], s[30:31]
	s_cselect_b32 s26, -1, 0
	s_lshl_b64 s[12:13], s[30:31], 3
	s_and_b32 s27, vcc_lo, s18
	v_add_co_u32 v0, s3, s12, v12
	s_wait_alu 0xf1ff
	v_add_co_ci_u32_e64 v3, null, s13, 0, s3
	s_lshl_b64 s[12:13], s[6:7], 3
	s_lshl_b64 s[6:7], s[10:11], 3
	v_mul_lo_u32 v8, v0, s29
	v_mul_lo_u32 v9, v3, s28
	v_mad_co_u64_u32 v[6:7], null, v0, s28, s[6:7]
	v_mov_b32_e32 v3, 0
	s_wait_alu 0xfffe
	v_add_co_u32 v10, s3, s12, v12
	v_add_nc_u32_e32 v1, 0xc80, v12
	s_wait_alu 0xf1ff
	v_add_co_ci_u32_e64 v0, null, s13, 0, s3
	s_delay_alu instid0(VALU_DEP_3)
	v_or_b32_e32 v13, 4, v10
	v_add3_u32 v14, v9, v7, v8
	v_or_b32_e32 v15, 4, v6
	v_add_nc_u32_e32 v16, v12, v2
	v_mov_b32_e32 v2, 1.0
	s_mul_i32 s3, s23, 0xa0
	s_or_b32 s28, 0, 4
	s_lshl_b64 s[10:11], s[20:21], 3
	s_wait_alu 0xfffe
	s_add_co_i32 s20, s3, 0xffffff60
	s_lshl_b64 s[12:13], s[14:15], 3
	s_branch .LBB153_3
.LBB153_2:                              ;   in Loop: Header=BB153_3 Depth=1
	s_wait_alu 0xfffe
	s_or_b32 exec_lo, exec_lo, s3
	s_add_co_i32 s2, s2, 0x10000
	s_wait_alu 0xfffe
	s_cmp_lt_u32 s2, s22
	s_cbranch_scc0 .LBB153_66
.LBB153_3:                              ; =>This Loop Header: Depth=1
                                        ;     Child Loop BB153_6 Depth 2
                                        ;     Child Loop BB153_20 Depth 2
	;; [unrolled: 1-line block ×3, first 2 shown]
                                        ;       Child Loop BB153_27 Depth 3
                                        ;         Child Loop BB153_28 Depth 4
                                        ;         Child Loop BB153_31 Depth 4
                                        ;           Child Loop BB153_32 Depth 5
                                        ;         Child Loop BB153_36 Depth 4
                                        ;           Child Loop BB153_38 Depth 5
                                        ;     Child Loop BB153_46 Depth 2
                                        ;       Child Loop BB153_49 Depth 3
                                        ;         Child Loop BB153_50 Depth 4
                                        ;         Child Loop BB153_52 Depth 4
                                        ;           Child Loop BB153_53 Depth 5
                                        ;         Child Loop BB153_57 Depth 4
                                        ;           Child Loop BB153_59 Depth 5
                                        ;     Child Loop BB153_65 Depth 2
	s_mov_b32 s3, s19
	s_wait_alu 0xfffe
	s_lshl_b64 s[14:15], s[2:3], 3
	s_delay_alu instid0(SALU_CYCLE_1)
	s_add_nc_u64 s[30:31], s[8:9], s[14:15]
	global_load_b64 v[6:7], v3, s[30:31]
	s_and_saveexec_b32 s3, s0
	s_cbranch_execz .LBB153_18
; %bb.4:                                ;   in Loop: Header=BB153_3 Depth=1
	s_add_nc_u64 s[14:15], s[4:5], s[14:15]
	v_mov_b32_e32 v17, v12
	global_load_b64 v[8:9], v3, s[14:15]
	s_mov_b32 s14, s23
	s_wait_loadcnt 0x0
	v_add_co_u32 v8, vcc_lo, v8, v13
	s_wait_alu 0xfffd
	v_add_co_ci_u32_e64 v9, null, v9, v0, vcc_lo
	s_branch .LBB153_6
.LBB153_5:                              ;   in Loop: Header=BB153_6 Depth=2
	flat_load_b32 v10, v[8:9] offset:-4
	v_add_co_u32 v8, vcc_lo, v8, s10
	s_wait_alu 0xfffd
	v_add_co_ci_u32_e64 v9, null, s11, v9, vcc_lo
	s_add_co_i32 s14, s14, -1
	s_delay_alu instid0(SALU_CYCLE_1)
	s_cmp_eq_u32 s14, 0
	s_wait_loadcnt_dscnt 0x0
	ds_store_b64 v17, v[10:11]
	v_add_nc_u32_e32 v17, 0xa0, v17
	s_cbranch_scc1 .LBB153_10
.LBB153_6:                              ;   Parent Loop BB153_3 Depth=1
                                        ; =>  This Inner Loop Header: Depth=2
	s_and_b32 vcc_lo, exec_lo, s1
	s_mov_b32 s15, -1
                                        ; implicit-def: $vgpr11
	s_wait_alu 0xfffe
	s_cbranch_vccz .LBB153_8
; %bb.7:                                ;   in Loop: Header=BB153_6 Depth=2
	flat_load_b32 v11, v[8:9]
	s_mov_b32 s15, 0
.LBB153_8:                              ;   in Loop: Header=BB153_6 Depth=2
	s_delay_alu instid0(SALU_CYCLE_1)
	s_and_not1_b32 vcc_lo, exec_lo, s15
	s_wait_alu 0xfffe
	s_cbranch_vccnz .LBB153_5
; %bb.9:                                ;   in Loop: Header=BB153_6 Depth=2
	flat_load_b32 v10, v[8:9]
	s_wait_loadcnt_dscnt 0x0
	v_xor_b32_e32 v11, 0x80000000, v10
	s_branch .LBB153_5
.LBB153_10:                             ;   in Loop: Header=BB153_3 Depth=1
	s_and_b32 vcc_lo, exec_lo, s25
	s_mov_b32 s14, -1
	s_wait_alu 0xfffe
	s_cbranch_vccz .LBB153_16
; %bb.11:                               ;   in Loop: Header=BB153_3 Depth=1
	ds_load_b64 v[8:9], v16
                                        ; implicit-def: $vgpr10
	s_wait_dscnt 0x0
	v_cmp_ngt_f32_e64 s14, |v8|, |v9|
	s_and_saveexec_b32 s15, s14
	s_delay_alu instid0(SALU_CYCLE_1)
	s_xor_b32 s14, exec_lo, s15
	s_cbranch_execz .LBB153_13
; %bb.12:                               ;   in Loop: Header=BB153_3 Depth=1
	v_div_scale_f32 v10, null, v9, v9, v8
	v_div_scale_f32 v18, vcc_lo, v8, v9, v8
	s_delay_alu instid0(VALU_DEP_2) | instskip(NEXT) | instid1(TRANS32_DEP_1)
	v_rcp_f32_e32 v11, v10
	v_fma_f32 v17, -v10, v11, 1.0
	s_delay_alu instid0(VALU_DEP_1) | instskip(NEXT) | instid1(VALU_DEP_1)
	v_fmac_f32_e32 v11, v17, v11
	v_mul_f32_e32 v17, v18, v11
	s_delay_alu instid0(VALU_DEP_1) | instskip(NEXT) | instid1(VALU_DEP_1)
	v_fma_f32 v19, -v10, v17, v18
	v_fmac_f32_e32 v17, v19, v11
	s_delay_alu instid0(VALU_DEP_1) | instskip(SKIP_1) | instid1(VALU_DEP_1)
	v_fma_f32 v10, -v10, v17, v18
	s_wait_alu 0xfffd
	v_div_fmas_f32 v10, v10, v11, v17
	s_delay_alu instid0(VALU_DEP_1) | instskip(NEXT) | instid1(VALU_DEP_1)
	v_div_fixup_f32 v10, v10, v9, v8
	v_fmac_f32_e32 v9, v8, v10
	s_delay_alu instid0(VALU_DEP_1) | instskip(SKIP_1) | instid1(VALU_DEP_2)
	v_div_scale_f32 v8, null, v9, v9, 1.0
	v_div_scale_f32 v18, vcc_lo, 1.0, v9, 1.0
	v_rcp_f32_e32 v11, v8
	s_delay_alu instid0(TRANS32_DEP_1) | instskip(NEXT) | instid1(VALU_DEP_1)
	v_fma_f32 v17, -v8, v11, 1.0
	v_fmac_f32_e32 v11, v17, v11
	s_delay_alu instid0(VALU_DEP_1) | instskip(NEXT) | instid1(VALU_DEP_1)
	v_mul_f32_e32 v17, v18, v11
	v_fma_f32 v19, -v8, v17, v18
	s_delay_alu instid0(VALU_DEP_1) | instskip(NEXT) | instid1(VALU_DEP_1)
	v_fmac_f32_e32 v17, v19, v11
	v_fma_f32 v8, -v8, v17, v18
	s_wait_alu 0xfffd
	s_delay_alu instid0(VALU_DEP_1) | instskip(SKIP_1) | instid1(VALU_DEP_2)
	v_div_fmas_f32 v8, v8, v11, v17
	v_add_f32_e32 v11, 0, v10
	v_div_fixup_f32 v8, v8, v9, 1.0
	v_fma_f32 v9, v10, 0, -1.0
	s_delay_alu instid0(VALU_DEP_2) | instskip(NEXT) | instid1(VALU_DEP_2)
	v_mul_f32_e32 v10, v11, v8
	v_mul_f32_e32 v11, v9, v8
                                        ; implicit-def: $vgpr8_vgpr9
.LBB153_13:                             ;   in Loop: Header=BB153_3 Depth=1
	s_and_not1_saveexec_b32 s14, s14
	s_cbranch_execz .LBB153_15
; %bb.14:                               ;   in Loop: Header=BB153_3 Depth=1
	v_div_scale_f32 v10, null, v8, v8, v9
	v_div_scale_f32 v18, vcc_lo, v9, v8, v9
	s_delay_alu instid0(VALU_DEP_2) | instskip(NEXT) | instid1(TRANS32_DEP_1)
	v_rcp_f32_e32 v11, v10
	v_fma_f32 v17, -v10, v11, 1.0
	s_delay_alu instid0(VALU_DEP_1) | instskip(NEXT) | instid1(VALU_DEP_1)
	v_fmac_f32_e32 v11, v17, v11
	v_mul_f32_e32 v17, v18, v11
	s_delay_alu instid0(VALU_DEP_1) | instskip(NEXT) | instid1(VALU_DEP_1)
	v_fma_f32 v19, -v10, v17, v18
	v_fmac_f32_e32 v17, v19, v11
	s_delay_alu instid0(VALU_DEP_1) | instskip(SKIP_1) | instid1(VALU_DEP_1)
	v_fma_f32 v10, -v10, v17, v18
	s_wait_alu 0xfffd
	v_div_fmas_f32 v10, v10, v11, v17
	s_delay_alu instid0(VALU_DEP_1) | instskip(NEXT) | instid1(VALU_DEP_1)
	v_div_fixup_f32 v11, v10, v8, v9
	v_fmac_f32_e32 v8, v9, v11
	s_delay_alu instid0(VALU_DEP_1) | instskip(SKIP_1) | instid1(VALU_DEP_2)
	v_div_scale_f32 v9, null, v8, v8, 1.0
	v_div_scale_f32 v18, vcc_lo, 1.0, v8, 1.0
	v_rcp_f32_e32 v10, v9
	s_delay_alu instid0(TRANS32_DEP_1) | instskip(NEXT) | instid1(VALU_DEP_1)
	v_fma_f32 v17, -v9, v10, 1.0
	v_fmac_f32_e32 v10, v17, v10
	s_delay_alu instid0(VALU_DEP_1) | instskip(NEXT) | instid1(VALU_DEP_1)
	v_mul_f32_e32 v17, v18, v10
	v_fma_f32 v19, -v9, v17, v18
	s_delay_alu instid0(VALU_DEP_1) | instskip(NEXT) | instid1(VALU_DEP_1)
	v_fmac_f32_e32 v17, v19, v10
	v_fma_f32 v9, -v9, v17, v18
	s_wait_alu 0xfffd
	s_delay_alu instid0(VALU_DEP_1) | instskip(SKIP_1) | instid1(VALU_DEP_2)
	v_div_fmas_f32 v9, v9, v10, v17
	v_fma_f32 v10, v11, 0, 1.0
	v_div_fixup_f32 v8, v9, v8, 1.0
	s_delay_alu instid0(VALU_DEP_1)
	v_mul_f32_e32 v10, v10, v8
	v_mul_f32_e64 v11, -v11, v8
.LBB153_15:                             ;   in Loop: Header=BB153_3 Depth=1
	s_or_b32 exec_lo, exec_lo, s14
	s_mov_b32 s14, 0
	ds_store_b64 v16, v[10:11]
.LBB153_16:                             ;   in Loop: Header=BB153_3 Depth=1
	s_and_b32 vcc_lo, exec_lo, s14
	s_wait_alu 0xfffe
	s_cbranch_vccz .LBB153_18
; %bb.17:                               ;   in Loop: Header=BB153_3 Depth=1
	ds_store_b64 v16, v[2:3]
.LBB153_18:                             ;   in Loop: Header=BB153_3 Depth=1
	s_wait_alu 0xfffe
	s_or_b32 exec_lo, exec_lo, s3
	s_and_saveexec_b32 s3, s27
	s_cbranch_execz .LBB153_21
; %bb.19:                               ;   in Loop: Header=BB153_3 Depth=1
	s_wait_loadcnt 0x0
	v_add_co_u32 v8, vcc_lo, v6, v15
	s_wait_alu 0xfffd
	v_add_co_ci_u32_e64 v9, null, v7, v14, vcc_lo
	v_mov_b32_e32 v10, v1
	s_mov_b32 s14, s23
.LBB153_20:                             ;   Parent Loop BB153_3 Depth=1
                                        ; =>  This Inner Loop Header: Depth=2
	flat_load_b64 v[17:18], v[8:9] offset:-4
	v_add_co_u32 v8, vcc_lo, v8, 8
	s_wait_alu 0xfffd
	v_add_co_ci_u32_e64 v9, null, 0, v9, vcc_lo
	s_add_co_i32 s14, s14, -1
	s_delay_alu instid0(SALU_CYCLE_1) | instskip(SKIP_3) | instid1(VALU_DEP_2)
	s_cmp_lg_u32 s14, 0
	s_wait_loadcnt_dscnt 0x0
	v_mul_f32_e32 v11, s17, v18
	v_mul_f32_e32 v19, s16, v18
	v_fma_f32 v18, s16, v17, -v11
	s_delay_alu instid0(VALU_DEP_2)
	v_fmac_f32_e32 v19, s17, v17
	ds_store_b64 v10, v[18:19]
	v_add_nc_u32_e32 v10, 0xa0, v10
	s_cbranch_scc1 .LBB153_20
.LBB153_21:                             ;   in Loop: Header=BB153_3 Depth=1
	s_wait_alu 0xfffe
	s_or_b32 exec_lo, exec_lo, s3
	s_delay_alu instid0(SALU_CYCLE_1)
	s_and_not1_b32 vcc_lo, exec_lo, s26
	s_mov_b32 s3, -1
	; wave barrier
	s_wait_loadcnt_dscnt 0x0
	global_inv scope:SCOPE_SE
	s_wait_alu 0xfffe
	s_cbranch_vccnz .LBB153_43
; %bb.22:                               ;   in Loop: Header=BB153_3 Depth=1
	s_mov_b32 s18, 0
	s_delay_alu instid0(SALU_CYCLE_1)
	s_mov_b32 s3, s18
	s_branch .LBB153_24
.LBB153_23:                             ;   in Loop: Header=BB153_24 Depth=2
	s_cmp_lt_i32 s3, s23
	s_cselect_b32 s14, -1, 0
	s_add_co_i32 s15, s18, 1
	s_cmp_lt_u32 s18, 2
	s_cselect_b32 s18, -1, 0
	s_delay_alu instid0(SALU_CYCLE_1)
	s_and_b32 s14, s14, s18
	s_mov_b32 s18, s15
	s_and_b32 vcc_lo, exec_lo, s14
	s_wait_alu 0xfffe
	s_cbranch_vccz .LBB153_42
.LBB153_24:                             ;   Parent Loop BB153_3 Depth=1
                                        ; =>  This Loop Header: Depth=2
                                        ;       Child Loop BB153_27 Depth 3
                                        ;         Child Loop BB153_28 Depth 4
                                        ;         Child Loop BB153_31 Depth 4
                                        ;           Child Loop BB153_32 Depth 5
                                        ;         Child Loop BB153_36 Depth 4
                                        ;           Child Loop BB153_38 Depth 5
	s_getpc_b64 s[14:15]
	s_sext_i32_i16 s15, s15
	s_add_co_u32 s14, s14, __const._ZL38rocblas_trsm_small_left_device_sharedBILi20ELi20ELb0E19rocblas_complex_numIfES1_PKPKS1_PKPS1_Ev13rocblas_fill_18rocblas_operation_17rocblas_diagonal_iiT3_T4_lilT5_lili.step_sizes@rel32@lo+8
	s_add_co_ci_u32 s15, s15, __const._ZL38rocblas_trsm_small_left_device_sharedBILi20ELi20ELb0E19rocblas_complex_numIfES1_PKPKS1_PKPS1_Ev13rocblas_fill_18rocblas_operation_17rocblas_diagonal_iiT3_T4_lilT5_lili.step_sizes@rel32@hi+16
	s_lshl_b64 s[30:31], s[18:19], 2
	s_wait_alu 0xfffe
	s_add_nc_u64 s[14:15], s[14:15], s[30:31]
	s_load_b32 s14, s[14:15], 0x0
	s_wait_kmcnt 0x0
	s_add_co_i32 s15, s14, -1
	s_delay_alu instid0(SALU_CYCLE_1)
	s_add_co_i32 s21, s15, s3
	s_wait_alu 0xfffe
	s_cmp_ge_i32 s21, s23
	s_cbranch_scc1 .LBB153_23
; %bb.25:                               ;   in Loop: Header=BB153_24 Depth=2
	s_mul_i32 s21, s3, 0xa0
	s_max_i32 s29, s14, 1
	s_wait_alu 0xfffe
	v_add_nc_u32_e32 v10, s21, v1
	s_mul_i32 s30, s14, 0xa0
	s_mul_i32 s31, s3, 0xa8
	;; [unrolled: 1-line block ×3, first 2 shown]
	s_branch .LBB153_27
.LBB153_26:                             ;   in Loop: Header=BB153_27 Depth=3
	s_add_co_i32 s3, s3, s14
	v_add_nc_u32_e32 v10, s30, v10
	s_wait_alu 0xfffe
	s_add_co_i32 s34, s15, s3
	s_add_co_i32 s21, s21, s30
	;; [unrolled: 1-line block ×3, first 2 shown]
	s_wait_alu 0xfffe
	s_cmp_ge_i32 s34, s23
	s_cbranch_scc1 .LBB153_23
.LBB153_27:                             ;   Parent Loop BB153_3 Depth=1
                                        ;     Parent Loop BB153_24 Depth=2
                                        ; =>    This Loop Header: Depth=3
                                        ;         Child Loop BB153_28 Depth 4
                                        ;         Child Loop BB153_31 Depth 4
                                        ;           Child Loop BB153_32 Depth 5
                                        ;         Child Loop BB153_36 Depth 4
                                        ;           Child Loop BB153_38 Depth 5
	v_mov_b32_e32 v8, v10
	s_mov_b32 s34, 0
	s_wait_alu 0xfffe
	s_mov_b32 s35, s29
.LBB153_28:                             ;   Parent Loop BB153_3 Depth=1
                                        ;     Parent Loop BB153_24 Depth=2
                                        ;       Parent Loop BB153_27 Depth=3
                                        ; =>      This Inner Loop Header: Depth=4
	ds_load_b64 v[17:18], v8
	v_add_nc_u32_e32 v8, 0xa0, v8
	s_wait_alu 0xfffe
	s_add_co_i32 s35, s35, -1
	s_wait_dscnt 0x0
	scratch_store_b64 off, v[17:18], s34
	s_add_co_i32 s34, s34, 8
	s_wait_alu 0xfffe
	s_cmp_eq_u32 s35, 0
	s_cbranch_scc0 .LBB153_28
; %bb.29:                               ;   in Loop: Header=BB153_27 Depth=3
	s_cmp_lt_i32 s3, 1
	s_cbranch_scc1 .LBB153_34
; %bb.30:                               ;   in Loop: Header=BB153_27 Depth=3
	s_mov_b32 s34, 0
	s_mov_b32 s35, s21
.LBB153_31:                             ;   Parent Loop BB153_3 Depth=1
                                        ;     Parent Loop BB153_24 Depth=2
                                        ;       Parent Loop BB153_27 Depth=3
                                        ; =>      This Loop Header: Depth=4
                                        ;           Child Loop BB153_32 Depth 5
	s_wait_alu 0xfffe
	v_mad_co_u64_u32 v[8:9], null, 0xa0, s34, v[1:2]
	s_mov_b32 s36, s28
	s_mov_b32 s37, s35
	;; [unrolled: 1-line block ×3, first 2 shown]
	ds_load_b64 v[8:9], v8
.LBB153_32:                             ;   Parent Loop BB153_3 Depth=1
                                        ;     Parent Loop BB153_24 Depth=2
                                        ;       Parent Loop BB153_27 Depth=3
                                        ;         Parent Loop BB153_31 Depth=4
                                        ; =>        This Inner Loop Header: Depth=5
	scratch_load_b64 v[17:18], off, s36 offset:-4
	s_wait_alu 0xfffe
	v_mov_b32_e32 v11, s37
	s_add_co_i32 s38, s38, -1
	s_addk_co_i32 s37, 0xa0
	ds_load_b64 v[19:20], v11
	s_wait_dscnt 0x0
	v_mul_f32_e32 v11, v20, v9
	v_mul_f32_e32 v20, v20, v8
	s_delay_alu instid0(VALU_DEP_1) | instskip(SKIP_1) | instid1(VALU_DEP_1)
	v_fmac_f32_e32 v20, v19, v9
	s_wait_loadcnt 0x0
	v_sub_f32_e32 v18, v18, v20
	v_fma_f32 v11, v19, v8, -v11
	s_delay_alu instid0(VALU_DEP_1)
	v_sub_f32_e32 v17, v17, v11
	scratch_store_b64 off, v[17:18], s36 offset:-4
	s_add_co_i32 s36, s36, 8
	s_wait_alu 0xfffe
	s_cmp_eq_u32 s38, 0
	s_cbranch_scc0 .LBB153_32
; %bb.33:                               ;   in Loop: Header=BB153_31 Depth=4
	s_add_co_i32 s34, s34, 1
	s_add_co_i32 s35, s35, 8
	s_wait_alu 0xfffe
	s_cmp_eq_u32 s34, s3
	s_cbranch_scc0 .LBB153_31
.LBB153_34:                             ;   in Loop: Header=BB153_27 Depth=3
	s_mul_i32 s34, s3, 0xa0
	s_mov_b32 s35, 0
	s_mov_b32 s36, s31
	s_branch .LBB153_36
.LBB153_35:                             ;   in Loop: Header=BB153_36 Depth=4
	s_wait_alu 0xfffe
	s_mulk_i32 s38, 0xa8
	s_addk_co_i32 s36, 0xa0
	s_wait_alu 0xfffe
	v_mov_b32_e32 v11, s38
	s_lshl_b32 s38, s35, 3
	s_add_co_i32 s35, s35, 1
	s_wait_alu 0xfffe
	s_cmp_eq_u32 s35, s29
	ds_load_b64 v[17:18], v11
	s_wait_loadcnt_dscnt 0x0
	v_mul_f32_e32 v11, v18, v9
	v_mul_f32_e32 v20, v17, v9
	v_add_nc_u32_e32 v9, s37, v1
	s_delay_alu instid0(VALU_DEP_3) | instskip(NEXT) | instid1(VALU_DEP_3)
	v_fma_f32 v19, v17, v8, -v11
	v_fmac_f32_e32 v20, v18, v8
	scratch_store_b64 off, v[19:20], s38
	ds_store_b64 v9, v[19:20]
	s_cbranch_scc1 .LBB153_26
.LBB153_36:                             ;   Parent Loop BB153_3 Depth=1
                                        ;     Parent Loop BB153_24 Depth=2
                                        ;       Parent Loop BB153_27 Depth=3
                                        ; =>      This Loop Header: Depth=4
                                        ;           Child Loop BB153_38 Depth 5
	s_wait_alu 0xfffe
	s_cmp_lg_u32 s35, 0
	s_cbranch_scc0 .LBB153_40
; %bb.37:                               ;   in Loop: Header=BB153_36 Depth=4
	s_lshl_b32 s39, s35, 3
	s_add_co_i32 s38, s35, s3
	scratch_load_b64 v[8:9], off, s39
	s_wait_alu 0xfffe
	s_mul_i32 s37, s38, 0xa0
	s_mov_b32 s40, 0
	s_mov_b32 s41, s36
	;; [unrolled: 1-line block ×3, first 2 shown]
.LBB153_38:                             ;   Parent Loop BB153_3 Depth=1
                                        ;     Parent Loop BB153_24 Depth=2
                                        ;       Parent Loop BB153_27 Depth=3
                                        ;         Parent Loop BB153_36 Depth=4
                                        ; =>        This Inner Loop Header: Depth=5
	scratch_load_b64 v[17:18], off, s40
	s_wait_alu 0xfffe
	v_mov_b32_e32 v11, s41
	s_add_co_i32 s42, s42, -1
	s_add_co_i32 s40, s40, 8
	s_add_co_i32 s41, s41, 8
	s_cmp_eq_u32 s42, 0
	ds_load_b64 v[19:20], v11
	s_wait_loadcnt_dscnt 0x0
	v_mul_f32_e32 v11, v20, v18
	v_mul_f32_e32 v18, v19, v18
	s_delay_alu instid0(VALU_DEP_2) | instskip(NEXT) | instid1(VALU_DEP_2)
	v_fma_f32 v11, v19, v17, -v11
	v_fmac_f32_e32 v18, v20, v17
	s_delay_alu instid0(VALU_DEP_1)
	v_dual_sub_f32 v8, v8, v11 :: v_dual_sub_f32 v9, v9, v18
	scratch_store_b64 off, v[8:9], s39
	s_cbranch_scc0 .LBB153_38
; %bb.39:                               ;   in Loop: Header=BB153_36 Depth=4
	s_branch .LBB153_35
.LBB153_40:                             ;   in Loop: Header=BB153_36 Depth=4
                                        ; implicit-def: $vgpr8
                                        ; implicit-def: $sgpr38
                                        ; implicit-def: $sgpr37
	s_cbranch_execz .LBB153_35
; %bb.41:                               ;   in Loop: Header=BB153_36 Depth=4
	scratch_load_b64 v[8:9], off, off
	s_mov_b32 s37, s34
	s_mov_b32 s38, s3
	s_branch .LBB153_35
.LBB153_42:                             ;   in Loop: Header=BB153_3 Depth=1
	s_mov_b32 s3, 0
.LBB153_43:                             ;   in Loop: Header=BB153_3 Depth=1
	s_wait_alu 0xfffe
	s_and_b32 vcc_lo, exec_lo, s3
	s_wait_alu 0xfffe
	s_cbranch_vccz .LBB153_63
; %bb.44:                               ;   in Loop: Header=BB153_3 Depth=1
	s_mov_b32 s18, 0
	s_mov_b32 s3, s24
	s_branch .LBB153_46
.LBB153_45:                             ;   in Loop: Header=BB153_46 Depth=2
	s_cmp_gt_i32 s3, -1
	s_cselect_b32 s14, -1, 0
	s_add_co_i32 s15, s18, 1
	s_cmp_lt_u32 s18, 2
	s_cselect_b32 s18, -1, 0
	s_delay_alu instid0(SALU_CYCLE_1)
	s_and_b32 s14, s14, s18
	s_mov_b32 s18, s15
	s_and_not1_b32 vcc_lo, exec_lo, s14
	s_wait_alu 0xfffe
	s_cbranch_vccnz .LBB153_63
.LBB153_46:                             ;   Parent Loop BB153_3 Depth=1
                                        ; =>  This Loop Header: Depth=2
                                        ;       Child Loop BB153_49 Depth 3
                                        ;         Child Loop BB153_50 Depth 4
                                        ;         Child Loop BB153_52 Depth 4
                                        ;           Child Loop BB153_53 Depth 5
                                        ;         Child Loop BB153_57 Depth 4
                                        ;           Child Loop BB153_59 Depth 5
	s_getpc_b64 s[14:15]
	s_sext_i32_i16 s15, s15
	s_add_co_u32 s14, s14, __const._ZL38rocblas_trsm_small_left_device_sharedBILi20ELi20ELb0E19rocblas_complex_numIfES1_PKPKS1_PKPS1_Ev13rocblas_fill_18rocblas_operation_17rocblas_diagonal_iiT3_T4_lilT5_lili.step_sizes@rel32@lo+8
	s_add_co_ci_u32 s15, s15, __const._ZL38rocblas_trsm_small_left_device_sharedBILi20ELi20ELb0E19rocblas_complex_numIfES1_PKPKS1_PKPS1_Ev13rocblas_fill_18rocblas_operation_17rocblas_diagonal_iiT3_T4_lilT5_lili.step_sizes@rel32@hi+16
	s_lshl_b64 s[30:31], s[18:19], 2
	s_wait_alu 0xfffe
	s_add_nc_u64 s[14:15], s[14:15], s[30:31]
	s_load_b32 s14, s[14:15], 0x0
	s_wait_kmcnt 0x0
	s_add_co_i32 s15, s14, -1
	s_delay_alu instid0(SALU_CYCLE_1)
	s_cmp_lt_i32 s3, s15
	s_cbranch_scc1 .LBB153_45
; %bb.47:                               ;   in Loop: Header=BB153_46 Depth=2
	v_mad_co_u64_u32 v[8:9], null, 0xa0, s3, v[1:2]
	s_lshl_b32 s30, s3, 3
	s_lshl_b32 s31, s14, 3
	s_max_i32 s21, s14, 1
	s_mul_i32 s29, s14, 0xffffff60
	s_wait_alu 0xfffe
	s_add_co_i32 s30, s20, s30
	s_sub_co_i32 s31, 0, s31
	s_mul_i32 s33, s3, 0xa8
	s_mul_i32 s34, s14, 0xffffff58
	s_branch .LBB153_49
.LBB153_48:                             ;   in Loop: Header=BB153_49 Depth=3
	v_add_nc_u32_e32 v8, s29, v8
	s_sub_co_i32 s3, s3, s14
	s_add_co_i32 s30, s30, s31
	s_add_co_i32 s33, s33, s34
	s_wait_alu 0xfffe
	s_cmp_lt_i32 s3, s15
	s_cbranch_scc1 .LBB153_45
.LBB153_49:                             ;   Parent Loop BB153_3 Depth=1
                                        ;     Parent Loop BB153_46 Depth=2
                                        ; =>    This Loop Header: Depth=3
                                        ;         Child Loop BB153_50 Depth 4
                                        ;         Child Loop BB153_52 Depth 4
                                        ;           Child Loop BB153_53 Depth 5
                                        ;         Child Loop BB153_57 Depth 4
                                        ;           Child Loop BB153_59 Depth 5
	v_mov_b32_e32 v9, v8
	s_mov_b32 s35, 0
	s_mov_b32 s36, s21
.LBB153_50:                             ;   Parent Loop BB153_3 Depth=1
                                        ;     Parent Loop BB153_46 Depth=2
                                        ;       Parent Loop BB153_49 Depth=3
                                        ; =>      This Inner Loop Header: Depth=4
	ds_load_b64 v[10:11], v9
	v_add_nc_u32_e32 v9, 0xffffff60, v9
	s_wait_alu 0xfffe
	s_add_co_i32 s36, s36, -1
	s_wait_dscnt 0x0
	scratch_store_b64 off, v[10:11], s35
	s_add_co_i32 s35, s35, 8
	s_wait_alu 0xfffe
	s_cmp_eq_u32 s36, 0
	s_cbranch_scc0 .LBB153_50
; %bb.51:                               ;   in Loop: Header=BB153_49 Depth=3
	s_cmp_le_i32 s24, s3
	s_mov_b32 s35, s30
	s_mov_b32 s36, s24
	s_cbranch_scc1 .LBB153_55
.LBB153_52:                             ;   Parent Loop BB153_3 Depth=1
                                        ;     Parent Loop BB153_46 Depth=2
                                        ;       Parent Loop BB153_49 Depth=3
                                        ; =>      This Loop Header: Depth=4
                                        ;           Child Loop BB153_53 Depth 5
	s_wait_alu 0xfffe
	v_mad_co_u64_u32 v[9:10], null, 0xa0, s36, v[1:2]
	s_mov_b32 s37, s28
	s_mov_b32 s38, s35
	;; [unrolled: 1-line block ×3, first 2 shown]
	ds_load_b64 v[9:10], v9
.LBB153_53:                             ;   Parent Loop BB153_3 Depth=1
                                        ;     Parent Loop BB153_46 Depth=2
                                        ;       Parent Loop BB153_49 Depth=3
                                        ;         Parent Loop BB153_52 Depth=4
                                        ; =>        This Inner Loop Header: Depth=5
	scratch_load_b64 v[17:18], off, s37 offset:-4
	s_wait_alu 0xfffe
	v_mov_b32_e32 v11, s38
	s_add_co_i32 s39, s39, -1
	s_add_co_i32 s38, s38, -8
	ds_load_b64 v[19:20], v11
	s_wait_dscnt 0x0
	v_mul_f32_e32 v11, v20, v10
	v_mul_f32_e32 v20, v20, v9
	s_delay_alu instid0(VALU_DEP_1) | instskip(SKIP_1) | instid1(VALU_DEP_1)
	v_fmac_f32_e32 v20, v19, v10
	s_wait_loadcnt 0x0
	v_sub_f32_e32 v18, v18, v20
	v_fma_f32 v11, v19, v9, -v11
	s_delay_alu instid0(VALU_DEP_1)
	v_sub_f32_e32 v17, v17, v11
	scratch_store_b64 off, v[17:18], s37 offset:-4
	s_add_co_i32 s37, s37, 8
	s_wait_alu 0xfffe
	s_cmp_eq_u32 s39, 0
	s_cbranch_scc0 .LBB153_53
; %bb.54:                               ;   in Loop: Header=BB153_52 Depth=4
	s_add_co_i32 s36, s36, -1
	s_addk_co_i32 s35, 0xff60
	s_wait_alu 0xfffe
	s_cmp_le_i32 s36, s3
	s_cbranch_scc0 .LBB153_52
.LBB153_55:                             ;   in Loop: Header=BB153_49 Depth=3
	s_mov_b32 s35, 0
	s_mov_b32 s36, s33
	s_branch .LBB153_57
.LBB153_56:                             ;   in Loop: Header=BB153_57 Depth=4
	s_wait_alu 0xfffe
	s_mul_i32 s38, s37, 0xa8
	v_mad_co_u64_u32 v[19:20], null, 0xa0, s37, v[1:2]
	s_wait_alu 0xfffe
	v_mov_b32_e32 v11, s38
	s_lshl_b32 s38, s35, 3
	s_add_co_i32 s35, s35, 1
	s_add_co_i32 s36, s36, -8
	s_wait_alu 0xfffe
	s_cmp_eq_u32 s35, s21
	ds_load_b64 v[17:18], v11
	s_wait_loadcnt_dscnt 0x0
	v_mul_f32_e32 v21, v18, v10
	v_mul_f32_e32 v11, v17, v10
	s_delay_alu instid0(VALU_DEP_2) | instskip(NEXT) | instid1(VALU_DEP_2)
	v_fma_f32 v10, v17, v9, -v21
	v_fmac_f32_e32 v11, v18, v9
	scratch_store_b64 off, v[10:11], s38
	ds_store_b64 v19, v[10:11]
	s_cbranch_scc1 .LBB153_48
.LBB153_57:                             ;   Parent Loop BB153_3 Depth=1
                                        ;     Parent Loop BB153_46 Depth=2
                                        ;       Parent Loop BB153_49 Depth=3
                                        ; =>      This Loop Header: Depth=4
                                        ;           Child Loop BB153_59 Depth 5
	s_wait_alu 0xfffe
	s_cmp_lg_u32 s35, 0
	s_cbranch_scc0 .LBB153_61
; %bb.58:                               ;   in Loop: Header=BB153_57 Depth=4
	s_lshl_b32 s38, s35, 3
	s_sub_co_i32 s37, s3, s35
	scratch_load_b64 v[9:10], off, s38
	s_mov_b32 s39, 0
	s_mov_b32 s40, s36
	;; [unrolled: 1-line block ×3, first 2 shown]
.LBB153_59:                             ;   Parent Loop BB153_3 Depth=1
                                        ;     Parent Loop BB153_46 Depth=2
                                        ;       Parent Loop BB153_49 Depth=3
                                        ;         Parent Loop BB153_57 Depth=4
                                        ; =>        This Inner Loop Header: Depth=5
	scratch_load_b64 v[17:18], off, s39
	s_wait_alu 0xfffe
	v_mov_b32_e32 v11, s40
	s_add_co_i32 s41, s41, -1
	s_addk_co_i32 s40, 0xff60
	s_add_co_i32 s39, s39, 8
	s_wait_alu 0xfffe
	s_cmp_eq_u32 s41, 0
	ds_load_b64 v[19:20], v11
	s_wait_loadcnt_dscnt 0x0
	v_mul_f32_e32 v11, v20, v18
	v_mul_f32_e32 v18, v19, v18
	s_delay_alu instid0(VALU_DEP_2) | instskip(NEXT) | instid1(VALU_DEP_1)
	v_fma_f32 v11, v19, v17, -v11
	v_dual_fmac_f32 v18, v20, v17 :: v_dual_sub_f32 v9, v9, v11
	s_delay_alu instid0(VALU_DEP_1)
	v_sub_f32_e32 v10, v10, v18
	scratch_store_b64 off, v[9:10], s38
	s_cbranch_scc0 .LBB153_59
; %bb.60:                               ;   in Loop: Header=BB153_57 Depth=4
	s_branch .LBB153_56
.LBB153_61:                             ;   in Loop: Header=BB153_57 Depth=4
                                        ; implicit-def: $vgpr9
                                        ; implicit-def: $sgpr37
	s_cbranch_execz .LBB153_56
; %bb.62:                               ;   in Loop: Header=BB153_57 Depth=4
	scratch_load_b64 v[9:10], off, off
	s_mov_b32 s37, s3
	s_branch .LBB153_56
.LBB153_63:                             ;   in Loop: Header=BB153_3 Depth=1
	s_wait_storecnt 0x0
	; wave barrier
	s_wait_loadcnt_dscnt 0x0
	global_inv scope:SCOPE_SE
	s_and_saveexec_b32 s3, s27
	s_cbranch_execz .LBB153_2
; %bb.64:                               ;   in Loop: Header=BB153_3 Depth=1
	v_add_co_u32 v6, vcc_lo, v6, s6
	s_wait_alu 0xfffd
	v_add_co_ci_u32_e64 v7, null, s7, v7, vcc_lo
	v_mov_b32_e32 v8, v1
	s_delay_alu instid0(VALU_DEP_3) | instskip(SKIP_1) | instid1(VALU_DEP_3)
	v_add_co_u32 v6, vcc_lo, v6, s12
	s_wait_alu 0xfffd
	v_add_co_ci_u32_e64 v7, null, s13, v7, vcc_lo
	s_mov_b32 s14, s23
	v_add_co_u32 v6, vcc_lo, v6, v4
	s_wait_alu 0xfffd
	v_add_co_ci_u32_e64 v7, null, v7, v5, vcc_lo
.LBB153_65:                             ;   Parent Loop BB153_3 Depth=1
                                        ; =>  This Inner Loop Header: Depth=2
	ds_load_b64 v[9:10], v8
	v_add_nc_u32_e32 v8, 0xa0, v8
	s_add_co_i32 s14, s14, -1
	s_delay_alu instid0(SALU_CYCLE_1)
	s_cmp_lg_u32 s14, 0
	s_wait_dscnt 0x0
	flat_store_b64 v[6:7], v[9:10]
	v_add_co_u32 v6, vcc_lo, v6, 8
	s_wait_alu 0xfffd
	v_add_co_ci_u32_e64 v7, null, 0, v7, vcc_lo
	s_cbranch_scc1 .LBB153_65
	s_branch .LBB153_2
.LBB153_66:
	s_endpgm
	.section	.rodata,"a",@progbits
	.p2align	6, 0x0
	.amdhsa_kernel _ZL38rocblas_trsm_small_left_device_sharedBILi20ELi20ELb0E19rocblas_complex_numIfES1_PKPKS1_PKPS1_Ev13rocblas_fill_18rocblas_operation_17rocblas_diagonal_iiT3_T4_lilT5_lili
		.amdhsa_group_segment_fixed_size 6400
		.amdhsa_private_segment_fixed_size 176
		.amdhsa_kernarg_size 360
		.amdhsa_user_sgpr_count 2
		.amdhsa_user_sgpr_dispatch_ptr 0
		.amdhsa_user_sgpr_queue_ptr 0
		.amdhsa_user_sgpr_kernarg_segment_ptr 1
		.amdhsa_user_sgpr_dispatch_id 0
		.amdhsa_user_sgpr_private_segment_size 0
		.amdhsa_wavefront_size32 1
		.amdhsa_uses_dynamic_stack 0
		.amdhsa_enable_private_segment 1
		.amdhsa_system_sgpr_workgroup_id_x 1
		.amdhsa_system_sgpr_workgroup_id_y 0
		.amdhsa_system_sgpr_workgroup_id_z 1
		.amdhsa_system_sgpr_workgroup_info 0
		.amdhsa_system_vgpr_workitem_id 0
		.amdhsa_next_free_vgpr 241
		.amdhsa_next_free_sgpr 43
		.amdhsa_reserve_vcc 1
		.amdhsa_float_round_mode_32 0
		.amdhsa_float_round_mode_16_64 0
		.amdhsa_float_denorm_mode_32 3
		.amdhsa_float_denorm_mode_16_64 3
		.amdhsa_fp16_overflow 0
		.amdhsa_workgroup_processor_mode 1
		.amdhsa_memory_ordered 1
		.amdhsa_forward_progress 1
		.amdhsa_inst_pref_size 25
		.amdhsa_round_robin_scheduling 0
		.amdhsa_exception_fp_ieee_invalid_op 0
		.amdhsa_exception_fp_denorm_src 0
		.amdhsa_exception_fp_ieee_div_zero 0
		.amdhsa_exception_fp_ieee_overflow 0
		.amdhsa_exception_fp_ieee_underflow 0
		.amdhsa_exception_fp_ieee_inexact 0
		.amdhsa_exception_int_div_zero 0
	.end_amdhsa_kernel
	.section	.text._ZL38rocblas_trsm_small_left_device_sharedBILi20ELi20ELb0E19rocblas_complex_numIfES1_PKPKS1_PKPS1_Ev13rocblas_fill_18rocblas_operation_17rocblas_diagonal_iiT3_T4_lilT5_lili,"axG",@progbits,_ZL38rocblas_trsm_small_left_device_sharedBILi20ELi20ELb0E19rocblas_complex_numIfES1_PKPKS1_PKPS1_Ev13rocblas_fill_18rocblas_operation_17rocblas_diagonal_iiT3_T4_lilT5_lili,comdat
.Lfunc_end153:
	.size	_ZL38rocblas_trsm_small_left_device_sharedBILi20ELi20ELb0E19rocblas_complex_numIfES1_PKPKS1_PKPS1_Ev13rocblas_fill_18rocblas_operation_17rocblas_diagonal_iiT3_T4_lilT5_lili, .Lfunc_end153-_ZL38rocblas_trsm_small_left_device_sharedBILi20ELi20ELb0E19rocblas_complex_numIfES1_PKPKS1_PKPS1_Ev13rocblas_fill_18rocblas_operation_17rocblas_diagonal_iiT3_T4_lilT5_lili
                                        ; -- End function
	.set _ZL38rocblas_trsm_small_left_device_sharedBILi20ELi20ELb0E19rocblas_complex_numIfES1_PKPKS1_PKPS1_Ev13rocblas_fill_18rocblas_operation_17rocblas_diagonal_iiT3_T4_lilT5_lili.num_vgpr, 22
	.set _ZL38rocblas_trsm_small_left_device_sharedBILi20ELi20ELb0E19rocblas_complex_numIfES1_PKPKS1_PKPS1_Ev13rocblas_fill_18rocblas_operation_17rocblas_diagonal_iiT3_T4_lilT5_lili.num_agpr, 0
	.set _ZL38rocblas_trsm_small_left_device_sharedBILi20ELi20ELb0E19rocblas_complex_numIfES1_PKPKS1_PKPS1_Ev13rocblas_fill_18rocblas_operation_17rocblas_diagonal_iiT3_T4_lilT5_lili.numbered_sgpr, 43
	.set _ZL38rocblas_trsm_small_left_device_sharedBILi20ELi20ELb0E19rocblas_complex_numIfES1_PKPKS1_PKPS1_Ev13rocblas_fill_18rocblas_operation_17rocblas_diagonal_iiT3_T4_lilT5_lili.num_named_barrier, 0
	.set _ZL38rocblas_trsm_small_left_device_sharedBILi20ELi20ELb0E19rocblas_complex_numIfES1_PKPKS1_PKPS1_Ev13rocblas_fill_18rocblas_operation_17rocblas_diagonal_iiT3_T4_lilT5_lili.private_seg_size, 176
	.set _ZL38rocblas_trsm_small_left_device_sharedBILi20ELi20ELb0E19rocblas_complex_numIfES1_PKPKS1_PKPS1_Ev13rocblas_fill_18rocblas_operation_17rocblas_diagonal_iiT3_T4_lilT5_lili.uses_vcc, 1
	.set _ZL38rocblas_trsm_small_left_device_sharedBILi20ELi20ELb0E19rocblas_complex_numIfES1_PKPKS1_PKPS1_Ev13rocblas_fill_18rocblas_operation_17rocblas_diagonal_iiT3_T4_lilT5_lili.uses_flat_scratch, 0
	.set _ZL38rocblas_trsm_small_left_device_sharedBILi20ELi20ELb0E19rocblas_complex_numIfES1_PKPKS1_PKPS1_Ev13rocblas_fill_18rocblas_operation_17rocblas_diagonal_iiT3_T4_lilT5_lili.has_dyn_sized_stack, 0
	.set _ZL38rocblas_trsm_small_left_device_sharedBILi20ELi20ELb0E19rocblas_complex_numIfES1_PKPKS1_PKPS1_Ev13rocblas_fill_18rocblas_operation_17rocblas_diagonal_iiT3_T4_lilT5_lili.has_recursion, 0
	.set _ZL38rocblas_trsm_small_left_device_sharedBILi20ELi20ELb0E19rocblas_complex_numIfES1_PKPKS1_PKPS1_Ev13rocblas_fill_18rocblas_operation_17rocblas_diagonal_iiT3_T4_lilT5_lili.has_indirect_call, 0
	.section	.AMDGPU.csdata,"",@progbits
; Kernel info:
; codeLenInByte = 3100
; TotalNumSgprs: 45
; NumVgprs: 22
; ScratchSize: 176
; MemoryBound: 0
; FloatMode: 240
; IeeeMode: 1
; LDSByteSize: 6400 bytes/workgroup (compile time only)
; SGPRBlocks: 0
; VGPRBlocks: 30
; NumSGPRsForWavesPerEU: 45
; NumVGPRsForWavesPerEU: 241
; Occupancy: 5
; WaveLimiterHint : 0
; COMPUTE_PGM_RSRC2:SCRATCH_EN: 1
; COMPUTE_PGM_RSRC2:USER_SGPR: 2
; COMPUTE_PGM_RSRC2:TRAP_HANDLER: 0
; COMPUTE_PGM_RSRC2:TGID_X_EN: 1
; COMPUTE_PGM_RSRC2:TGID_Y_EN: 0
; COMPUTE_PGM_RSRC2:TGID_Z_EN: 1
; COMPUTE_PGM_RSRC2:TIDIG_COMP_CNT: 0
	.section	.text._ZL30rocblas_trsm_small_left_deviceILi20ELi20ELb0E19rocblas_complex_numIfES1_PKPKS1_PKPS1_Ev13rocblas_fill_18rocblas_operation_17rocblas_diagonal_iiT3_T4_lilT5_lili,"axG",@progbits,_ZL30rocblas_trsm_small_left_deviceILi20ELi20ELb0E19rocblas_complex_numIfES1_PKPKS1_PKPS1_Ev13rocblas_fill_18rocblas_operation_17rocblas_diagonal_iiT3_T4_lilT5_lili,comdat
	.globl	_ZL30rocblas_trsm_small_left_deviceILi20ELi20ELb0E19rocblas_complex_numIfES1_PKPKS1_PKPS1_Ev13rocblas_fill_18rocblas_operation_17rocblas_diagonal_iiT3_T4_lilT5_lili ; -- Begin function _ZL30rocblas_trsm_small_left_deviceILi20ELi20ELb0E19rocblas_complex_numIfES1_PKPKS1_PKPS1_Ev13rocblas_fill_18rocblas_operation_17rocblas_diagonal_iiT3_T4_lilT5_lili
	.p2align	8
	.type	_ZL30rocblas_trsm_small_left_deviceILi20ELi20ELb0E19rocblas_complex_numIfES1_PKPKS1_PKPS1_Ev13rocblas_fill_18rocblas_operation_17rocblas_diagonal_iiT3_T4_lilT5_lili,@function
_ZL30rocblas_trsm_small_left_deviceILi20ELi20ELb0E19rocblas_complex_numIfES1_PKPKS1_PKPS1_Ev13rocblas_fill_18rocblas_operation_17rocblas_diagonal_iiT3_T4_lilT5_lili: ; @_ZL30rocblas_trsm_small_left_deviceILi20ELi20ELb0E19rocblas_complex_numIfES1_PKPKS1_PKPS1_Ev13rocblas_fill_18rocblas_operation_17rocblas_diagonal_iiT3_T4_lilT5_lili
; %bb.0:
	s_load_b32 s26, s[0:1], 0x60
	s_lshr_b32 s2, ttmp7, 16
	s_wait_kmcnt 0x0
	s_cmp_ge_u32 s2, s26
	s_cbranch_scc1 .LBB154_63
; %bb.1:
	s_clause 0x6
	s_load_b32 s18, s[0:1], 0x30
	s_load_b128 s[12:15], s[0:1], 0x4
	s_load_b32 s3, s[0:1], 0x50
	s_load_b32 s20, s[0:1], 0x68
	s_load_b128 s[4:7], s[0:1], 0x20
	s_load_b128 s[8:11], s[0:1], 0x40
	s_load_b64 s[16:17], s[0:1], 0x14
	v_mad_co_u64_u32 v[2:3], null, ttmp9, 20, v[0:1]
	s_mul_i32 s0, ttmp9, 0xffffffec
	v_dual_mov_b32 v1, 0 :: v_dual_lshlrev_b32 v10, 3, v0
	v_mul_u32_u24_e32 v4, 0xa0, v0
	s_mov_b32 s35, 0
                                        ; implicit-def: $sgpr36
                                        ; implicit-def: $sgpr37
	s_delay_alu instid0(VALU_DEP_1)
	v_add_nc_u32_e32 v15, v10, v4
	s_wait_kmcnt 0x0
	s_ashr_i32 s19, s18, 31
	s_cmp_lg_u32 s12, 0x71
	v_mad_co_i64_i32 v[2:3], null, s3, v2, 0
	s_cselect_b32 s27, -1, 0
	s_min_i32 s28, s14, 20
	s_add_co_i32 s20, s20, -1
	s_wait_alu 0xfffe
	s_add_co_i32 s1, s15, s0
	s_add_co_i32 s29, s28, -1
	s_cmp_ge_u32 ttmp9, s20
	v_lshlrev_b64_e32 v[2:3], 3, v[2:3]
	s_wait_alu 0xfffe
	s_cselect_b32 s1, s1, 20
	s_cmp_lg_u32 s13, 0x84
	v_cmp_gt_i32_e64 s0, s28, v0
	s_cselect_b32 s30, -1, 0
	s_cmp_lg_u32 s12, 0x6f
	s_wait_alu 0xfffe
	v_cmp_gt_i32_e64 s1, s1, v0
	s_cselect_b32 s31, -1, 0
	s_lshl_b64 s[6:7], s[6:7], 3
	s_mul_i32 s34, s28, 0xa0
	v_add_co_u32 v0, s3, s6, v10
	s_wait_alu 0xf1ff
	v_add_co_ci_u32_e64 v11, null, s7, 0, s3
	s_lshl_b64 s[6:7], s[10:11], 3
	v_or_b32_e32 v12, 4, v0
	s_wait_alu 0xfffe
	v_add_co_u32 v5, vcc_lo, v2, s6
	s_delay_alu instid0(VALU_DEP_1) | instskip(SKIP_1) | instid1(VALU_DEP_3)
	v_add_co_ci_u32_e64 v13, null, s7, v3, vcc_lo
	v_mov_b32_e32 v0, 1.0
	v_or_b32_e32 v14, 4, v5
	s_or_b32 s33, 0, 4
	s_lshl_b64 s[10:11], s[18:19], 3
	s_addk_co_i32 s34, 0xff60
	s_mov_b32 s13, 0
	s_branch .LBB154_4
.LBB154_2:                              ;   in Loop: Header=BB154_4 Depth=1
	s_add_co_i32 s2, s2, 0x10000
	s_wait_alu 0xfffe
	s_cmp_ge_u32 s2, s26
	s_cselect_b32 s12, -1, 0
	s_and_not1_b32 s37, s37, exec_lo
	s_or_not1_b32 s12, s12, exec_lo
.LBB154_3:                              ;   in Loop: Header=BB154_4 Depth=1
	s_wait_alu 0xfffe
	s_or_b32 exec_lo, exec_lo, s3
	s_delay_alu instid0(SALU_CYCLE_1)
	s_and_b32 s3, exec_lo, s12
	s_wait_alu 0xfffe
	s_or_b32 s35, s3, s35
	s_and_not1_b32 s3, s36, exec_lo
	s_and_b32 s12, s37, exec_lo
	s_wait_alu 0xfffe
	s_or_b32 s36, s3, s12
	s_and_not1_b32 exec_lo, exec_lo, s35
	s_cbranch_execz .LBB154_62
.LBB154_4:                              ; =>This Loop Header: Depth=1
                                        ;     Child Loop BB154_7 Depth 2
                                        ;     Child Loop BB154_23 Depth 2
                                        ;       Child Loop BB154_26 Depth 3
                                        ;         Child Loop BB154_27 Depth 4
                                        ;         Child Loop BB154_30 Depth 4
                                        ;           Child Loop BB154_31 Depth 5
                                        ;         Child Loop BB154_35 Depth 4
                                        ;           Child Loop BB154_37 Depth 5
                                        ;     Child Loop BB154_45 Depth 2
                                        ;       Child Loop BB154_48 Depth 3
                                        ;         Child Loop BB154_49 Depth 4
                                        ;         Child Loop BB154_51 Depth 4
                                        ;           Child Loop BB154_52 Depth 5
                                        ;         Child Loop BB154_56 Depth 4
                                        ;           Child Loop BB154_58 Depth 5
	s_mov_b32 s3, s13
	s_wait_alu 0xfffe
	s_lshl_b64 s[14:15], s[2:3], 3
	s_delay_alu instid0(SALU_CYCLE_1)
	s_add_nc_u64 s[18:19], s[8:9], s[14:15]
	global_load_b64 v[4:5], v1, s[18:19]
	s_and_saveexec_b32 s3, s0
	s_cbranch_execz .LBB154_19
; %bb.5:                                ;   in Loop: Header=BB154_4 Depth=1
	s_add_nc_u64 s[14:15], s[4:5], s[14:15]
	v_mov_b32_e32 v16, v10
	global_load_b64 v[6:7], v1, s[14:15]
	s_mov_b32 s12, s28
	s_wait_loadcnt 0x0
	v_add_co_u32 v6, vcc_lo, v6, v12
	s_wait_alu 0xfffd
	v_add_co_ci_u32_e64 v7, null, v7, v11, vcc_lo
	s_branch .LBB154_7
.LBB154_6:                              ;   in Loop: Header=BB154_7 Depth=2
	flat_load_b32 v8, v[6:7] offset:-4
	v_add_co_u32 v6, vcc_lo, v6, s10
	s_wait_alu 0xfffd
	v_add_co_ci_u32_e64 v7, null, s11, v7, vcc_lo
	s_add_co_i32 s12, s12, -1
	s_delay_alu instid0(SALU_CYCLE_1)
	s_cmp_eq_u32 s12, 0
	s_wait_loadcnt_dscnt 0x0
	ds_store_b64 v16, v[8:9]
	v_add_nc_u32_e32 v16, 0xa0, v16
	s_cbranch_scc1 .LBB154_11
.LBB154_7:                              ;   Parent Loop BB154_4 Depth=1
                                        ; =>  This Inner Loop Header: Depth=2
	s_and_b32 vcc_lo, exec_lo, s27
	s_mov_b32 s14, -1
                                        ; implicit-def: $vgpr9
	s_wait_alu 0xfffe
	s_cbranch_vccz .LBB154_9
; %bb.8:                                ;   in Loop: Header=BB154_7 Depth=2
	flat_load_b32 v9, v[6:7]
	s_mov_b32 s14, 0
.LBB154_9:                              ;   in Loop: Header=BB154_7 Depth=2
	s_delay_alu instid0(SALU_CYCLE_1)
	s_and_not1_b32 vcc_lo, exec_lo, s14
	s_wait_alu 0xfffe
	s_cbranch_vccnz .LBB154_6
; %bb.10:                               ;   in Loop: Header=BB154_7 Depth=2
	flat_load_b32 v8, v[6:7]
	s_wait_loadcnt_dscnt 0x0
	v_xor_b32_e32 v9, 0x80000000, v8
	s_branch .LBB154_6
.LBB154_11:                             ;   in Loop: Header=BB154_4 Depth=1
	s_and_b32 vcc_lo, exec_lo, s30
	s_mov_b32 s12, -1
	s_wait_alu 0xfffe
	s_cbranch_vccz .LBB154_17
; %bb.12:                               ;   in Loop: Header=BB154_4 Depth=1
	ds_load_b64 v[6:7], v15
                                        ; implicit-def: $vgpr8
	s_wait_dscnt 0x0
	v_cmp_ngt_f32_e64 s12, |v6|, |v7|
	s_and_saveexec_b32 s14, s12
	s_delay_alu instid0(SALU_CYCLE_1)
	s_xor_b32 s12, exec_lo, s14
	s_cbranch_execz .LBB154_14
; %bb.13:                               ;   in Loop: Header=BB154_4 Depth=1
	v_div_scale_f32 v8, null, v7, v7, v6
	v_div_scale_f32 v17, vcc_lo, v6, v7, v6
	s_delay_alu instid0(VALU_DEP_2) | instskip(NEXT) | instid1(TRANS32_DEP_1)
	v_rcp_f32_e32 v9, v8
	v_fma_f32 v16, -v8, v9, 1.0
	s_delay_alu instid0(VALU_DEP_1) | instskip(NEXT) | instid1(VALU_DEP_1)
	v_fmac_f32_e32 v9, v16, v9
	v_mul_f32_e32 v16, v17, v9
	s_delay_alu instid0(VALU_DEP_1) | instskip(NEXT) | instid1(VALU_DEP_1)
	v_fma_f32 v18, -v8, v16, v17
	v_fmac_f32_e32 v16, v18, v9
	s_delay_alu instid0(VALU_DEP_1) | instskip(SKIP_1) | instid1(VALU_DEP_1)
	v_fma_f32 v8, -v8, v16, v17
	s_wait_alu 0xfffd
	v_div_fmas_f32 v8, v8, v9, v16
	s_delay_alu instid0(VALU_DEP_1) | instskip(NEXT) | instid1(VALU_DEP_1)
	v_div_fixup_f32 v8, v8, v7, v6
	v_fmac_f32_e32 v7, v6, v8
	s_delay_alu instid0(VALU_DEP_1) | instskip(SKIP_1) | instid1(VALU_DEP_2)
	v_div_scale_f32 v6, null, v7, v7, 1.0
	v_div_scale_f32 v17, vcc_lo, 1.0, v7, 1.0
	v_rcp_f32_e32 v9, v6
	s_delay_alu instid0(TRANS32_DEP_1) | instskip(NEXT) | instid1(VALU_DEP_1)
	v_fma_f32 v16, -v6, v9, 1.0
	v_fmac_f32_e32 v9, v16, v9
	s_delay_alu instid0(VALU_DEP_1) | instskip(NEXT) | instid1(VALU_DEP_1)
	v_mul_f32_e32 v16, v17, v9
	v_fma_f32 v18, -v6, v16, v17
	s_delay_alu instid0(VALU_DEP_1) | instskip(NEXT) | instid1(VALU_DEP_1)
	v_fmac_f32_e32 v16, v18, v9
	v_fma_f32 v6, -v6, v16, v17
	s_wait_alu 0xfffd
	s_delay_alu instid0(VALU_DEP_1) | instskip(SKIP_1) | instid1(VALU_DEP_2)
	v_div_fmas_f32 v6, v6, v9, v16
	v_add_f32_e32 v9, 0, v8
	v_div_fixup_f32 v6, v6, v7, 1.0
	v_fma_f32 v7, v8, 0, -1.0
	s_delay_alu instid0(VALU_DEP_2) | instskip(NEXT) | instid1(VALU_DEP_2)
	v_mul_f32_e32 v8, v9, v6
	v_mul_f32_e32 v9, v7, v6
                                        ; implicit-def: $vgpr6_vgpr7
.LBB154_14:                             ;   in Loop: Header=BB154_4 Depth=1
	s_and_not1_saveexec_b32 s12, s12
	s_cbranch_execz .LBB154_16
; %bb.15:                               ;   in Loop: Header=BB154_4 Depth=1
	v_div_scale_f32 v8, null, v6, v6, v7
	v_div_scale_f32 v17, vcc_lo, v7, v6, v7
	s_delay_alu instid0(VALU_DEP_2) | instskip(NEXT) | instid1(TRANS32_DEP_1)
	v_rcp_f32_e32 v9, v8
	v_fma_f32 v16, -v8, v9, 1.0
	s_delay_alu instid0(VALU_DEP_1) | instskip(NEXT) | instid1(VALU_DEP_1)
	v_fmac_f32_e32 v9, v16, v9
	v_mul_f32_e32 v16, v17, v9
	s_delay_alu instid0(VALU_DEP_1) | instskip(NEXT) | instid1(VALU_DEP_1)
	v_fma_f32 v18, -v8, v16, v17
	v_fmac_f32_e32 v16, v18, v9
	s_delay_alu instid0(VALU_DEP_1) | instskip(SKIP_1) | instid1(VALU_DEP_1)
	v_fma_f32 v8, -v8, v16, v17
	s_wait_alu 0xfffd
	v_div_fmas_f32 v8, v8, v9, v16
	s_delay_alu instid0(VALU_DEP_1) | instskip(NEXT) | instid1(VALU_DEP_1)
	v_div_fixup_f32 v9, v8, v6, v7
	v_fmac_f32_e32 v6, v7, v9
	s_delay_alu instid0(VALU_DEP_1) | instskip(SKIP_1) | instid1(VALU_DEP_2)
	v_div_scale_f32 v7, null, v6, v6, 1.0
	v_div_scale_f32 v17, vcc_lo, 1.0, v6, 1.0
	v_rcp_f32_e32 v8, v7
	s_delay_alu instid0(TRANS32_DEP_1) | instskip(NEXT) | instid1(VALU_DEP_1)
	v_fma_f32 v16, -v7, v8, 1.0
	v_fmac_f32_e32 v8, v16, v8
	s_delay_alu instid0(VALU_DEP_1) | instskip(NEXT) | instid1(VALU_DEP_1)
	v_mul_f32_e32 v16, v17, v8
	v_fma_f32 v18, -v7, v16, v17
	s_delay_alu instid0(VALU_DEP_1) | instskip(NEXT) | instid1(VALU_DEP_1)
	v_fmac_f32_e32 v16, v18, v8
	v_fma_f32 v7, -v7, v16, v17
	s_wait_alu 0xfffd
	s_delay_alu instid0(VALU_DEP_1) | instskip(SKIP_1) | instid1(VALU_DEP_2)
	v_div_fmas_f32 v7, v7, v8, v16
	v_fma_f32 v8, v9, 0, 1.0
	v_div_fixup_f32 v6, v7, v6, 1.0
	s_delay_alu instid0(VALU_DEP_1)
	v_mul_f32_e32 v8, v8, v6
	v_mul_f32_e64 v9, -v9, v6
.LBB154_16:                             ;   in Loop: Header=BB154_4 Depth=1
	s_or_b32 exec_lo, exec_lo, s12
	s_mov_b32 s12, 0
	ds_store_b64 v15, v[8:9]
.LBB154_17:                             ;   in Loop: Header=BB154_4 Depth=1
	s_and_b32 vcc_lo, exec_lo, s12
	s_wait_alu 0xfffe
	s_cbranch_vccz .LBB154_19
; %bb.18:                               ;   in Loop: Header=BB154_4 Depth=1
	ds_store_b64 v15, v[0:1]
.LBB154_19:                             ;   in Loop: Header=BB154_4 Depth=1
	s_wait_alu 0xfffe
	s_or_b32 exec_lo, exec_lo, s3
	s_mov_b32 s12, -1
	s_or_b32 s37, s37, exec_lo
	; wave barrier
	s_wait_loadcnt_dscnt 0x0
	global_inv scope:SCOPE_SE
	s_and_saveexec_b32 s3, s1
	s_cbranch_execz .LBB154_3
; %bb.20:                               ;   in Loop: Header=BB154_4 Depth=1
	v_add_co_u32 v6, vcc_lo, v4, s6
	s_wait_alu 0xfffd
	v_add_co_ci_u32_e64 v7, null, s7, v5, vcc_lo
	s_delay_alu instid0(VALU_DEP_2) | instskip(SKIP_1) | instid1(VALU_DEP_2)
	v_add_co_u32 v16, vcc_lo, v6, v2
	s_wait_alu 0xfffd
	v_add_co_ci_u32_e64 v17, null, v7, v3, vcc_lo
	s_and_not1_b32 vcc_lo, exec_lo, s31
	s_wait_alu 0xfffe
	s_cbranch_vccnz .LBB154_42
; %bb.21:                               ;   in Loop: Header=BB154_4 Depth=1
	v_add_co_u32 v18, vcc_lo, v4, v14
	s_wait_alu 0xfffd
	v_add_co_ci_u32_e64 v19, null, v5, v13, vcc_lo
	s_mov_b32 s18, 0
	s_mov_b32 s14, 0
	s_branch .LBB154_23
.LBB154_22:                             ;   in Loop: Header=BB154_23 Depth=2
	s_cmp_lt_i32 s14, s28
	s_cselect_b32 s12, -1, 0
	s_add_co_i32 s15, s18, 1
	s_cmp_lt_u32 s18, 2
	s_cselect_b32 s18, -1, 0
	s_wait_alu 0xfffe
	s_and_b32 s12, s12, s18
	s_mov_b32 s18, s15
	s_and_b32 vcc_lo, exec_lo, s12
	s_wait_alu 0xfffe
	s_cbranch_vccz .LBB154_41
.LBB154_23:                             ;   Parent Loop BB154_4 Depth=1
                                        ; =>  This Loop Header: Depth=2
                                        ;       Child Loop BB154_26 Depth 3
                                        ;         Child Loop BB154_27 Depth 4
                                        ;         Child Loop BB154_30 Depth 4
                                        ;           Child Loop BB154_31 Depth 5
                                        ;         Child Loop BB154_35 Depth 4
                                        ;           Child Loop BB154_37 Depth 5
	s_mov_b32 s19, s13
	s_getpc_b64 s[20:21]
	s_wait_alu 0xfffe
	s_sext_i32_i16 s21, s21
	s_add_co_u32 s20, s20, __const._ZL30rocblas_trsm_small_left_deviceILi20ELi20ELb0E19rocblas_complex_numIfES1_PKPKS1_PKPS1_Ev13rocblas_fill_18rocblas_operation_17rocblas_diagonal_iiT3_T4_lilT5_lili.step_sizes@rel32@lo+12
	s_wait_alu 0xfffe
	s_add_co_ci_u32 s21, s21, __const._ZL30rocblas_trsm_small_left_deviceILi20ELi20ELb0E19rocblas_complex_numIfES1_PKPKS1_PKPS1_Ev13rocblas_fill_18rocblas_operation_17rocblas_diagonal_iiT3_T4_lilT5_lili.step_sizes@rel32@hi+24
	s_lshl_b64 s[22:23], s[18:19], 2
	s_wait_alu 0xfffe
	s_add_nc_u64 s[20:21], s[20:21], s[22:23]
	s_load_b32 s20, s[20:21], 0x0
	s_wait_kmcnt 0x0
	s_add_co_i32 s19, s20, -1
	s_wait_alu 0xfffe
	s_add_co_i32 s12, s19, s14
	s_delay_alu instid0(SALU_CYCLE_1)
	s_cmp_ge_i32 s12, s28
	s_cbranch_scc1 .LBB154_22
; %bb.24:                               ;   in Loop: Header=BB154_23 Depth=2
	s_ashr_i32 s15, s14, 31
	s_ashr_i32 s21, s20, 31
	s_lshl_b64 s[22:23], s[14:15], 3
	s_max_i32 s38, s20, 1
	s_wait_alu 0xfffe
	v_add_co_u32 v6, vcc_lo, v18, s22
	s_wait_alu 0xfffd
	v_add_co_ci_u32_e64 v7, null, s23, v19, vcc_lo
	s_lshl_b64 s[22:23], s[20:21], 3
	s_mul_i32 s15, s14, 0xa0
	s_mul_i32 s21, s20, 0xa0
	;; [unrolled: 1-line block ×4, first 2 shown]
	s_branch .LBB154_26
.LBB154_25:                             ;   in Loop: Header=BB154_26 Depth=3
	v_add_co_u32 v6, vcc_lo, v6, s22
	s_add_co_i32 s14, s14, s20
	s_wait_alu 0xfffd
	v_add_co_ci_u32_e64 v7, null, s23, v7, vcc_lo
	s_add_co_i32 s12, s19, s14
	s_add_co_i32 s15, s15, s21
	;; [unrolled: 1-line block ×3, first 2 shown]
	s_cmp_ge_i32 s12, s28
	s_cbranch_scc1 .LBB154_22
.LBB154_26:                             ;   Parent Loop BB154_4 Depth=1
                                        ;     Parent Loop BB154_23 Depth=2
                                        ; =>    This Loop Header: Depth=3
                                        ;         Child Loop BB154_27 Depth 4
                                        ;         Child Loop BB154_30 Depth 4
                                        ;           Child Loop BB154_31 Depth 5
                                        ;         Child Loop BB154_35 Depth 4
                                        ;           Child Loop BB154_37 Depth 5
	v_dual_mov_b32 v9, v7 :: v_dual_mov_b32 v8, v6
	s_mov_b32 s12, 4
	s_mov_b32 s24, s38
.LBB154_27:                             ;   Parent Loop BB154_4 Depth=1
                                        ;     Parent Loop BB154_23 Depth=2
                                        ;       Parent Loop BB154_26 Depth=3
                                        ; =>      This Inner Loop Header: Depth=4
	flat_load_b64 v[20:21], v[8:9] offset:-4
	v_add_co_u32 v8, vcc_lo, v8, 8
	s_wait_alu 0xfffd
	v_add_co_ci_u32_e64 v9, null, 0, v9, vcc_lo
	s_wait_alu 0xfffe
	s_add_co_i32 s24, s24, -1
	s_mov_b32 s25, s12
	s_add_co_i32 s12, s12, 8
	s_wait_alu 0xfffe
	s_cmp_eq_u32 s24, 0
	s_wait_loadcnt_dscnt 0x0
	v_mul_f32_e32 v22, s16, v21
	s_delay_alu instid0(VALU_DEP_1) | instskip(NEXT) | instid1(VALU_DEP_1)
	v_dual_mul_f32 v23, s17, v21 :: v_dual_fmac_f32 v22, s17, v20
	v_fma_f32 v21, v20, s16, -v23
	scratch_store_b64 off, v[21:22], s25 offset:-4
	s_cbranch_scc0 .LBB154_27
; %bb.28:                               ;   in Loop: Header=BB154_26 Depth=3
	s_cmp_lt_i32 s14, 1
	s_cbranch_scc1 .LBB154_33
; %bb.29:                               ;   in Loop: Header=BB154_26 Depth=3
	s_mov_b32 s12, 0
	s_mov_b32 s24, s15
.LBB154_30:                             ;   Parent Loop BB154_4 Depth=1
                                        ;     Parent Loop BB154_23 Depth=2
                                        ;       Parent Loop BB154_26 Depth=3
                                        ; =>      This Loop Header: Depth=4
                                        ;           Child Loop BB154_31 Depth 5
	s_lshl_b64 s[42:43], s[12:13], 3
	s_mov_b32 s25, s33
	s_wait_alu 0xfffe
	v_add_co_u32 v8, vcc_lo, v16, s42
	s_wait_alu 0xfffd
	v_add_co_ci_u32_e64 v9, null, s43, v17, vcc_lo
	s_mov_b32 s41, s24
	s_mov_b32 s42, s38
	flat_load_b64 v[8:9], v[8:9]
.LBB154_31:                             ;   Parent Loop BB154_4 Depth=1
                                        ;     Parent Loop BB154_23 Depth=2
                                        ;       Parent Loop BB154_26 Depth=3
                                        ;         Parent Loop BB154_30 Depth=4
                                        ; =>        This Inner Loop Header: Depth=5
	scratch_load_b64 v[20:21], off, s25 offset:-4
	s_wait_alu 0xfffe
	v_mov_b32_e32 v22, s41
	s_add_co_i32 s42, s42, -1
	s_addk_co_i32 s41, 0xa0
	ds_load_b64 v[22:23], v22
	s_wait_loadcnt_dscnt 0x100
	v_mul_f32_e32 v24, v23, v9
	v_mul_f32_e32 v23, v23, v8
	s_delay_alu instid0(VALU_DEP_1) | instskip(SKIP_1) | instid1(VALU_DEP_1)
	v_fmac_f32_e32 v23, v22, v9
	s_wait_loadcnt 0x0
	v_sub_f32_e32 v21, v21, v23
	v_fma_f32 v24, v22, v8, -v24
	s_delay_alu instid0(VALU_DEP_1)
	v_sub_f32_e32 v20, v20, v24
	scratch_store_b64 off, v[20:21], s25 offset:-4
	s_add_co_i32 s25, s25, 8
	s_wait_alu 0xfffe
	s_cmp_eq_u32 s42, 0
	s_cbranch_scc0 .LBB154_31
; %bb.32:                               ;   in Loop: Header=BB154_30 Depth=4
	s_add_co_i32 s12, s12, 1
	s_add_co_i32 s24, s24, 8
	s_cmp_eq_u32 s12, s14
	s_cbranch_scc0 .LBB154_30
.LBB154_33:                             ;   in Loop: Header=BB154_26 Depth=3
	s_mov_b32 s12, 0
	s_mov_b32 s41, s39
	s_branch .LBB154_35
.LBB154_34:                             ;   in Loop: Header=BB154_35 Depth=4
	s_wait_alu 0xfffe
	s_mul_i32 s25, s24, 0xa8
	s_lshl_b32 s42, s12, 3
	s_wait_alu 0xfffe
	v_mov_b32_e32 v20, s25
	s_ashr_i32 s25, s24, 31
	s_add_co_i32 s12, s12, 1
	s_wait_alu 0xfffe
	s_lshl_b64 s[24:25], s[24:25], 3
	s_addk_co_i32 s41, 0xa0
	ds_load_b64 v[20:21], v20
	s_cmp_eq_u32 s12, s38
	s_wait_loadcnt_dscnt 0x0
	v_mul_f32_e32 v22, v21, v9
	v_mul_f32_e32 v23, v20, v9
	s_delay_alu instid0(VALU_DEP_2) | instskip(NEXT) | instid1(VALU_DEP_2)
	v_fma_f32 v22, v20, v8, -v22
	v_fmac_f32_e32 v23, v21, v8
	s_wait_alu 0xfffe
	v_add_co_u32 v8, vcc_lo, v16, s24
	s_wait_alu 0xfffd
	v_add_co_ci_u32_e64 v9, null, s25, v17, vcc_lo
	scratch_store_b64 off, v[22:23], s42
	flat_store_b64 v[8:9], v[22:23]
	s_cbranch_scc1 .LBB154_25
.LBB154_35:                             ;   Parent Loop BB154_4 Depth=1
                                        ;     Parent Loop BB154_23 Depth=2
                                        ;       Parent Loop BB154_26 Depth=3
                                        ; =>      This Loop Header: Depth=4
                                        ;           Child Loop BB154_37 Depth 5
	s_cmp_lg_u32 s12, 0
	s_cbranch_scc0 .LBB154_39
; %bb.36:                               ;   in Loop: Header=BB154_35 Depth=4
	s_lshl_b32 s25, s12, 3
	s_add_co_i32 s24, s12, s14
	scratch_load_b64 v[8:9], off, s25
	s_mov_b32 s42, 0
	s_wait_alu 0xfffe
	s_mov_b32 s43, s41
	s_mov_b32 s44, s12
.LBB154_37:                             ;   Parent Loop BB154_4 Depth=1
                                        ;     Parent Loop BB154_23 Depth=2
                                        ;       Parent Loop BB154_26 Depth=3
                                        ;         Parent Loop BB154_35 Depth=4
                                        ; =>        This Inner Loop Header: Depth=5
	scratch_load_b64 v[20:21], off, s42
	s_wait_alu 0xfffe
	v_mov_b32_e32 v22, s43
	s_add_co_i32 s44, s44, -1
	s_add_co_i32 s42, s42, 8
	s_add_co_i32 s43, s43, 8
	s_cmp_eq_u32 s44, 0
	ds_load_b64 v[22:23], v22
	s_wait_loadcnt_dscnt 0x0
	v_mul_f32_e32 v24, v23, v21
	v_mul_f32_e32 v21, v22, v21
	s_delay_alu instid0(VALU_DEP_2) | instskip(NEXT) | instid1(VALU_DEP_1)
	v_fma_f32 v22, v22, v20, -v24
	v_dual_sub_f32 v8, v8, v22 :: v_dual_fmac_f32 v21, v23, v20
	s_delay_alu instid0(VALU_DEP_1)
	v_sub_f32_e32 v9, v9, v21
	scratch_store_b64 off, v[8:9], s25
	s_cbranch_scc0 .LBB154_37
; %bb.38:                               ;   in Loop: Header=BB154_35 Depth=4
	s_branch .LBB154_34
.LBB154_39:                             ;   in Loop: Header=BB154_35 Depth=4
                                        ; implicit-def: $vgpr8
                                        ; implicit-def: $sgpr24
	s_cbranch_execz .LBB154_34
; %bb.40:                               ;   in Loop: Header=BB154_35 Depth=4
	scratch_load_b64 v[8:9], off, off
	s_mov_b32 s24, s14
	s_branch .LBB154_34
.LBB154_41:                             ;   in Loop: Header=BB154_4 Depth=1
	s_mov_b32 s12, 0
.LBB154_42:                             ;   in Loop: Header=BB154_4 Depth=1
	s_delay_alu instid0(SALU_CYCLE_1)
	s_and_b32 vcc_lo, exec_lo, s12
	s_wait_alu 0xfffe
	s_cbranch_vccz .LBB154_2
; %bb.43:                               ;   in Loop: Header=BB154_4 Depth=1
	v_add_co_u32 v6, vcc_lo, v4, v14
	s_wait_alu 0xfffd
	v_add_co_ci_u32_e64 v7, null, v5, v13, vcc_lo
	s_mov_b32 s12, 0
	s_mov_b32 s14, s29
	s_branch .LBB154_45
.LBB154_44:                             ;   in Loop: Header=BB154_45 Depth=2
	s_cmp_gt_i32 s14, -1
	s_cselect_b32 s15, -1, 0
	s_add_co_i32 s18, s12, 1
	s_cmp_lt_u32 s12, 2
	s_cselect_b32 s12, -1, 0
	s_delay_alu instid0(SALU_CYCLE_1) | instskip(NEXT) | instid1(SALU_CYCLE_1)
	s_and_b32 s12, s15, s12
	s_and_not1_b32 vcc_lo, exec_lo, s12
	s_wait_alu 0xfffe
	s_mov_b32 s12, s18
	s_cbranch_vccnz .LBB154_2
.LBB154_45:                             ;   Parent Loop BB154_4 Depth=1
                                        ; =>  This Loop Header: Depth=2
                                        ;       Child Loop BB154_48 Depth 3
                                        ;         Child Loop BB154_49 Depth 4
                                        ;         Child Loop BB154_51 Depth 4
                                        ;           Child Loop BB154_52 Depth 5
                                        ;         Child Loop BB154_56 Depth 4
                                        ;           Child Loop BB154_58 Depth 5
	s_getpc_b64 s[18:19]
	s_wait_alu 0xfffe
	s_sext_i32_i16 s19, s19
	s_add_co_u32 s18, s18, __const._ZL30rocblas_trsm_small_left_deviceILi20ELi20ELb0E19rocblas_complex_numIfES1_PKPKS1_PKPS1_Ev13rocblas_fill_18rocblas_operation_17rocblas_diagonal_iiT3_T4_lilT5_lili.step_sizes@rel32@lo+12
	s_wait_alu 0xfffe
	s_add_co_ci_u32 s19, s19, __const._ZL30rocblas_trsm_small_left_deviceILi20ELi20ELb0E19rocblas_complex_numIfES1_PKPKS1_PKPS1_Ev13rocblas_fill_18rocblas_operation_17rocblas_diagonal_iiT3_T4_lilT5_lili.step_sizes@rel32@hi+24
	s_lshl_b64 s[20:21], s[12:13], 2
	s_wait_alu 0xfffe
	s_add_nc_u64 s[18:19], s[18:19], s[20:21]
	s_load_b32 s22, s[18:19], 0x0
	s_wait_kmcnt 0x0
	s_add_co_i32 s23, s22, -1
	s_wait_alu 0xfffe
	s_cmp_lt_i32 s14, s23
	s_cbranch_scc1 .LBB154_44
; %bb.46:                               ;   in Loop: Header=BB154_45 Depth=2
	s_lshl_b32 s15, s14, 3
	s_lshl_b32 s18, s22, 3
	s_max_i32 s24, s22, 1
	s_add_co_i32 s25, s34, s15
	s_wait_alu 0xfffe
	s_sub_co_i32 s38, 0, s18
	s_mul_i32 s39, s14, 0xa8
	s_mul_i32 s40, s22, 0xffffff58
	s_branch .LBB154_48
.LBB154_47:                             ;   in Loop: Header=BB154_48 Depth=3
	s_sub_co_i32 s14, s14, s22
	s_add_co_i32 s25, s25, s38
	s_add_co_i32 s39, s39, s40
	s_cmp_lt_i32 s14, s23
	s_cbranch_scc1 .LBB154_44
.LBB154_48:                             ;   Parent Loop BB154_4 Depth=1
                                        ;     Parent Loop BB154_45 Depth=2
                                        ; =>    This Loop Header: Depth=3
                                        ;         Child Loop BB154_49 Depth 4
                                        ;         Child Loop BB154_51 Depth 4
                                        ;           Child Loop BB154_52 Depth 5
                                        ;         Child Loop BB154_56 Depth 4
                                        ;           Child Loop BB154_58 Depth 5
	s_ashr_i32 s15, s14, 31
	s_delay_alu instid0(SALU_CYCLE_1)
	s_lshl_b64 s[18:19], s[14:15], 3
	s_wait_alu 0xfffe
	v_add_co_u32 v4, vcc_lo, v6, s18
	s_wait_alu 0xfffd
	v_add_co_ci_u32_e64 v5, null, s19, v7, vcc_lo
	s_mov_b32 s18, 4
	s_mov_b32 s19, s24
.LBB154_49:                             ;   Parent Loop BB154_4 Depth=1
                                        ;     Parent Loop BB154_45 Depth=2
                                        ;       Parent Loop BB154_48 Depth=3
                                        ; =>      This Inner Loop Header: Depth=4
	flat_load_b64 v[8:9], v[4:5] offset:-4
	v_add_co_u32 v4, vcc_lo, v4, -8
	s_wait_alu 0xfffd
	v_add_co_ci_u32_e64 v5, null, -1, v5, vcc_lo
	s_wait_alu 0xfffe
	s_add_co_i32 s19, s19, -1
	s_mov_b32 s20, s18
	s_add_co_i32 s18, s18, 8
	s_wait_alu 0xfffe
	s_cmp_eq_u32 s19, 0
	s_wait_loadcnt_dscnt 0x0
	v_mul_f32_e32 v19, s16, v9
	s_delay_alu instid0(VALU_DEP_1) | instskip(NEXT) | instid1(VALU_DEP_1)
	v_dual_mul_f32 v18, s17, v9 :: v_dual_fmac_f32 v19, s17, v8
	v_fma_f32 v18, v8, s16, -v18
	scratch_store_b64 off, v[18:19], s20 offset:-4
	s_cbranch_scc0 .LBB154_49
; %bb.50:                               ;   in Loop: Header=BB154_48 Depth=3
	s_cmp_le_i32 s29, s14
	s_mov_b32 s20, s25
	s_mov_b32 s18, s29
	s_cbranch_scc1 .LBB154_54
.LBB154_51:                             ;   Parent Loop BB154_4 Depth=1
                                        ;     Parent Loop BB154_45 Depth=2
                                        ;       Parent Loop BB154_48 Depth=3
                                        ; =>      This Loop Header: Depth=4
                                        ;           Child Loop BB154_52 Depth 5
	s_wait_alu 0xfffe
	s_ashr_i32 s19, s18, 31
	s_mov_b32 s21, s20
	s_wait_alu 0xfffe
	s_lshl_b64 s[42:43], s[18:19], 3
	s_mov_b32 s19, s33
	s_wait_alu 0xfffe
	v_add_co_u32 v4, vcc_lo, v16, s42
	s_wait_alu 0xfffd
	v_add_co_ci_u32_e64 v5, null, s43, v17, vcc_lo
	s_mov_b32 s41, s24
	flat_load_b64 v[4:5], v[4:5]
.LBB154_52:                             ;   Parent Loop BB154_4 Depth=1
                                        ;     Parent Loop BB154_45 Depth=2
                                        ;       Parent Loop BB154_48 Depth=3
                                        ;         Parent Loop BB154_51 Depth=4
                                        ; =>        This Inner Loop Header: Depth=5
	scratch_load_b64 v[8:9], off, s19 offset:-4
	v_mov_b32_e32 v18, s21
	s_wait_alu 0xfffe
	s_add_co_i32 s41, s41, -1
	s_add_co_i32 s21, s21, -8
	ds_load_b64 v[18:19], v18
	s_wait_loadcnt_dscnt 0x100
	v_mul_f32_e32 v20, v19, v5
	v_mul_f32_e32 v19, v19, v4
	s_delay_alu instid0(VALU_DEP_1) | instskip(SKIP_1) | instid1(VALU_DEP_1)
	v_fmac_f32_e32 v19, v18, v5
	s_wait_loadcnt 0x0
	v_sub_f32_e32 v9, v9, v19
	v_fma_f32 v20, v18, v4, -v20
	s_delay_alu instid0(VALU_DEP_1)
	v_sub_f32_e32 v8, v8, v20
	scratch_store_b64 off, v[8:9], s19 offset:-4
	s_add_co_i32 s19, s19, 8
	s_wait_alu 0xfffe
	s_cmp_eq_u32 s41, 0
	s_cbranch_scc0 .LBB154_52
; %bb.53:                               ;   in Loop: Header=BB154_51 Depth=4
	s_add_co_i32 s18, s18, -1
	s_addk_co_i32 s20, 0xff60
	s_wait_alu 0xfffe
	s_cmp_le_i32 s18, s14
	s_cbranch_scc0 .LBB154_51
.LBB154_54:                             ;   in Loop: Header=BB154_48 Depth=3
	s_mov_b32 s41, 0
	s_mov_b32 s42, s39
	s_branch .LBB154_56
.LBB154_55:                             ;   in Loop: Header=BB154_56 Depth=4
	s_wait_alu 0xfffe
	s_mulk_i32 s20, 0xa8
	s_lshl_b64 s[18:19], s[18:19], 3
	s_wait_alu 0xfffe
	v_mov_b32_e32 v8, s20
	s_lshl_b32 s20, s41, 3
	s_add_co_i32 s41, s41, 1
	s_add_co_i32 s42, s42, -8
	s_wait_alu 0xfffe
	s_cmp_eq_u32 s41, s24
	ds_load_b64 v[8:9], v8
	s_wait_loadcnt_dscnt 0x0
	v_mul_f32_e32 v18, v9, v5
	v_mul_f32_e32 v19, v8, v5
	s_delay_alu instid0(VALU_DEP_2) | instskip(NEXT) | instid1(VALU_DEP_2)
	v_fma_f32 v18, v8, v4, -v18
	v_fmac_f32_e32 v19, v9, v4
	v_add_co_u32 v4, vcc_lo, v16, s18
	s_wait_alu 0xfffd
	v_add_co_ci_u32_e64 v5, null, s19, v17, vcc_lo
	scratch_store_b64 off, v[18:19], s20
	flat_store_b64 v[4:5], v[18:19]
	s_cbranch_scc1 .LBB154_47
.LBB154_56:                             ;   Parent Loop BB154_4 Depth=1
                                        ;     Parent Loop BB154_45 Depth=2
                                        ;       Parent Loop BB154_48 Depth=3
                                        ; =>      This Loop Header: Depth=4
                                        ;           Child Loop BB154_58 Depth 5
	s_wait_alu 0xfffe
	s_cmp_lg_u32 s41, 0
	s_cbranch_scc0 .LBB154_60
; %bb.57:                               ;   in Loop: Header=BB154_56 Depth=4
	s_lshl_b32 s18, s41, 3
	s_mov_b32 s19, 0
	scratch_load_b64 v[4:5], off, s18
	s_mov_b32 s20, s42
	s_mov_b32 s21, s41
.LBB154_58:                             ;   Parent Loop BB154_4 Depth=1
                                        ;     Parent Loop BB154_45 Depth=2
                                        ;       Parent Loop BB154_48 Depth=3
                                        ;         Parent Loop BB154_56 Depth=4
                                        ; =>        This Inner Loop Header: Depth=5
	scratch_load_b64 v[8:9], off, s19
	s_wait_alu 0xfffe
	v_mov_b32_e32 v18, s20
	s_add_co_i32 s21, s21, -1
	s_addk_co_i32 s20, 0xff60
	s_add_co_i32 s19, s19, 8
	s_wait_alu 0xfffe
	s_cmp_eq_u32 s21, 0
	ds_load_b64 v[18:19], v18
	s_wait_loadcnt_dscnt 0x0
	v_mul_f32_e32 v20, v19, v9
	v_mul_f32_e32 v9, v18, v9
	s_delay_alu instid0(VALU_DEP_2) | instskip(NEXT) | instid1(VALU_DEP_1)
	v_fma_f32 v18, v18, v8, -v20
	v_dual_sub_f32 v4, v4, v18 :: v_dual_fmac_f32 v9, v19, v8
	s_delay_alu instid0(VALU_DEP_1)
	v_sub_f32_e32 v5, v5, v9
	scratch_store_b64 off, v[4:5], s18
	s_cbranch_scc0 .LBB154_58
; %bb.59:                               ;   in Loop: Header=BB154_56 Depth=4
	s_sub_co_i32 s20, s14, s41
	s_wait_alu 0xfffe
	s_ashr_i32 s21, s20, 31
	s_wait_alu 0xfffe
	s_mov_b64 s[18:19], s[20:21]
	s_branch .LBB154_55
.LBB154_60:                             ;   in Loop: Header=BB154_56 Depth=4
                                        ; implicit-def: $vgpr4
                                        ; implicit-def: $sgpr20
                                        ; implicit-def: $sgpr18_sgpr19
	s_cbranch_execz .LBB154_55
; %bb.61:                               ;   in Loop: Header=BB154_56 Depth=4
	scratch_load_b64 v[4:5], off, off
	s_mov_b64 s[18:19], s[14:15]
	s_mov_b32 s20, s14
	s_branch .LBB154_55
.LBB154_62:
	s_or_b32 exec_lo, exec_lo, s35
	s_and_saveexec_b32 s0, s36
	s_wait_alu 0xfffe
	s_xor_b32 s0, exec_lo, s0
.LBB154_63:
	s_endpgm
	.section	.rodata,"a",@progbits
	.p2align	6, 0x0
	.amdhsa_kernel _ZL30rocblas_trsm_small_left_deviceILi20ELi20ELb0E19rocblas_complex_numIfES1_PKPKS1_PKPS1_Ev13rocblas_fill_18rocblas_operation_17rocblas_diagonal_iiT3_T4_lilT5_lili
		.amdhsa_group_segment_fixed_size 3200
		.amdhsa_private_segment_fixed_size 176
		.amdhsa_kernarg_size 360
		.amdhsa_user_sgpr_count 2
		.amdhsa_user_sgpr_dispatch_ptr 0
		.amdhsa_user_sgpr_queue_ptr 0
		.amdhsa_user_sgpr_kernarg_segment_ptr 1
		.amdhsa_user_sgpr_dispatch_id 0
		.amdhsa_user_sgpr_private_segment_size 0
		.amdhsa_wavefront_size32 1
		.amdhsa_uses_dynamic_stack 0
		.amdhsa_enable_private_segment 1
		.amdhsa_system_sgpr_workgroup_id_x 1
		.amdhsa_system_sgpr_workgroup_id_y 0
		.amdhsa_system_sgpr_workgroup_id_z 1
		.amdhsa_system_sgpr_workgroup_info 0
		.amdhsa_system_vgpr_workitem_id 0
		.amdhsa_next_free_vgpr 121
		.amdhsa_next_free_sgpr 45
		.amdhsa_reserve_vcc 1
		.amdhsa_float_round_mode_32 0
		.amdhsa_float_round_mode_16_64 0
		.amdhsa_float_denorm_mode_32 3
		.amdhsa_float_denorm_mode_16_64 3
		.amdhsa_fp16_overflow 0
		.amdhsa_workgroup_processor_mode 1
		.amdhsa_memory_ordered 1
		.amdhsa_forward_progress 1
		.amdhsa_inst_pref_size 25
		.amdhsa_round_robin_scheduling 0
		.amdhsa_exception_fp_ieee_invalid_op 0
		.amdhsa_exception_fp_denorm_src 0
		.amdhsa_exception_fp_ieee_div_zero 0
		.amdhsa_exception_fp_ieee_overflow 0
		.amdhsa_exception_fp_ieee_underflow 0
		.amdhsa_exception_fp_ieee_inexact 0
		.amdhsa_exception_int_div_zero 0
	.end_amdhsa_kernel
	.section	.text._ZL30rocblas_trsm_small_left_deviceILi20ELi20ELb0E19rocblas_complex_numIfES1_PKPKS1_PKPS1_Ev13rocblas_fill_18rocblas_operation_17rocblas_diagonal_iiT3_T4_lilT5_lili,"axG",@progbits,_ZL30rocblas_trsm_small_left_deviceILi20ELi20ELb0E19rocblas_complex_numIfES1_PKPKS1_PKPS1_Ev13rocblas_fill_18rocblas_operation_17rocblas_diagonal_iiT3_T4_lilT5_lili,comdat
.Lfunc_end154:
	.size	_ZL30rocblas_trsm_small_left_deviceILi20ELi20ELb0E19rocblas_complex_numIfES1_PKPKS1_PKPS1_Ev13rocblas_fill_18rocblas_operation_17rocblas_diagonal_iiT3_T4_lilT5_lili, .Lfunc_end154-_ZL30rocblas_trsm_small_left_deviceILi20ELi20ELb0E19rocblas_complex_numIfES1_PKPKS1_PKPS1_Ev13rocblas_fill_18rocblas_operation_17rocblas_diagonal_iiT3_T4_lilT5_lili
                                        ; -- End function
	.set _ZL30rocblas_trsm_small_left_deviceILi20ELi20ELb0E19rocblas_complex_numIfES1_PKPKS1_PKPS1_Ev13rocblas_fill_18rocblas_operation_17rocblas_diagonal_iiT3_T4_lilT5_lili.num_vgpr, 25
	.set _ZL30rocblas_trsm_small_left_deviceILi20ELi20ELb0E19rocblas_complex_numIfES1_PKPKS1_PKPS1_Ev13rocblas_fill_18rocblas_operation_17rocblas_diagonal_iiT3_T4_lilT5_lili.num_agpr, 0
	.set _ZL30rocblas_trsm_small_left_deviceILi20ELi20ELb0E19rocblas_complex_numIfES1_PKPKS1_PKPS1_Ev13rocblas_fill_18rocblas_operation_17rocblas_diagonal_iiT3_T4_lilT5_lili.numbered_sgpr, 45
	.set _ZL30rocblas_trsm_small_left_deviceILi20ELi20ELb0E19rocblas_complex_numIfES1_PKPKS1_PKPS1_Ev13rocblas_fill_18rocblas_operation_17rocblas_diagonal_iiT3_T4_lilT5_lili.num_named_barrier, 0
	.set _ZL30rocblas_trsm_small_left_deviceILi20ELi20ELb0E19rocblas_complex_numIfES1_PKPKS1_PKPS1_Ev13rocblas_fill_18rocblas_operation_17rocblas_diagonal_iiT3_T4_lilT5_lili.private_seg_size, 176
	.set _ZL30rocblas_trsm_small_left_deviceILi20ELi20ELb0E19rocblas_complex_numIfES1_PKPKS1_PKPS1_Ev13rocblas_fill_18rocblas_operation_17rocblas_diagonal_iiT3_T4_lilT5_lili.uses_vcc, 1
	.set _ZL30rocblas_trsm_small_left_deviceILi20ELi20ELb0E19rocblas_complex_numIfES1_PKPKS1_PKPS1_Ev13rocblas_fill_18rocblas_operation_17rocblas_diagonal_iiT3_T4_lilT5_lili.uses_flat_scratch, 0
	.set _ZL30rocblas_trsm_small_left_deviceILi20ELi20ELb0E19rocblas_complex_numIfES1_PKPKS1_PKPS1_Ev13rocblas_fill_18rocblas_operation_17rocblas_diagonal_iiT3_T4_lilT5_lili.has_dyn_sized_stack, 0
	.set _ZL30rocblas_trsm_small_left_deviceILi20ELi20ELb0E19rocblas_complex_numIfES1_PKPKS1_PKPS1_Ev13rocblas_fill_18rocblas_operation_17rocblas_diagonal_iiT3_T4_lilT5_lili.has_recursion, 0
	.set _ZL30rocblas_trsm_small_left_deviceILi20ELi20ELb0E19rocblas_complex_numIfES1_PKPKS1_PKPS1_Ev13rocblas_fill_18rocblas_operation_17rocblas_diagonal_iiT3_T4_lilT5_lili.has_indirect_call, 0
	.section	.AMDGPU.csdata,"",@progbits
; Kernel info:
; codeLenInByte = 3120
; TotalNumSgprs: 47
; NumVgprs: 25
; ScratchSize: 176
; MemoryBound: 0
; FloatMode: 240
; IeeeMode: 1
; LDSByteSize: 3200 bytes/workgroup (compile time only)
; SGPRBlocks: 0
; VGPRBlocks: 15
; NumSGPRsForWavesPerEU: 47
; NumVGPRsForWavesPerEU: 121
; Occupancy: 10
; WaveLimiterHint : 1
; COMPUTE_PGM_RSRC2:SCRATCH_EN: 1
; COMPUTE_PGM_RSRC2:USER_SGPR: 2
; COMPUTE_PGM_RSRC2:TRAP_HANDLER: 0
; COMPUTE_PGM_RSRC2:TGID_X_EN: 1
; COMPUTE_PGM_RSRC2:TGID_Y_EN: 0
; COMPUTE_PGM_RSRC2:TGID_Z_EN: 1
; COMPUTE_PGM_RSRC2:TIDIG_COMP_CNT: 0
	.section	.text._ZL38rocblas_trsm_small_left_device_sharedBILi20ELi20ELb1E19rocblas_complex_numIfES1_PKPKS1_PKPS1_Ev13rocblas_fill_18rocblas_operation_17rocblas_diagonal_iiT3_T4_lilT5_lili,"axG",@progbits,_ZL38rocblas_trsm_small_left_device_sharedBILi20ELi20ELb1E19rocblas_complex_numIfES1_PKPKS1_PKPS1_Ev13rocblas_fill_18rocblas_operation_17rocblas_diagonal_iiT3_T4_lilT5_lili,comdat
	.globl	_ZL38rocblas_trsm_small_left_device_sharedBILi20ELi20ELb1E19rocblas_complex_numIfES1_PKPKS1_PKPS1_Ev13rocblas_fill_18rocblas_operation_17rocblas_diagonal_iiT3_T4_lilT5_lili ; -- Begin function _ZL38rocblas_trsm_small_left_device_sharedBILi20ELi20ELb1E19rocblas_complex_numIfES1_PKPKS1_PKPS1_Ev13rocblas_fill_18rocblas_operation_17rocblas_diagonal_iiT3_T4_lilT5_lili
	.p2align	8
	.type	_ZL38rocblas_trsm_small_left_device_sharedBILi20ELi20ELb1E19rocblas_complex_numIfES1_PKPKS1_PKPS1_Ev13rocblas_fill_18rocblas_operation_17rocblas_diagonal_iiT3_T4_lilT5_lili,@function
_ZL38rocblas_trsm_small_left_device_sharedBILi20ELi20ELb1E19rocblas_complex_numIfES1_PKPKS1_PKPS1_Ev13rocblas_fill_18rocblas_operation_17rocblas_diagonal_iiT3_T4_lilT5_lili: ; @_ZL38rocblas_trsm_small_left_device_sharedBILi20ELi20ELb1E19rocblas_complex_numIfES1_PKPKS1_PKPS1_Ev13rocblas_fill_18rocblas_operation_17rocblas_diagonal_iiT3_T4_lilT5_lili
; %bb.0:
	s_load_b32 s22, s[0:1], 0x60
	s_lshr_b32 s2, ttmp7, 16
	s_wait_kmcnt 0x0
	s_cmp_ge_u32 s2, s22
	s_cbranch_scc1 .LBB155_66
; %bb.1:
	s_clause 0x6
	s_load_b32 s20, s[0:1], 0x30
	s_load_b32 s28, s[0:1], 0x50
	s_load_b128 s[12:15], s[0:1], 0x4
	s_load_b32 s3, s[0:1], 0x68
	s_load_b128 s[4:7], s[0:1], 0x20
	s_load_b128 s[8:11], s[0:1], 0x40
	s_load_b64 s[16:17], s[0:1], 0x14
	s_mul_i32 s0, ttmp9, 0xffffffec
	s_mul_i32 s30, ttmp9, 20
	v_lshlrev_b32_e32 v12, 3, v0
	v_mul_u32_u24_e32 v2, 0xa0, v0
	s_mov_b32 s19, 0
	s_wait_kmcnt 0x0
	s_ashr_i32 s21, s20, 31
	s_ashr_i32 s29, s28, 31
	s_cmp_lg_u32 s12, 0x71
	v_mad_co_i64_i32 v[4:5], null, s28, v0, 0
	s_cselect_b32 s1, -1, 0
	s_min_i32 s23, s14, 20
	s_add_co_i32 s3, s3, -1
	s_add_co_i32 s0, s15, s0
	s_add_co_i32 s24, s23, -1
	s_cmp_ge_u32 ttmp9, s3
	v_lshlrev_b64_e32 v[4:5], 3, v[4:5]
	s_cselect_b32 s3, s0, 20
	s_ashr_i32 s31, s30, 31
	s_cmp_lg_u32 s13, 0x84
	v_cmp_gt_i32_e64 s0, s23, v0
	s_cselect_b32 s25, -1, 0
	s_cmp_gt_i32 s14, 0
	v_cmp_gt_i32_e32 vcc_lo, s3, v0
	s_cselect_b32 s18, -1, 0
	s_cmp_lg_u32 s12, 0x6f
	s_mul_u64 s[14:15], s[28:29], s[30:31]
	s_cselect_b32 s26, -1, 0
	s_lshl_b64 s[12:13], s[30:31], 3
	s_and_b32 s27, vcc_lo, s18
	v_add_co_u32 v0, s3, s12, v12
	s_wait_alu 0xf1ff
	v_add_co_ci_u32_e64 v3, null, s13, 0, s3
	s_lshl_b64 s[12:13], s[6:7], 3
	s_lshl_b64 s[6:7], s[10:11], 3
	v_mul_lo_u32 v8, v0, s29
	v_mul_lo_u32 v9, v3, s28
	v_mad_co_u64_u32 v[6:7], null, v0, s28, s[6:7]
	v_mov_b32_e32 v3, 0
	s_wait_alu 0xfffe
	v_add_co_u32 v10, s3, s12, v12
	v_add_nc_u32_e32 v1, 0xc80, v12
	s_wait_alu 0xf1ff
	v_add_co_ci_u32_e64 v0, null, s13, 0, s3
	s_delay_alu instid0(VALU_DEP_3)
	v_or_b32_e32 v13, 4, v10
	v_add3_u32 v14, v9, v7, v8
	v_or_b32_e32 v15, 4, v6
	v_add_nc_u32_e32 v16, v12, v2
	v_mov_b32_e32 v2, 1.0
	s_lshl_b32 s3, s23, 3
	s_or_b32 s28, 0, 4
	s_lshl_b64 s[10:11], s[20:21], 3
	s_wait_alu 0xfffe
	s_add_co_i32 s20, s3, -8
	s_lshl_b64 s[12:13], s[14:15], 3
	s_branch .LBB155_3
.LBB155_2:                              ;   in Loop: Header=BB155_3 Depth=1
	s_wait_alu 0xfffe
	s_or_b32 exec_lo, exec_lo, s3
	s_add_co_i32 s2, s2, 0x10000
	s_wait_alu 0xfffe
	s_cmp_lt_u32 s2, s22
	s_cbranch_scc0 .LBB155_66
.LBB155_3:                              ; =>This Loop Header: Depth=1
                                        ;     Child Loop BB155_6 Depth 2
                                        ;     Child Loop BB155_20 Depth 2
	;; [unrolled: 1-line block ×3, first 2 shown]
                                        ;       Child Loop BB155_27 Depth 3
                                        ;         Child Loop BB155_28 Depth 4
                                        ;         Child Loop BB155_30 Depth 4
                                        ;           Child Loop BB155_31 Depth 5
                                        ;         Child Loop BB155_35 Depth 4
                                        ;           Child Loop BB155_37 Depth 5
                                        ;     Child Loop BB155_45 Depth 2
                                        ;       Child Loop BB155_48 Depth 3
                                        ;         Child Loop BB155_49 Depth 4
                                        ;         Child Loop BB155_52 Depth 4
                                        ;           Child Loop BB155_53 Depth 5
                                        ;         Child Loop BB155_57 Depth 4
                                        ;           Child Loop BB155_59 Depth 5
                                        ;     Child Loop BB155_65 Depth 2
	s_mov_b32 s3, s19
	s_wait_alu 0xfffe
	s_lshl_b64 s[14:15], s[2:3], 3
	s_delay_alu instid0(SALU_CYCLE_1)
	s_add_nc_u64 s[30:31], s[8:9], s[14:15]
	global_load_b64 v[6:7], v3, s[30:31]
	s_and_saveexec_b32 s3, s0
	s_cbranch_execz .LBB155_18
; %bb.4:                                ;   in Loop: Header=BB155_3 Depth=1
	s_add_nc_u64 s[14:15], s[4:5], s[14:15]
	v_mov_b32_e32 v17, v12
	global_load_b64 v[8:9], v3, s[14:15]
	s_mov_b32 s14, s23
	s_wait_loadcnt 0x0
	v_add_co_u32 v8, vcc_lo, v8, v13
	s_wait_alu 0xfffd
	v_add_co_ci_u32_e64 v9, null, v9, v0, vcc_lo
	s_branch .LBB155_6
.LBB155_5:                              ;   in Loop: Header=BB155_6 Depth=2
	flat_load_b32 v10, v[8:9] offset:-4
	v_add_co_u32 v8, vcc_lo, v8, s10
	s_wait_alu 0xfffd
	v_add_co_ci_u32_e64 v9, null, s11, v9, vcc_lo
	s_add_co_i32 s14, s14, -1
	s_delay_alu instid0(SALU_CYCLE_1)
	s_cmp_eq_u32 s14, 0
	s_wait_loadcnt_dscnt 0x0
	ds_store_b64 v17, v[10:11]
	v_add_nc_u32_e32 v17, 0xa0, v17
	s_cbranch_scc1 .LBB155_10
.LBB155_6:                              ;   Parent Loop BB155_3 Depth=1
                                        ; =>  This Inner Loop Header: Depth=2
	s_and_b32 vcc_lo, exec_lo, s1
	s_mov_b32 s15, -1
                                        ; implicit-def: $vgpr11
	s_wait_alu 0xfffe
	s_cbranch_vccz .LBB155_8
; %bb.7:                                ;   in Loop: Header=BB155_6 Depth=2
	flat_load_b32 v11, v[8:9]
	s_mov_b32 s15, 0
.LBB155_8:                              ;   in Loop: Header=BB155_6 Depth=2
	s_delay_alu instid0(SALU_CYCLE_1)
	s_and_not1_b32 vcc_lo, exec_lo, s15
	s_wait_alu 0xfffe
	s_cbranch_vccnz .LBB155_5
; %bb.9:                                ;   in Loop: Header=BB155_6 Depth=2
	flat_load_b32 v10, v[8:9]
	s_wait_loadcnt_dscnt 0x0
	v_xor_b32_e32 v11, 0x80000000, v10
	s_branch .LBB155_5
.LBB155_10:                             ;   in Loop: Header=BB155_3 Depth=1
	s_and_b32 vcc_lo, exec_lo, s25
	s_mov_b32 s14, -1
	s_wait_alu 0xfffe
	s_cbranch_vccz .LBB155_16
; %bb.11:                               ;   in Loop: Header=BB155_3 Depth=1
	ds_load_b64 v[8:9], v16
                                        ; implicit-def: $vgpr10
	s_wait_dscnt 0x0
	v_cmp_ngt_f32_e64 s14, |v8|, |v9|
	s_and_saveexec_b32 s15, s14
	s_delay_alu instid0(SALU_CYCLE_1)
	s_xor_b32 s14, exec_lo, s15
	s_cbranch_execz .LBB155_13
; %bb.12:                               ;   in Loop: Header=BB155_3 Depth=1
	v_div_scale_f32 v10, null, v9, v9, v8
	v_div_scale_f32 v18, vcc_lo, v8, v9, v8
	s_delay_alu instid0(VALU_DEP_2) | instskip(NEXT) | instid1(TRANS32_DEP_1)
	v_rcp_f32_e32 v11, v10
	v_fma_f32 v17, -v10, v11, 1.0
	s_delay_alu instid0(VALU_DEP_1) | instskip(NEXT) | instid1(VALU_DEP_1)
	v_fmac_f32_e32 v11, v17, v11
	v_mul_f32_e32 v17, v18, v11
	s_delay_alu instid0(VALU_DEP_1) | instskip(NEXT) | instid1(VALU_DEP_1)
	v_fma_f32 v19, -v10, v17, v18
	v_fmac_f32_e32 v17, v19, v11
	s_delay_alu instid0(VALU_DEP_1) | instskip(SKIP_1) | instid1(VALU_DEP_1)
	v_fma_f32 v10, -v10, v17, v18
	s_wait_alu 0xfffd
	v_div_fmas_f32 v10, v10, v11, v17
	s_delay_alu instid0(VALU_DEP_1) | instskip(NEXT) | instid1(VALU_DEP_1)
	v_div_fixup_f32 v10, v10, v9, v8
	v_fmac_f32_e32 v9, v8, v10
	s_delay_alu instid0(VALU_DEP_1) | instskip(SKIP_1) | instid1(VALU_DEP_2)
	v_div_scale_f32 v8, null, v9, v9, 1.0
	v_div_scale_f32 v18, vcc_lo, 1.0, v9, 1.0
	v_rcp_f32_e32 v11, v8
	s_delay_alu instid0(TRANS32_DEP_1) | instskip(NEXT) | instid1(VALU_DEP_1)
	v_fma_f32 v17, -v8, v11, 1.0
	v_fmac_f32_e32 v11, v17, v11
	s_delay_alu instid0(VALU_DEP_1) | instskip(NEXT) | instid1(VALU_DEP_1)
	v_mul_f32_e32 v17, v18, v11
	v_fma_f32 v19, -v8, v17, v18
	s_delay_alu instid0(VALU_DEP_1) | instskip(NEXT) | instid1(VALU_DEP_1)
	v_fmac_f32_e32 v17, v19, v11
	v_fma_f32 v8, -v8, v17, v18
	s_wait_alu 0xfffd
	s_delay_alu instid0(VALU_DEP_1) | instskip(SKIP_1) | instid1(VALU_DEP_2)
	v_div_fmas_f32 v8, v8, v11, v17
	v_add_f32_e32 v11, 0, v10
	v_div_fixup_f32 v8, v8, v9, 1.0
	v_fma_f32 v9, v10, 0, -1.0
	s_delay_alu instid0(VALU_DEP_2) | instskip(NEXT) | instid1(VALU_DEP_2)
	v_mul_f32_e32 v10, v11, v8
	v_mul_f32_e32 v11, v9, v8
                                        ; implicit-def: $vgpr8_vgpr9
.LBB155_13:                             ;   in Loop: Header=BB155_3 Depth=1
	s_and_not1_saveexec_b32 s14, s14
	s_cbranch_execz .LBB155_15
; %bb.14:                               ;   in Loop: Header=BB155_3 Depth=1
	v_div_scale_f32 v10, null, v8, v8, v9
	v_div_scale_f32 v18, vcc_lo, v9, v8, v9
	s_delay_alu instid0(VALU_DEP_2) | instskip(NEXT) | instid1(TRANS32_DEP_1)
	v_rcp_f32_e32 v11, v10
	v_fma_f32 v17, -v10, v11, 1.0
	s_delay_alu instid0(VALU_DEP_1) | instskip(NEXT) | instid1(VALU_DEP_1)
	v_fmac_f32_e32 v11, v17, v11
	v_mul_f32_e32 v17, v18, v11
	s_delay_alu instid0(VALU_DEP_1) | instskip(NEXT) | instid1(VALU_DEP_1)
	v_fma_f32 v19, -v10, v17, v18
	v_fmac_f32_e32 v17, v19, v11
	s_delay_alu instid0(VALU_DEP_1) | instskip(SKIP_1) | instid1(VALU_DEP_1)
	v_fma_f32 v10, -v10, v17, v18
	s_wait_alu 0xfffd
	v_div_fmas_f32 v10, v10, v11, v17
	s_delay_alu instid0(VALU_DEP_1) | instskip(NEXT) | instid1(VALU_DEP_1)
	v_div_fixup_f32 v11, v10, v8, v9
	v_fmac_f32_e32 v8, v9, v11
	s_delay_alu instid0(VALU_DEP_1) | instskip(SKIP_1) | instid1(VALU_DEP_2)
	v_div_scale_f32 v9, null, v8, v8, 1.0
	v_div_scale_f32 v18, vcc_lo, 1.0, v8, 1.0
	v_rcp_f32_e32 v10, v9
	s_delay_alu instid0(TRANS32_DEP_1) | instskip(NEXT) | instid1(VALU_DEP_1)
	v_fma_f32 v17, -v9, v10, 1.0
	v_fmac_f32_e32 v10, v17, v10
	s_delay_alu instid0(VALU_DEP_1) | instskip(NEXT) | instid1(VALU_DEP_1)
	v_mul_f32_e32 v17, v18, v10
	v_fma_f32 v19, -v9, v17, v18
	s_delay_alu instid0(VALU_DEP_1) | instskip(NEXT) | instid1(VALU_DEP_1)
	v_fmac_f32_e32 v17, v19, v10
	v_fma_f32 v9, -v9, v17, v18
	s_wait_alu 0xfffd
	s_delay_alu instid0(VALU_DEP_1) | instskip(SKIP_1) | instid1(VALU_DEP_2)
	v_div_fmas_f32 v9, v9, v10, v17
	v_fma_f32 v10, v11, 0, 1.0
	v_div_fixup_f32 v8, v9, v8, 1.0
	s_delay_alu instid0(VALU_DEP_1)
	v_mul_f32_e32 v10, v10, v8
	v_mul_f32_e64 v11, -v11, v8
.LBB155_15:                             ;   in Loop: Header=BB155_3 Depth=1
	s_or_b32 exec_lo, exec_lo, s14
	s_mov_b32 s14, 0
	ds_store_b64 v16, v[10:11]
.LBB155_16:                             ;   in Loop: Header=BB155_3 Depth=1
	s_and_b32 vcc_lo, exec_lo, s14
	s_wait_alu 0xfffe
	s_cbranch_vccz .LBB155_18
; %bb.17:                               ;   in Loop: Header=BB155_3 Depth=1
	ds_store_b64 v16, v[2:3]
.LBB155_18:                             ;   in Loop: Header=BB155_3 Depth=1
	s_wait_alu 0xfffe
	s_or_b32 exec_lo, exec_lo, s3
	s_and_saveexec_b32 s3, s27
	s_cbranch_execz .LBB155_21
; %bb.19:                               ;   in Loop: Header=BB155_3 Depth=1
	s_wait_loadcnt 0x0
	v_add_co_u32 v8, vcc_lo, v6, v15
	s_wait_alu 0xfffd
	v_add_co_ci_u32_e64 v9, null, v7, v14, vcc_lo
	v_mov_b32_e32 v10, v1
	s_mov_b32 s14, s23
.LBB155_20:                             ;   Parent Loop BB155_3 Depth=1
                                        ; =>  This Inner Loop Header: Depth=2
	flat_load_b64 v[17:18], v[8:9] offset:-4
	v_add_co_u32 v8, vcc_lo, v8, 8
	s_wait_alu 0xfffd
	v_add_co_ci_u32_e64 v9, null, 0, v9, vcc_lo
	s_add_co_i32 s14, s14, -1
	s_delay_alu instid0(SALU_CYCLE_1) | instskip(SKIP_3) | instid1(VALU_DEP_2)
	s_cmp_lg_u32 s14, 0
	s_wait_loadcnt_dscnt 0x0
	v_mul_f32_e32 v11, s17, v18
	v_mul_f32_e32 v19, s16, v18
	v_fma_f32 v18, s16, v17, -v11
	s_delay_alu instid0(VALU_DEP_2)
	v_fmac_f32_e32 v19, s17, v17
	ds_store_b64 v10, v[18:19]
	v_add_nc_u32_e32 v10, 0xa0, v10
	s_cbranch_scc1 .LBB155_20
.LBB155_21:                             ;   in Loop: Header=BB155_3 Depth=1
	s_wait_alu 0xfffe
	s_or_b32 exec_lo, exec_lo, s3
	s_delay_alu instid0(SALU_CYCLE_1)
	s_and_not1_b32 vcc_lo, exec_lo, s26
	s_mov_b32 s3, -1
	; wave barrier
	s_wait_loadcnt_dscnt 0x0
	global_inv scope:SCOPE_SE
	s_wait_alu 0xfffe
	s_cbranch_vccnz .LBB155_42
; %bb.22:                               ;   in Loop: Header=BB155_3 Depth=1
	s_mov_b32 s18, 0
	s_mov_b32 s3, s24
	s_branch .LBB155_24
.LBB155_23:                             ;   in Loop: Header=BB155_24 Depth=2
	s_cmp_gt_i32 s3, -1
	s_cselect_b32 s14, -1, 0
	s_add_co_i32 s15, s18, 1
	s_cmp_lt_u32 s18, 2
	s_cselect_b32 s18, -1, 0
	s_delay_alu instid0(SALU_CYCLE_1)
	s_and_b32 s14, s14, s18
	s_mov_b32 s18, s15
	s_and_b32 vcc_lo, exec_lo, s14
	s_wait_alu 0xfffe
	s_cbranch_vccz .LBB155_41
.LBB155_24:                             ;   Parent Loop BB155_3 Depth=1
                                        ; =>  This Loop Header: Depth=2
                                        ;       Child Loop BB155_27 Depth 3
                                        ;         Child Loop BB155_28 Depth 4
                                        ;         Child Loop BB155_30 Depth 4
                                        ;           Child Loop BB155_31 Depth 5
                                        ;         Child Loop BB155_35 Depth 4
                                        ;           Child Loop BB155_37 Depth 5
	s_getpc_b64 s[14:15]
	s_sext_i32_i16 s15, s15
	s_add_co_u32 s14, s14, __const._ZL38rocblas_trsm_small_left_device_sharedBILi20ELi20ELb1E19rocblas_complex_numIfES1_PKPKS1_PKPS1_Ev13rocblas_fill_18rocblas_operation_17rocblas_diagonal_iiT3_T4_lilT5_lili.step_sizes@rel32@lo+8
	s_add_co_ci_u32 s15, s15, __const._ZL38rocblas_trsm_small_left_device_sharedBILi20ELi20ELb1E19rocblas_complex_numIfES1_PKPKS1_PKPS1_Ev13rocblas_fill_18rocblas_operation_17rocblas_diagonal_iiT3_T4_lilT5_lili.step_sizes@rel32@hi+16
	s_lshl_b64 s[30:31], s[18:19], 2
	s_wait_alu 0xfffe
	s_add_nc_u64 s[14:15], s[14:15], s[30:31]
	s_load_b32 s14, s[14:15], 0x0
	s_wait_kmcnt 0x0
	s_add_co_i32 s15, s14, -1
	s_delay_alu instid0(SALU_CYCLE_1)
	s_cmp_lt_i32 s3, s15
	s_cbranch_scc1 .LBB155_23
; %bb.25:                               ;   in Loop: Header=BB155_24 Depth=2
	s_mul_i32 s30, s3, 0xa0
	s_max_i32 s21, s14, 1
	s_wait_alu 0xfffe
	v_add_nc_u32_e32 v10, s30, v1
	s_mul_i32 s29, s14, 0xffffff60
	s_add_co_i32 s30, s20, s30
	s_mul_i32 s31, s3, 0xa8
	s_mul_i32 s33, s14, 0xffffff58
	s_branch .LBB155_27
.LBB155_26:                             ;   in Loop: Header=BB155_27 Depth=3
	v_add_nc_u32_e32 v10, s29, v10
	s_sub_co_i32 s3, s3, s14
	s_add_co_i32 s30, s30, s29
	s_add_co_i32 s31, s31, s33
	s_wait_alu 0xfffe
	s_cmp_lt_i32 s3, s15
	s_cbranch_scc1 .LBB155_23
.LBB155_27:                             ;   Parent Loop BB155_3 Depth=1
                                        ;     Parent Loop BB155_24 Depth=2
                                        ; =>    This Loop Header: Depth=3
                                        ;         Child Loop BB155_28 Depth 4
                                        ;         Child Loop BB155_30 Depth 4
                                        ;           Child Loop BB155_31 Depth 5
                                        ;         Child Loop BB155_35 Depth 4
                                        ;           Child Loop BB155_37 Depth 5
	v_mov_b32_e32 v8, v10
	s_mov_b32 s34, 0
	s_mov_b32 s35, s21
.LBB155_28:                             ;   Parent Loop BB155_3 Depth=1
                                        ;     Parent Loop BB155_24 Depth=2
                                        ;       Parent Loop BB155_27 Depth=3
                                        ; =>      This Inner Loop Header: Depth=4
	ds_load_b64 v[17:18], v8
	v_add_nc_u32_e32 v8, 0xffffff60, v8
	s_wait_alu 0xfffe
	s_add_co_i32 s35, s35, -1
	s_wait_dscnt 0x0
	scratch_store_b64 off, v[17:18], s34
	s_add_co_i32 s34, s34, 8
	s_wait_alu 0xfffe
	s_cmp_eq_u32 s35, 0
	s_cbranch_scc0 .LBB155_28
; %bb.29:                               ;   in Loop: Header=BB155_27 Depth=3
	s_cmp_le_i32 s24, s3
	s_mov_b32 s34, s30
	s_mov_b32 s35, s24
	s_cbranch_scc1 .LBB155_33
.LBB155_30:                             ;   Parent Loop BB155_3 Depth=1
                                        ;     Parent Loop BB155_24 Depth=2
                                        ;       Parent Loop BB155_27 Depth=3
                                        ; =>      This Loop Header: Depth=4
                                        ;           Child Loop BB155_31 Depth 5
	s_wait_alu 0xfffe
	v_mad_co_u64_u32 v[8:9], null, 0xa0, s35, v[1:2]
	s_mov_b32 s36, s28
	s_mov_b32 s37, s34
	;; [unrolled: 1-line block ×3, first 2 shown]
	ds_load_b64 v[8:9], v8
.LBB155_31:                             ;   Parent Loop BB155_3 Depth=1
                                        ;     Parent Loop BB155_24 Depth=2
                                        ;       Parent Loop BB155_27 Depth=3
                                        ;         Parent Loop BB155_30 Depth=4
                                        ; =>        This Inner Loop Header: Depth=5
	scratch_load_b64 v[17:18], off, s36 offset:-4
	s_wait_alu 0xfffe
	v_mov_b32_e32 v11, s37
	s_add_co_i32 s38, s38, -1
	s_addk_co_i32 s37, 0xff60
	ds_load_b64 v[19:20], v11
	s_wait_dscnt 0x0
	v_mul_f32_e32 v11, v20, v9
	v_mul_f32_e32 v20, v20, v8
	s_delay_alu instid0(VALU_DEP_1) | instskip(SKIP_1) | instid1(VALU_DEP_1)
	v_fmac_f32_e32 v20, v19, v9
	s_wait_loadcnt 0x0
	v_sub_f32_e32 v18, v18, v20
	v_fma_f32 v11, v19, v8, -v11
	s_delay_alu instid0(VALU_DEP_1)
	v_sub_f32_e32 v17, v17, v11
	scratch_store_b64 off, v[17:18], s36 offset:-4
	s_add_co_i32 s36, s36, 8
	s_wait_alu 0xfffe
	s_cmp_eq_u32 s38, 0
	s_cbranch_scc0 .LBB155_31
; %bb.32:                               ;   in Loop: Header=BB155_30 Depth=4
	s_add_co_i32 s35, s35, -1
	s_add_co_i32 s34, s34, -8
	s_wait_alu 0xfffe
	s_cmp_le_i32 s35, s3
	s_cbranch_scc0 .LBB155_30
.LBB155_33:                             ;   in Loop: Header=BB155_27 Depth=3
	s_mul_i32 s34, s3, 0xa0
	s_mov_b32 s35, 0
	s_mov_b32 s36, s31
	s_branch .LBB155_35
.LBB155_34:                             ;   in Loop: Header=BB155_35 Depth=4
	s_wait_alu 0xfffe
	s_mulk_i32 s38, 0xa8
	s_addk_co_i32 s36, 0xff60
	s_wait_alu 0xfffe
	v_mov_b32_e32 v11, s38
	s_lshl_b32 s38, s35, 3
	s_add_co_i32 s35, s35, 1
	s_wait_alu 0xfffe
	s_cmp_eq_u32 s35, s21
	ds_load_b64 v[17:18], v11
	s_wait_loadcnt_dscnt 0x0
	v_mul_f32_e32 v11, v18, v9
	v_mul_f32_e32 v20, v17, v9
	v_add_nc_u32_e32 v9, s37, v1
	s_delay_alu instid0(VALU_DEP_3) | instskip(NEXT) | instid1(VALU_DEP_3)
	v_fma_f32 v19, v17, v8, -v11
	v_fmac_f32_e32 v20, v18, v8
	scratch_store_b64 off, v[19:20], s38
	ds_store_b64 v9, v[19:20]
	s_cbranch_scc1 .LBB155_26
.LBB155_35:                             ;   Parent Loop BB155_3 Depth=1
                                        ;     Parent Loop BB155_24 Depth=2
                                        ;       Parent Loop BB155_27 Depth=3
                                        ; =>      This Loop Header: Depth=4
                                        ;           Child Loop BB155_37 Depth 5
	s_wait_alu 0xfffe
	s_cmp_lg_u32 s35, 0
	s_cbranch_scc0 .LBB155_39
; %bb.36:                               ;   in Loop: Header=BB155_35 Depth=4
	s_lshl_b32 s39, s35, 3
	s_sub_co_i32 s38, s3, s35
	scratch_load_b64 v[8:9], off, s39
	s_wait_alu 0xfffe
	s_mul_i32 s37, s38, 0xa0
	s_mov_b32 s40, 0
	s_mov_b32 s41, s36
	;; [unrolled: 1-line block ×3, first 2 shown]
.LBB155_37:                             ;   Parent Loop BB155_3 Depth=1
                                        ;     Parent Loop BB155_24 Depth=2
                                        ;       Parent Loop BB155_27 Depth=3
                                        ;         Parent Loop BB155_35 Depth=4
                                        ; =>        This Inner Loop Header: Depth=5
	scratch_load_b64 v[17:18], off, s40
	s_wait_alu 0xfffe
	v_mov_b32_e32 v11, s41
	s_add_co_i32 s42, s42, -1
	s_add_co_i32 s41, s41, -8
	s_add_co_i32 s40, s40, 8
	s_cmp_eq_u32 s42, 0
	ds_load_b64 v[19:20], v11
	s_wait_loadcnt_dscnt 0x0
	v_mul_f32_e32 v11, v20, v18
	v_mul_f32_e32 v18, v19, v18
	s_delay_alu instid0(VALU_DEP_2) | instskip(NEXT) | instid1(VALU_DEP_2)
	v_fma_f32 v11, v19, v17, -v11
	v_fmac_f32_e32 v18, v20, v17
	s_delay_alu instid0(VALU_DEP_1)
	v_dual_sub_f32 v8, v8, v11 :: v_dual_sub_f32 v9, v9, v18
	scratch_store_b64 off, v[8:9], s39
	s_cbranch_scc0 .LBB155_37
; %bb.38:                               ;   in Loop: Header=BB155_35 Depth=4
	s_branch .LBB155_34
.LBB155_39:                             ;   in Loop: Header=BB155_35 Depth=4
                                        ; implicit-def: $vgpr8
                                        ; implicit-def: $sgpr38
                                        ; implicit-def: $sgpr37
	s_cbranch_execz .LBB155_34
; %bb.40:                               ;   in Loop: Header=BB155_35 Depth=4
	scratch_load_b64 v[8:9], off, off
	s_mov_b32 s37, s34
	s_mov_b32 s38, s3
	s_branch .LBB155_34
.LBB155_41:                             ;   in Loop: Header=BB155_3 Depth=1
	s_mov_b32 s3, 0
.LBB155_42:                             ;   in Loop: Header=BB155_3 Depth=1
	s_wait_alu 0xfffe
	s_and_b32 vcc_lo, exec_lo, s3
	s_wait_alu 0xfffe
	s_cbranch_vccz .LBB155_63
; %bb.43:                               ;   in Loop: Header=BB155_3 Depth=1
	s_mov_b32 s18, 0
	s_delay_alu instid0(SALU_CYCLE_1)
	s_mov_b32 s3, s18
	s_branch .LBB155_45
.LBB155_44:                             ;   in Loop: Header=BB155_45 Depth=2
	s_cmp_lt_i32 s3, s23
	s_cselect_b32 s14, -1, 0
	s_add_co_i32 s15, s18, 1
	s_cmp_lt_u32 s18, 2
	s_cselect_b32 s18, -1, 0
	s_delay_alu instid0(SALU_CYCLE_1)
	s_and_b32 s14, s14, s18
	s_mov_b32 s18, s15
	s_and_not1_b32 vcc_lo, exec_lo, s14
	s_wait_alu 0xfffe
	s_cbranch_vccnz .LBB155_63
.LBB155_45:                             ;   Parent Loop BB155_3 Depth=1
                                        ; =>  This Loop Header: Depth=2
                                        ;       Child Loop BB155_48 Depth 3
                                        ;         Child Loop BB155_49 Depth 4
                                        ;         Child Loop BB155_52 Depth 4
                                        ;           Child Loop BB155_53 Depth 5
                                        ;         Child Loop BB155_57 Depth 4
                                        ;           Child Loop BB155_59 Depth 5
	s_getpc_b64 s[14:15]
	s_sext_i32_i16 s15, s15
	s_add_co_u32 s14, s14, __const._ZL38rocblas_trsm_small_left_device_sharedBILi20ELi20ELb1E19rocblas_complex_numIfES1_PKPKS1_PKPS1_Ev13rocblas_fill_18rocblas_operation_17rocblas_diagonal_iiT3_T4_lilT5_lili.step_sizes@rel32@lo+8
	s_add_co_ci_u32 s15, s15, __const._ZL38rocblas_trsm_small_left_device_sharedBILi20ELi20ELb1E19rocblas_complex_numIfES1_PKPKS1_PKPS1_Ev13rocblas_fill_18rocblas_operation_17rocblas_diagonal_iiT3_T4_lilT5_lili.step_sizes@rel32@hi+16
	s_lshl_b64 s[30:31], s[18:19], 2
	s_wait_alu 0xfffe
	s_add_nc_u64 s[14:15], s[14:15], s[30:31]
	s_load_b32 s14, s[14:15], 0x0
	s_wait_kmcnt 0x0
	s_add_co_i32 s15, s14, -1
	s_delay_alu instid0(SALU_CYCLE_1) | instskip(NEXT) | instid1(SALU_CYCLE_1)
	s_add_co_i32 s21, s15, s3
	s_cmp_ge_i32 s21, s23
	s_cbranch_scc1 .LBB155_44
; %bb.46:                               ;   in Loop: Header=BB155_45 Depth=2
	v_mad_co_u64_u32 v[8:9], null, 0xa0, s3, v[1:2]
	s_max_i32 s21, s14, 1
	s_mul_i32 s29, s14, 0xa0
	s_lshl_b32 s30, s3, 3
	s_lshl_b32 s31, s14, 3
	s_mul_i32 s33, s3, 0xa8
	s_mul_i32 s34, s14, 0xa8
	s_branch .LBB155_48
.LBB155_47:                             ;   in Loop: Header=BB155_48 Depth=3
	s_add_co_i32 s3, s3, s14
	v_add_nc_u32_e32 v8, s29, v8
	s_wait_alu 0xfffe
	s_add_co_i32 s35, s15, s3
	s_add_co_i32 s30, s30, s31
	;; [unrolled: 1-line block ×3, first 2 shown]
	s_wait_alu 0xfffe
	s_cmp_ge_i32 s35, s23
	s_cbranch_scc1 .LBB155_44
.LBB155_48:                             ;   Parent Loop BB155_3 Depth=1
                                        ;     Parent Loop BB155_45 Depth=2
                                        ; =>    This Loop Header: Depth=3
                                        ;         Child Loop BB155_49 Depth 4
                                        ;         Child Loop BB155_52 Depth 4
                                        ;           Child Loop BB155_53 Depth 5
                                        ;         Child Loop BB155_57 Depth 4
                                        ;           Child Loop BB155_59 Depth 5
	v_mov_b32_e32 v9, v8
	s_mov_b32 s35, 0
	s_mov_b32 s36, s21
.LBB155_49:                             ;   Parent Loop BB155_3 Depth=1
                                        ;     Parent Loop BB155_45 Depth=2
                                        ;       Parent Loop BB155_48 Depth=3
                                        ; =>      This Inner Loop Header: Depth=4
	ds_load_b64 v[10:11], v9
	v_add_nc_u32_e32 v9, 0xa0, v9
	s_wait_alu 0xfffe
	s_add_co_i32 s36, s36, -1
	s_wait_dscnt 0x0
	scratch_store_b64 off, v[10:11], s35
	s_add_co_i32 s35, s35, 8
	s_wait_alu 0xfffe
	s_cmp_eq_u32 s36, 0
	s_cbranch_scc0 .LBB155_49
; %bb.50:                               ;   in Loop: Header=BB155_48 Depth=3
	s_cmp_lt_i32 s3, 1
	s_cbranch_scc1 .LBB155_55
; %bb.51:                               ;   in Loop: Header=BB155_48 Depth=3
	s_mov_b32 s35, 0
	s_mov_b32 s36, s30
.LBB155_52:                             ;   Parent Loop BB155_3 Depth=1
                                        ;     Parent Loop BB155_45 Depth=2
                                        ;       Parent Loop BB155_48 Depth=3
                                        ; =>      This Loop Header: Depth=4
                                        ;           Child Loop BB155_53 Depth 5
	s_wait_alu 0xfffe
	v_mad_co_u64_u32 v[9:10], null, 0xa0, s35, v[1:2]
	s_mov_b32 s37, s28
	s_mov_b32 s38, s36
	;; [unrolled: 1-line block ×3, first 2 shown]
	ds_load_b64 v[9:10], v9
.LBB155_53:                             ;   Parent Loop BB155_3 Depth=1
                                        ;     Parent Loop BB155_45 Depth=2
                                        ;       Parent Loop BB155_48 Depth=3
                                        ;         Parent Loop BB155_52 Depth=4
                                        ; =>        This Inner Loop Header: Depth=5
	scratch_load_b64 v[17:18], off, s37 offset:-4
	s_wait_alu 0xfffe
	v_mov_b32_e32 v11, s38
	s_add_co_i32 s39, s39, -1
	s_add_co_i32 s38, s38, 8
	ds_load_b64 v[19:20], v11
	s_wait_dscnt 0x0
	v_mul_f32_e32 v11, v20, v10
	v_mul_f32_e32 v20, v20, v9
	s_delay_alu instid0(VALU_DEP_1) | instskip(SKIP_1) | instid1(VALU_DEP_1)
	v_fmac_f32_e32 v20, v19, v10
	s_wait_loadcnt 0x0
	v_sub_f32_e32 v18, v18, v20
	v_fma_f32 v11, v19, v9, -v11
	s_delay_alu instid0(VALU_DEP_1)
	v_sub_f32_e32 v17, v17, v11
	scratch_store_b64 off, v[17:18], s37 offset:-4
	s_add_co_i32 s37, s37, 8
	s_wait_alu 0xfffe
	s_cmp_eq_u32 s39, 0
	s_cbranch_scc0 .LBB155_53
; %bb.54:                               ;   in Loop: Header=BB155_52 Depth=4
	s_add_co_i32 s35, s35, 1
	s_addk_co_i32 s36, 0xa0
	s_wait_alu 0xfffe
	s_cmp_eq_u32 s35, s3
	s_cbranch_scc0 .LBB155_52
.LBB155_55:                             ;   in Loop: Header=BB155_48 Depth=3
	s_mov_b32 s35, 0
	s_mov_b32 s36, s33
	s_branch .LBB155_57
.LBB155_56:                             ;   in Loop: Header=BB155_57 Depth=4
	s_add_co_i32 s37, s35, s3
	s_add_co_i32 s36, s36, 8
	s_wait_alu 0xfffe
	s_mul_i32 s38, s37, 0xa8
	v_mad_co_u64_u32 v[19:20], null, 0xa0, s37, v[1:2]
	s_wait_alu 0xfffe
	v_mov_b32_e32 v11, s38
	s_lshl_b32 s38, s35, 3
	s_add_co_i32 s35, s35, 1
	s_wait_alu 0xfffe
	s_cmp_eq_u32 s35, s21
	ds_load_b64 v[17:18], v11
	s_wait_loadcnt_dscnt 0x0
	v_mul_f32_e32 v21, v18, v10
	v_mul_f32_e32 v11, v17, v10
	s_delay_alu instid0(VALU_DEP_2) | instskip(NEXT) | instid1(VALU_DEP_2)
	v_fma_f32 v10, v17, v9, -v21
	v_fmac_f32_e32 v11, v18, v9
	scratch_store_b64 off, v[10:11], s38
	ds_store_b64 v19, v[10:11]
	s_cbranch_scc1 .LBB155_47
.LBB155_57:                             ;   Parent Loop BB155_3 Depth=1
                                        ;     Parent Loop BB155_45 Depth=2
                                        ;       Parent Loop BB155_48 Depth=3
                                        ; =>      This Loop Header: Depth=4
                                        ;           Child Loop BB155_59 Depth 5
	s_wait_alu 0xfffe
	s_cmp_lg_u32 s35, 0
	s_cbranch_scc0 .LBB155_61
; %bb.58:                               ;   in Loop: Header=BB155_57 Depth=4
	s_lshl_b32 s37, s35, 3
	s_mov_b32 s38, 0
	scratch_load_b64 v[9:10], off, s37
	s_mov_b32 s39, s36
	s_mov_b32 s40, s35
.LBB155_59:                             ;   Parent Loop BB155_3 Depth=1
                                        ;     Parent Loop BB155_45 Depth=2
                                        ;       Parent Loop BB155_48 Depth=3
                                        ;         Parent Loop BB155_57 Depth=4
                                        ; =>        This Inner Loop Header: Depth=5
	scratch_load_b64 v[17:18], off, s38
	s_wait_alu 0xfffe
	v_mov_b32_e32 v11, s39
	s_add_co_i32 s40, s40, -1
	s_addk_co_i32 s39, 0xa0
	s_add_co_i32 s38, s38, 8
	s_wait_alu 0xfffe
	s_cmp_eq_u32 s40, 0
	ds_load_b64 v[19:20], v11
	s_wait_loadcnt_dscnt 0x0
	v_mul_f32_e32 v11, v20, v18
	v_mul_f32_e32 v18, v19, v18
	s_delay_alu instid0(VALU_DEP_2) | instskip(NEXT) | instid1(VALU_DEP_1)
	v_fma_f32 v11, v19, v17, -v11
	v_dual_fmac_f32 v18, v20, v17 :: v_dual_sub_f32 v9, v9, v11
	s_delay_alu instid0(VALU_DEP_1)
	v_sub_f32_e32 v10, v10, v18
	scratch_store_b64 off, v[9:10], s37
	s_cbranch_scc0 .LBB155_59
; %bb.60:                               ;   in Loop: Header=BB155_57 Depth=4
	s_branch .LBB155_56
.LBB155_61:                             ;   in Loop: Header=BB155_57 Depth=4
                                        ; implicit-def: $vgpr9
	s_cbranch_execz .LBB155_56
; %bb.62:                               ;   in Loop: Header=BB155_57 Depth=4
	scratch_load_b64 v[9:10], off, off
	s_branch .LBB155_56
.LBB155_63:                             ;   in Loop: Header=BB155_3 Depth=1
	s_wait_storecnt 0x0
	; wave barrier
	s_wait_loadcnt_dscnt 0x0
	global_inv scope:SCOPE_SE
	s_and_saveexec_b32 s3, s27
	s_cbranch_execz .LBB155_2
; %bb.64:                               ;   in Loop: Header=BB155_3 Depth=1
	v_add_co_u32 v6, vcc_lo, v6, s6
	s_wait_alu 0xfffd
	v_add_co_ci_u32_e64 v7, null, s7, v7, vcc_lo
	v_mov_b32_e32 v8, v1
	s_delay_alu instid0(VALU_DEP_3) | instskip(SKIP_1) | instid1(VALU_DEP_3)
	v_add_co_u32 v6, vcc_lo, v6, s12
	s_wait_alu 0xfffd
	v_add_co_ci_u32_e64 v7, null, s13, v7, vcc_lo
	s_mov_b32 s14, s23
	v_add_co_u32 v6, vcc_lo, v6, v4
	s_wait_alu 0xfffd
	v_add_co_ci_u32_e64 v7, null, v7, v5, vcc_lo
.LBB155_65:                             ;   Parent Loop BB155_3 Depth=1
                                        ; =>  This Inner Loop Header: Depth=2
	ds_load_b64 v[9:10], v8
	v_add_nc_u32_e32 v8, 0xa0, v8
	s_add_co_i32 s14, s14, -1
	s_delay_alu instid0(SALU_CYCLE_1)
	s_cmp_lg_u32 s14, 0
	s_wait_dscnt 0x0
	flat_store_b64 v[6:7], v[9:10]
	v_add_co_u32 v6, vcc_lo, v6, 8
	s_wait_alu 0xfffd
	v_add_co_ci_u32_e64 v7, null, 0, v7, vcc_lo
	s_cbranch_scc1 .LBB155_65
	s_branch .LBB155_2
.LBB155_66:
	s_endpgm
	.section	.rodata,"a",@progbits
	.p2align	6, 0x0
	.amdhsa_kernel _ZL38rocblas_trsm_small_left_device_sharedBILi20ELi20ELb1E19rocblas_complex_numIfES1_PKPKS1_PKPS1_Ev13rocblas_fill_18rocblas_operation_17rocblas_diagonal_iiT3_T4_lilT5_lili
		.amdhsa_group_segment_fixed_size 6400
		.amdhsa_private_segment_fixed_size 176
		.amdhsa_kernarg_size 360
		.amdhsa_user_sgpr_count 2
		.amdhsa_user_sgpr_dispatch_ptr 0
		.amdhsa_user_sgpr_queue_ptr 0
		.amdhsa_user_sgpr_kernarg_segment_ptr 1
		.amdhsa_user_sgpr_dispatch_id 0
		.amdhsa_user_sgpr_private_segment_size 0
		.amdhsa_wavefront_size32 1
		.amdhsa_uses_dynamic_stack 0
		.amdhsa_enable_private_segment 1
		.amdhsa_system_sgpr_workgroup_id_x 1
		.amdhsa_system_sgpr_workgroup_id_y 0
		.amdhsa_system_sgpr_workgroup_id_z 1
		.amdhsa_system_sgpr_workgroup_info 0
		.amdhsa_system_vgpr_workitem_id 0
		.amdhsa_next_free_vgpr 241
		.amdhsa_next_free_sgpr 43
		.amdhsa_reserve_vcc 1
		.amdhsa_float_round_mode_32 0
		.amdhsa_float_round_mode_16_64 0
		.amdhsa_float_denorm_mode_32 3
		.amdhsa_float_denorm_mode_16_64 3
		.amdhsa_fp16_overflow 0
		.amdhsa_workgroup_processor_mode 1
		.amdhsa_memory_ordered 1
		.amdhsa_forward_progress 1
		.amdhsa_inst_pref_size 24
		.amdhsa_round_robin_scheduling 0
		.amdhsa_exception_fp_ieee_invalid_op 0
		.amdhsa_exception_fp_denorm_src 0
		.amdhsa_exception_fp_ieee_div_zero 0
		.amdhsa_exception_fp_ieee_overflow 0
		.amdhsa_exception_fp_ieee_underflow 0
		.amdhsa_exception_fp_ieee_inexact 0
		.amdhsa_exception_int_div_zero 0
	.end_amdhsa_kernel
	.section	.text._ZL38rocblas_trsm_small_left_device_sharedBILi20ELi20ELb1E19rocblas_complex_numIfES1_PKPKS1_PKPS1_Ev13rocblas_fill_18rocblas_operation_17rocblas_diagonal_iiT3_T4_lilT5_lili,"axG",@progbits,_ZL38rocblas_trsm_small_left_device_sharedBILi20ELi20ELb1E19rocblas_complex_numIfES1_PKPKS1_PKPS1_Ev13rocblas_fill_18rocblas_operation_17rocblas_diagonal_iiT3_T4_lilT5_lili,comdat
.Lfunc_end155:
	.size	_ZL38rocblas_trsm_small_left_device_sharedBILi20ELi20ELb1E19rocblas_complex_numIfES1_PKPKS1_PKPS1_Ev13rocblas_fill_18rocblas_operation_17rocblas_diagonal_iiT3_T4_lilT5_lili, .Lfunc_end155-_ZL38rocblas_trsm_small_left_device_sharedBILi20ELi20ELb1E19rocblas_complex_numIfES1_PKPKS1_PKPS1_Ev13rocblas_fill_18rocblas_operation_17rocblas_diagonal_iiT3_T4_lilT5_lili
                                        ; -- End function
	.set _ZL38rocblas_trsm_small_left_device_sharedBILi20ELi20ELb1E19rocblas_complex_numIfES1_PKPKS1_PKPS1_Ev13rocblas_fill_18rocblas_operation_17rocblas_diagonal_iiT3_T4_lilT5_lili.num_vgpr, 22
	.set _ZL38rocblas_trsm_small_left_device_sharedBILi20ELi20ELb1E19rocblas_complex_numIfES1_PKPKS1_PKPS1_Ev13rocblas_fill_18rocblas_operation_17rocblas_diagonal_iiT3_T4_lilT5_lili.num_agpr, 0
	.set _ZL38rocblas_trsm_small_left_device_sharedBILi20ELi20ELb1E19rocblas_complex_numIfES1_PKPKS1_PKPS1_Ev13rocblas_fill_18rocblas_operation_17rocblas_diagonal_iiT3_T4_lilT5_lili.numbered_sgpr, 43
	.set _ZL38rocblas_trsm_small_left_device_sharedBILi20ELi20ELb1E19rocblas_complex_numIfES1_PKPKS1_PKPS1_Ev13rocblas_fill_18rocblas_operation_17rocblas_diagonal_iiT3_T4_lilT5_lili.num_named_barrier, 0
	.set _ZL38rocblas_trsm_small_left_device_sharedBILi20ELi20ELb1E19rocblas_complex_numIfES1_PKPKS1_PKPS1_Ev13rocblas_fill_18rocblas_operation_17rocblas_diagonal_iiT3_T4_lilT5_lili.private_seg_size, 176
	.set _ZL38rocblas_trsm_small_left_device_sharedBILi20ELi20ELb1E19rocblas_complex_numIfES1_PKPKS1_PKPS1_Ev13rocblas_fill_18rocblas_operation_17rocblas_diagonal_iiT3_T4_lilT5_lili.uses_vcc, 1
	.set _ZL38rocblas_trsm_small_left_device_sharedBILi20ELi20ELb1E19rocblas_complex_numIfES1_PKPKS1_PKPS1_Ev13rocblas_fill_18rocblas_operation_17rocblas_diagonal_iiT3_T4_lilT5_lili.uses_flat_scratch, 0
	.set _ZL38rocblas_trsm_small_left_device_sharedBILi20ELi20ELb1E19rocblas_complex_numIfES1_PKPKS1_PKPS1_Ev13rocblas_fill_18rocblas_operation_17rocblas_diagonal_iiT3_T4_lilT5_lili.has_dyn_sized_stack, 0
	.set _ZL38rocblas_trsm_small_left_device_sharedBILi20ELi20ELb1E19rocblas_complex_numIfES1_PKPKS1_PKPS1_Ev13rocblas_fill_18rocblas_operation_17rocblas_diagonal_iiT3_T4_lilT5_lili.has_recursion, 0
	.set _ZL38rocblas_trsm_small_left_device_sharedBILi20ELi20ELb1E19rocblas_complex_numIfES1_PKPKS1_PKPS1_Ev13rocblas_fill_18rocblas_operation_17rocblas_diagonal_iiT3_T4_lilT5_lili.has_indirect_call, 0
	.section	.AMDGPU.csdata,"",@progbits
; Kernel info:
; codeLenInByte = 3072
; TotalNumSgprs: 45
; NumVgprs: 22
; ScratchSize: 176
; MemoryBound: 0
; FloatMode: 240
; IeeeMode: 1
; LDSByteSize: 6400 bytes/workgroup (compile time only)
; SGPRBlocks: 0
; VGPRBlocks: 30
; NumSGPRsForWavesPerEU: 45
; NumVGPRsForWavesPerEU: 241
; Occupancy: 5
; WaveLimiterHint : 0
; COMPUTE_PGM_RSRC2:SCRATCH_EN: 1
; COMPUTE_PGM_RSRC2:USER_SGPR: 2
; COMPUTE_PGM_RSRC2:TRAP_HANDLER: 0
; COMPUTE_PGM_RSRC2:TGID_X_EN: 1
; COMPUTE_PGM_RSRC2:TGID_Y_EN: 0
; COMPUTE_PGM_RSRC2:TGID_Z_EN: 1
; COMPUTE_PGM_RSRC2:TIDIG_COMP_CNT: 0
	.section	.text._ZL30rocblas_trsm_small_left_deviceILi20ELi20ELb1E19rocblas_complex_numIfES1_PKPKS1_PKPS1_Ev13rocblas_fill_18rocblas_operation_17rocblas_diagonal_iiT3_T4_lilT5_lili,"axG",@progbits,_ZL30rocblas_trsm_small_left_deviceILi20ELi20ELb1E19rocblas_complex_numIfES1_PKPKS1_PKPS1_Ev13rocblas_fill_18rocblas_operation_17rocblas_diagonal_iiT3_T4_lilT5_lili,comdat
	.globl	_ZL30rocblas_trsm_small_left_deviceILi20ELi20ELb1E19rocblas_complex_numIfES1_PKPKS1_PKPS1_Ev13rocblas_fill_18rocblas_operation_17rocblas_diagonal_iiT3_T4_lilT5_lili ; -- Begin function _ZL30rocblas_trsm_small_left_deviceILi20ELi20ELb1E19rocblas_complex_numIfES1_PKPKS1_PKPS1_Ev13rocblas_fill_18rocblas_operation_17rocblas_diagonal_iiT3_T4_lilT5_lili
	.p2align	8
	.type	_ZL30rocblas_trsm_small_left_deviceILi20ELi20ELb1E19rocblas_complex_numIfES1_PKPKS1_PKPS1_Ev13rocblas_fill_18rocblas_operation_17rocblas_diagonal_iiT3_T4_lilT5_lili,@function
_ZL30rocblas_trsm_small_left_deviceILi20ELi20ELb1E19rocblas_complex_numIfES1_PKPKS1_PKPS1_Ev13rocblas_fill_18rocblas_operation_17rocblas_diagonal_iiT3_T4_lilT5_lili: ; @_ZL30rocblas_trsm_small_left_deviceILi20ELi20ELb1E19rocblas_complex_numIfES1_PKPKS1_PKPS1_Ev13rocblas_fill_18rocblas_operation_17rocblas_diagonal_iiT3_T4_lilT5_lili
; %bb.0:
	s_load_b32 s24, s[0:1], 0x60
	s_lshr_b32 s2, ttmp7, 16
	s_wait_kmcnt 0x0
	s_cmp_ge_u32 s2, s24
	s_cbranch_scc1 .LBB156_63
; %bb.1:
	s_clause 0x6
	s_load_b32 s18, s[0:1], 0x30
	s_load_b128 s[12:15], s[0:1], 0x4
	s_load_b32 s3, s[0:1], 0x50
	s_load_b32 s20, s[0:1], 0x68
	s_load_b128 s[4:7], s[0:1], 0x20
	s_load_b128 s[8:11], s[0:1], 0x40
	s_load_b64 s[16:17], s[0:1], 0x14
	v_mad_co_u64_u32 v[2:3], null, ttmp9, 20, v[0:1]
	s_mul_i32 s0, ttmp9, 0xffffffec
	v_dual_mov_b32 v1, 0 :: v_dual_lshlrev_b32 v10, 3, v0
	v_mul_u32_u24_e32 v4, 0xa0, v0
	s_mov_b32 s33, 0
                                        ; implicit-def: $sgpr34
                                        ; implicit-def: $sgpr35
	s_delay_alu instid0(VALU_DEP_1)
	v_add_nc_u32_e32 v15, v10, v4
	s_wait_kmcnt 0x0
	s_ashr_i32 s19, s18, 31
	s_cmp_lg_u32 s12, 0x71
	v_mad_co_i64_i32 v[2:3], null, s3, v2, 0
	s_cselect_b32 s25, -1, 0
	s_min_i32 s26, s14, 20
	s_add_co_i32 s20, s20, -1
	s_wait_alu 0xfffe
	s_add_co_i32 s1, s15, s0
	s_add_co_i32 s27, s26, -1
	s_cmp_ge_u32 ttmp9, s20
	v_lshlrev_b64_e32 v[2:3], 3, v[2:3]
	s_wait_alu 0xfffe
	s_cselect_b32 s1, s1, 20
	s_cmp_lg_u32 s13, 0x84
	v_cmp_gt_i32_e64 s0, s26, v0
	s_cselect_b32 s28, -1, 0
	s_cmp_lg_u32 s12, 0x6f
	s_wait_alu 0xfffe
	v_cmp_gt_i32_e64 s1, s1, v0
	s_cselect_b32 s29, -1, 0
	s_lshl_b64 s[6:7], s[6:7], 3
	s_lshl_b32 s31, s26, 3
	v_add_co_u32 v0, s3, s6, v10
	s_wait_alu 0xf1ff
	v_add_co_ci_u32_e64 v11, null, s7, 0, s3
	s_lshl_b64 s[6:7], s[10:11], 3
	v_or_b32_e32 v12, 4, v0
	s_wait_alu 0xfffe
	v_add_co_u32 v5, vcc_lo, v2, s6
	s_delay_alu instid0(VALU_DEP_1) | instskip(SKIP_1) | instid1(VALU_DEP_3)
	v_add_co_ci_u32_e64 v13, null, s7, v3, vcc_lo
	v_mov_b32_e32 v0, 1.0
	v_or_b32_e32 v14, 4, v5
	s_or_b32 s30, 0, 4
	s_lshl_b64 s[10:11], s[18:19], 3
	s_add_co_i32 s31, s31, -8
	s_mov_b32 s13, 0
	s_branch .LBB156_4
.LBB156_2:                              ;   in Loop: Header=BB156_4 Depth=1
	s_add_co_i32 s2, s2, 0x10000
	s_wait_alu 0xfffe
	s_cmp_ge_u32 s2, s24
	s_cselect_b32 s12, -1, 0
	s_and_not1_b32 s35, s35, exec_lo
	s_or_not1_b32 s12, s12, exec_lo
.LBB156_3:                              ;   in Loop: Header=BB156_4 Depth=1
	s_wait_alu 0xfffe
	s_or_b32 exec_lo, exec_lo, s3
	s_delay_alu instid0(SALU_CYCLE_1)
	s_and_b32 s3, exec_lo, s12
	s_wait_alu 0xfffe
	s_or_b32 s33, s3, s33
	s_and_not1_b32 s3, s34, exec_lo
	s_and_b32 s12, s35, exec_lo
	s_wait_alu 0xfffe
	s_or_b32 s34, s3, s12
	s_and_not1_b32 exec_lo, exec_lo, s33
	s_cbranch_execz .LBB156_62
.LBB156_4:                              ; =>This Loop Header: Depth=1
                                        ;     Child Loop BB156_7 Depth 2
                                        ;     Child Loop BB156_23 Depth 2
                                        ;       Child Loop BB156_26 Depth 3
                                        ;         Child Loop BB156_27 Depth 4
                                        ;         Child Loop BB156_29 Depth 4
                                        ;           Child Loop BB156_30 Depth 5
                                        ;         Child Loop BB156_34 Depth 4
                                        ;           Child Loop BB156_36 Depth 5
                                        ;     Child Loop BB156_44 Depth 2
                                        ;       Child Loop BB156_47 Depth 3
                                        ;         Child Loop BB156_48 Depth 4
                                        ;         Child Loop BB156_51 Depth 4
                                        ;           Child Loop BB156_52 Depth 5
                                        ;         Child Loop BB156_56 Depth 4
                                        ;           Child Loop BB156_58 Depth 5
	s_mov_b32 s3, s13
	s_wait_alu 0xfffe
	s_lshl_b64 s[14:15], s[2:3], 3
	s_delay_alu instid0(SALU_CYCLE_1)
	s_add_nc_u64 s[18:19], s[8:9], s[14:15]
	global_load_b64 v[4:5], v1, s[18:19]
	s_and_saveexec_b32 s3, s0
	s_cbranch_execz .LBB156_19
; %bb.5:                                ;   in Loop: Header=BB156_4 Depth=1
	s_add_nc_u64 s[14:15], s[4:5], s[14:15]
	v_mov_b32_e32 v16, v10
	global_load_b64 v[6:7], v1, s[14:15]
	s_mov_b32 s12, s26
	s_wait_loadcnt 0x0
	v_add_co_u32 v6, vcc_lo, v6, v12
	s_wait_alu 0xfffd
	v_add_co_ci_u32_e64 v7, null, v7, v11, vcc_lo
	s_branch .LBB156_7
.LBB156_6:                              ;   in Loop: Header=BB156_7 Depth=2
	flat_load_b32 v8, v[6:7] offset:-4
	v_add_co_u32 v6, vcc_lo, v6, s10
	s_wait_alu 0xfffd
	v_add_co_ci_u32_e64 v7, null, s11, v7, vcc_lo
	s_add_co_i32 s12, s12, -1
	s_delay_alu instid0(SALU_CYCLE_1)
	s_cmp_eq_u32 s12, 0
	s_wait_loadcnt_dscnt 0x0
	ds_store_b64 v16, v[8:9]
	v_add_nc_u32_e32 v16, 0xa0, v16
	s_cbranch_scc1 .LBB156_11
.LBB156_7:                              ;   Parent Loop BB156_4 Depth=1
                                        ; =>  This Inner Loop Header: Depth=2
	s_and_b32 vcc_lo, exec_lo, s25
	s_mov_b32 s14, -1
                                        ; implicit-def: $vgpr9
	s_wait_alu 0xfffe
	s_cbranch_vccz .LBB156_9
; %bb.8:                                ;   in Loop: Header=BB156_7 Depth=2
	flat_load_b32 v9, v[6:7]
	s_mov_b32 s14, 0
.LBB156_9:                              ;   in Loop: Header=BB156_7 Depth=2
	s_delay_alu instid0(SALU_CYCLE_1)
	s_and_not1_b32 vcc_lo, exec_lo, s14
	s_wait_alu 0xfffe
	s_cbranch_vccnz .LBB156_6
; %bb.10:                               ;   in Loop: Header=BB156_7 Depth=2
	flat_load_b32 v8, v[6:7]
	s_wait_loadcnt_dscnt 0x0
	v_xor_b32_e32 v9, 0x80000000, v8
	s_branch .LBB156_6
.LBB156_11:                             ;   in Loop: Header=BB156_4 Depth=1
	s_and_b32 vcc_lo, exec_lo, s28
	s_mov_b32 s12, -1
	s_wait_alu 0xfffe
	s_cbranch_vccz .LBB156_17
; %bb.12:                               ;   in Loop: Header=BB156_4 Depth=1
	ds_load_b64 v[6:7], v15
                                        ; implicit-def: $vgpr8
	s_wait_dscnt 0x0
	v_cmp_ngt_f32_e64 s12, |v6|, |v7|
	s_and_saveexec_b32 s14, s12
	s_delay_alu instid0(SALU_CYCLE_1)
	s_xor_b32 s12, exec_lo, s14
	s_cbranch_execz .LBB156_14
; %bb.13:                               ;   in Loop: Header=BB156_4 Depth=1
	v_div_scale_f32 v8, null, v7, v7, v6
	v_div_scale_f32 v17, vcc_lo, v6, v7, v6
	s_delay_alu instid0(VALU_DEP_2) | instskip(NEXT) | instid1(TRANS32_DEP_1)
	v_rcp_f32_e32 v9, v8
	v_fma_f32 v16, -v8, v9, 1.0
	s_delay_alu instid0(VALU_DEP_1) | instskip(NEXT) | instid1(VALU_DEP_1)
	v_fmac_f32_e32 v9, v16, v9
	v_mul_f32_e32 v16, v17, v9
	s_delay_alu instid0(VALU_DEP_1) | instskip(NEXT) | instid1(VALU_DEP_1)
	v_fma_f32 v18, -v8, v16, v17
	v_fmac_f32_e32 v16, v18, v9
	s_delay_alu instid0(VALU_DEP_1) | instskip(SKIP_1) | instid1(VALU_DEP_1)
	v_fma_f32 v8, -v8, v16, v17
	s_wait_alu 0xfffd
	v_div_fmas_f32 v8, v8, v9, v16
	s_delay_alu instid0(VALU_DEP_1) | instskip(NEXT) | instid1(VALU_DEP_1)
	v_div_fixup_f32 v8, v8, v7, v6
	v_fmac_f32_e32 v7, v6, v8
	s_delay_alu instid0(VALU_DEP_1) | instskip(SKIP_1) | instid1(VALU_DEP_2)
	v_div_scale_f32 v6, null, v7, v7, 1.0
	v_div_scale_f32 v17, vcc_lo, 1.0, v7, 1.0
	v_rcp_f32_e32 v9, v6
	s_delay_alu instid0(TRANS32_DEP_1) | instskip(NEXT) | instid1(VALU_DEP_1)
	v_fma_f32 v16, -v6, v9, 1.0
	v_fmac_f32_e32 v9, v16, v9
	s_delay_alu instid0(VALU_DEP_1) | instskip(NEXT) | instid1(VALU_DEP_1)
	v_mul_f32_e32 v16, v17, v9
	v_fma_f32 v18, -v6, v16, v17
	s_delay_alu instid0(VALU_DEP_1) | instskip(NEXT) | instid1(VALU_DEP_1)
	v_fmac_f32_e32 v16, v18, v9
	v_fma_f32 v6, -v6, v16, v17
	s_wait_alu 0xfffd
	s_delay_alu instid0(VALU_DEP_1) | instskip(SKIP_1) | instid1(VALU_DEP_2)
	v_div_fmas_f32 v6, v6, v9, v16
	v_add_f32_e32 v9, 0, v8
	v_div_fixup_f32 v6, v6, v7, 1.0
	v_fma_f32 v7, v8, 0, -1.0
	s_delay_alu instid0(VALU_DEP_2) | instskip(NEXT) | instid1(VALU_DEP_2)
	v_mul_f32_e32 v8, v9, v6
	v_mul_f32_e32 v9, v7, v6
                                        ; implicit-def: $vgpr6_vgpr7
.LBB156_14:                             ;   in Loop: Header=BB156_4 Depth=1
	s_and_not1_saveexec_b32 s12, s12
	s_cbranch_execz .LBB156_16
; %bb.15:                               ;   in Loop: Header=BB156_4 Depth=1
	v_div_scale_f32 v8, null, v6, v6, v7
	v_div_scale_f32 v17, vcc_lo, v7, v6, v7
	s_delay_alu instid0(VALU_DEP_2) | instskip(NEXT) | instid1(TRANS32_DEP_1)
	v_rcp_f32_e32 v9, v8
	v_fma_f32 v16, -v8, v9, 1.0
	s_delay_alu instid0(VALU_DEP_1) | instskip(NEXT) | instid1(VALU_DEP_1)
	v_fmac_f32_e32 v9, v16, v9
	v_mul_f32_e32 v16, v17, v9
	s_delay_alu instid0(VALU_DEP_1) | instskip(NEXT) | instid1(VALU_DEP_1)
	v_fma_f32 v18, -v8, v16, v17
	v_fmac_f32_e32 v16, v18, v9
	s_delay_alu instid0(VALU_DEP_1) | instskip(SKIP_1) | instid1(VALU_DEP_1)
	v_fma_f32 v8, -v8, v16, v17
	s_wait_alu 0xfffd
	v_div_fmas_f32 v8, v8, v9, v16
	s_delay_alu instid0(VALU_DEP_1) | instskip(NEXT) | instid1(VALU_DEP_1)
	v_div_fixup_f32 v9, v8, v6, v7
	v_fmac_f32_e32 v6, v7, v9
	s_delay_alu instid0(VALU_DEP_1) | instskip(SKIP_1) | instid1(VALU_DEP_2)
	v_div_scale_f32 v7, null, v6, v6, 1.0
	v_div_scale_f32 v17, vcc_lo, 1.0, v6, 1.0
	v_rcp_f32_e32 v8, v7
	s_delay_alu instid0(TRANS32_DEP_1) | instskip(NEXT) | instid1(VALU_DEP_1)
	v_fma_f32 v16, -v7, v8, 1.0
	v_fmac_f32_e32 v8, v16, v8
	s_delay_alu instid0(VALU_DEP_1) | instskip(NEXT) | instid1(VALU_DEP_1)
	v_mul_f32_e32 v16, v17, v8
	v_fma_f32 v18, -v7, v16, v17
	s_delay_alu instid0(VALU_DEP_1) | instskip(NEXT) | instid1(VALU_DEP_1)
	v_fmac_f32_e32 v16, v18, v8
	v_fma_f32 v7, -v7, v16, v17
	s_wait_alu 0xfffd
	s_delay_alu instid0(VALU_DEP_1) | instskip(SKIP_1) | instid1(VALU_DEP_2)
	v_div_fmas_f32 v7, v7, v8, v16
	v_fma_f32 v8, v9, 0, 1.0
	v_div_fixup_f32 v6, v7, v6, 1.0
	s_delay_alu instid0(VALU_DEP_1)
	v_mul_f32_e32 v8, v8, v6
	v_mul_f32_e64 v9, -v9, v6
.LBB156_16:                             ;   in Loop: Header=BB156_4 Depth=1
	s_or_b32 exec_lo, exec_lo, s12
	s_mov_b32 s12, 0
	ds_store_b64 v15, v[8:9]
.LBB156_17:                             ;   in Loop: Header=BB156_4 Depth=1
	s_and_b32 vcc_lo, exec_lo, s12
	s_wait_alu 0xfffe
	s_cbranch_vccz .LBB156_19
; %bb.18:                               ;   in Loop: Header=BB156_4 Depth=1
	ds_store_b64 v15, v[0:1]
.LBB156_19:                             ;   in Loop: Header=BB156_4 Depth=1
	s_wait_alu 0xfffe
	s_or_b32 exec_lo, exec_lo, s3
	s_mov_b32 s12, -1
	s_or_b32 s35, s35, exec_lo
	; wave barrier
	s_wait_loadcnt_dscnt 0x0
	global_inv scope:SCOPE_SE
	s_and_saveexec_b32 s3, s1
	s_cbranch_execz .LBB156_3
; %bb.20:                               ;   in Loop: Header=BB156_4 Depth=1
	v_add_co_u32 v6, vcc_lo, v4, s6
	s_wait_alu 0xfffd
	v_add_co_ci_u32_e64 v7, null, s7, v5, vcc_lo
	s_delay_alu instid0(VALU_DEP_2) | instskip(SKIP_1) | instid1(VALU_DEP_2)
	v_add_co_u32 v8, vcc_lo, v6, v2
	s_wait_alu 0xfffd
	v_add_co_ci_u32_e64 v9, null, v7, v3, vcc_lo
	s_and_not1_b32 vcc_lo, exec_lo, s29
	s_wait_alu 0xfffe
	s_cbranch_vccnz .LBB156_41
; %bb.21:                               ;   in Loop: Header=BB156_4 Depth=1
	v_add_co_u32 v16, vcc_lo, v4, v14
	s_wait_alu 0xfffd
	v_add_co_ci_u32_e64 v17, null, v5, v13, vcc_lo
	s_mov_b32 s12, 0
	s_mov_b32 s14, s27
	s_branch .LBB156_23
.LBB156_22:                             ;   in Loop: Header=BB156_23 Depth=2
	s_cmp_gt_i32 s14, -1
	s_cselect_b32 s15, -1, 0
	s_add_co_i32 s18, s12, 1
	s_cmp_lt_u32 s12, 2
	s_cselect_b32 s12, -1, 0
	s_delay_alu instid0(SALU_CYCLE_1) | instskip(NEXT) | instid1(SALU_CYCLE_1)
	s_and_b32 s12, s15, s12
	s_and_b32 vcc_lo, exec_lo, s12
	s_wait_alu 0xfffe
	s_mov_b32 s12, s18
	s_cbranch_vccz .LBB156_40
.LBB156_23:                             ;   Parent Loop BB156_4 Depth=1
                                        ; =>  This Loop Header: Depth=2
                                        ;       Child Loop BB156_26 Depth 3
                                        ;         Child Loop BB156_27 Depth 4
                                        ;         Child Loop BB156_29 Depth 4
                                        ;           Child Loop BB156_30 Depth 5
                                        ;         Child Loop BB156_34 Depth 4
                                        ;           Child Loop BB156_36 Depth 5
	s_getpc_b64 s[18:19]
	s_wait_alu 0xfffe
	s_sext_i32_i16 s19, s19
	s_add_co_u32 s18, s18, __const._ZL30rocblas_trsm_small_left_deviceILi20ELi20ELb1E19rocblas_complex_numIfES1_PKPKS1_PKPS1_Ev13rocblas_fill_18rocblas_operation_17rocblas_diagonal_iiT3_T4_lilT5_lili.step_sizes@rel32@lo+12
	s_wait_alu 0xfffe
	s_add_co_ci_u32 s19, s19, __const._ZL30rocblas_trsm_small_left_deviceILi20ELi20ELb1E19rocblas_complex_numIfES1_PKPKS1_PKPS1_Ev13rocblas_fill_18rocblas_operation_17rocblas_diagonal_iiT3_T4_lilT5_lili.step_sizes@rel32@hi+24
	s_lshl_b64 s[20:21], s[12:13], 2
	s_wait_alu 0xfffe
	s_add_nc_u64 s[18:19], s[18:19], s[20:21]
	s_load_b32 s22, s[18:19], 0x0
	s_wait_kmcnt 0x0
	s_add_co_i32 s23, s22, -1
	s_wait_alu 0xfffe
	s_cmp_lt_i32 s14, s23
	s_cbranch_scc1 .LBB156_22
; %bb.24:                               ;   in Loop: Header=BB156_23 Depth=2
	s_mul_i32 s15, s14, 0xa0
	s_max_i32 s36, s22, 1
	s_add_co_i32 s37, s31, s15
	s_mul_i32 s38, s22, 0xffffff60
	s_mul_i32 s39, s14, 0xa8
	;; [unrolled: 1-line block ×3, first 2 shown]
	s_branch .LBB156_26
.LBB156_25:                             ;   in Loop: Header=BB156_26 Depth=3
	s_sub_co_i32 s14, s14, s22
	s_add_co_i32 s37, s37, s38
	s_add_co_i32 s39, s39, s40
	s_cmp_lt_i32 s14, s23
	s_cbranch_scc1 .LBB156_22
.LBB156_26:                             ;   Parent Loop BB156_4 Depth=1
                                        ;     Parent Loop BB156_23 Depth=2
                                        ; =>    This Loop Header: Depth=3
                                        ;         Child Loop BB156_27 Depth 4
                                        ;         Child Loop BB156_29 Depth 4
                                        ;           Child Loop BB156_30 Depth 5
                                        ;         Child Loop BB156_34 Depth 4
                                        ;           Child Loop BB156_36 Depth 5
	s_ashr_i32 s15, s14, 31
	s_delay_alu instid0(SALU_CYCLE_1)
	s_lshl_b64 s[18:19], s[14:15], 3
	s_wait_alu 0xfffe
	v_add_co_u32 v6, vcc_lo, v16, s18
	s_wait_alu 0xfffd
	v_add_co_ci_u32_e64 v7, null, s19, v17, vcc_lo
	s_mov_b32 s18, 4
	s_mov_b32 s19, s36
.LBB156_27:                             ;   Parent Loop BB156_4 Depth=1
                                        ;     Parent Loop BB156_23 Depth=2
                                        ;       Parent Loop BB156_26 Depth=3
                                        ; =>      This Inner Loop Header: Depth=4
	flat_load_b64 v[18:19], v[6:7] offset:-4
	v_add_co_u32 v6, vcc_lo, v6, -8
	s_wait_alu 0xfffd
	v_add_co_ci_u32_e64 v7, null, -1, v7, vcc_lo
	s_wait_alu 0xfffe
	s_add_co_i32 s19, s19, -1
	s_mov_b32 s20, s18
	s_add_co_i32 s18, s18, 8
	s_wait_alu 0xfffe
	s_cmp_eq_u32 s19, 0
	s_wait_loadcnt_dscnt 0x0
	v_mul_f32_e32 v20, s16, v19
	s_delay_alu instid0(VALU_DEP_1) | instskip(NEXT) | instid1(VALU_DEP_1)
	v_dual_mul_f32 v21, s17, v19 :: v_dual_fmac_f32 v20, s17, v18
	v_fma_f32 v19, v18, s16, -v21
	scratch_store_b64 off, v[19:20], s20 offset:-4
	s_cbranch_scc0 .LBB156_27
; %bb.28:                               ;   in Loop: Header=BB156_26 Depth=3
	s_cmp_le_i32 s27, s14
	s_mov_b32 s20, s37
	s_mov_b32 s18, s27
	s_cbranch_scc1 .LBB156_32
.LBB156_29:                             ;   Parent Loop BB156_4 Depth=1
                                        ;     Parent Loop BB156_23 Depth=2
                                        ;       Parent Loop BB156_26 Depth=3
                                        ; =>      This Loop Header: Depth=4
                                        ;           Child Loop BB156_30 Depth 5
	s_wait_alu 0xfffe
	s_ashr_i32 s19, s18, 31
	s_mov_b32 s21, s20
	s_wait_alu 0xfffe
	s_lshl_b64 s[42:43], s[18:19], 3
	s_mov_b32 s19, s30
	s_wait_alu 0xfffe
	v_add_co_u32 v6, vcc_lo, v8, s42
	s_wait_alu 0xfffd
	v_add_co_ci_u32_e64 v7, null, s43, v9, vcc_lo
	s_mov_b32 s41, s36
	flat_load_b64 v[6:7], v[6:7]
.LBB156_30:                             ;   Parent Loop BB156_4 Depth=1
                                        ;     Parent Loop BB156_23 Depth=2
                                        ;       Parent Loop BB156_26 Depth=3
                                        ;         Parent Loop BB156_29 Depth=4
                                        ; =>        This Inner Loop Header: Depth=5
	scratch_load_b64 v[18:19], off, s19 offset:-4
	v_mov_b32_e32 v20, s21
	s_wait_alu 0xfffe
	s_add_co_i32 s41, s41, -1
	s_addk_co_i32 s21, 0xff60
	ds_load_b64 v[20:21], v20
	s_wait_loadcnt_dscnt 0x100
	v_mul_f32_e32 v22, v21, v7
	v_mul_f32_e32 v21, v21, v6
	s_delay_alu instid0(VALU_DEP_1) | instskip(SKIP_1) | instid1(VALU_DEP_1)
	v_fmac_f32_e32 v21, v20, v7
	s_wait_loadcnt 0x0
	v_sub_f32_e32 v19, v19, v21
	v_fma_f32 v22, v20, v6, -v22
	s_delay_alu instid0(VALU_DEP_1)
	v_sub_f32_e32 v18, v18, v22
	scratch_store_b64 off, v[18:19], s19 offset:-4
	s_add_co_i32 s19, s19, 8
	s_wait_alu 0xfffe
	s_cmp_eq_u32 s41, 0
	s_cbranch_scc0 .LBB156_30
; %bb.31:                               ;   in Loop: Header=BB156_29 Depth=4
	s_add_co_i32 s18, s18, -1
	s_add_co_i32 s20, s20, -8
	s_wait_alu 0xfffe
	s_cmp_le_i32 s18, s14
	s_cbranch_scc0 .LBB156_29
.LBB156_32:                             ;   in Loop: Header=BB156_26 Depth=3
	s_mov_b32 s41, 0
	s_mov_b32 s42, s39
	s_branch .LBB156_34
.LBB156_33:                             ;   in Loop: Header=BB156_34 Depth=4
	s_wait_alu 0xfffe
	s_mulk_i32 s20, 0xa8
	s_lshl_b64 s[18:19], s[18:19], 3
	s_wait_alu 0xfffe
	v_mov_b32_e32 v18, s20
	s_lshl_b32 s20, s41, 3
	s_add_co_i32 s41, s41, 1
	s_addk_co_i32 s42, 0xff60
	s_wait_alu 0xfffe
	s_cmp_eq_u32 s41, s36
	ds_load_b64 v[18:19], v18
	s_wait_loadcnt_dscnt 0x0
	v_mul_f32_e32 v20, v19, v7
	v_mul_f32_e32 v21, v18, v7
	s_delay_alu instid0(VALU_DEP_2) | instskip(NEXT) | instid1(VALU_DEP_2)
	v_fma_f32 v20, v18, v6, -v20
	v_fmac_f32_e32 v21, v19, v6
	v_add_co_u32 v6, vcc_lo, v8, s18
	s_wait_alu 0xfffd
	v_add_co_ci_u32_e64 v7, null, s19, v9, vcc_lo
	scratch_store_b64 off, v[20:21], s20
	flat_store_b64 v[6:7], v[20:21]
	s_cbranch_scc1 .LBB156_25
.LBB156_34:                             ;   Parent Loop BB156_4 Depth=1
                                        ;     Parent Loop BB156_23 Depth=2
                                        ;       Parent Loop BB156_26 Depth=3
                                        ; =>      This Loop Header: Depth=4
                                        ;           Child Loop BB156_36 Depth 5
	s_wait_alu 0xfffe
	s_cmp_lg_u32 s41, 0
	s_cbranch_scc0 .LBB156_38
; %bb.35:                               ;   in Loop: Header=BB156_34 Depth=4
	s_lshl_b32 s18, s41, 3
	s_mov_b32 s19, 0
	scratch_load_b64 v[6:7], off, s18
	s_mov_b32 s20, s42
	s_mov_b32 s21, s41
.LBB156_36:                             ;   Parent Loop BB156_4 Depth=1
                                        ;     Parent Loop BB156_23 Depth=2
                                        ;       Parent Loop BB156_26 Depth=3
                                        ;         Parent Loop BB156_34 Depth=4
                                        ; =>        This Inner Loop Header: Depth=5
	scratch_load_b64 v[18:19], off, s19
	s_wait_alu 0xfffe
	v_mov_b32_e32 v20, s20
	s_add_co_i32 s21, s21, -1
	s_add_co_i32 s20, s20, -8
	s_add_co_i32 s19, s19, 8
	s_wait_alu 0xfffe
	s_cmp_eq_u32 s21, 0
	ds_load_b64 v[20:21], v20
	s_wait_loadcnt_dscnt 0x0
	v_mul_f32_e32 v22, v21, v19
	v_mul_f32_e32 v19, v20, v19
	s_delay_alu instid0(VALU_DEP_2) | instskip(NEXT) | instid1(VALU_DEP_1)
	v_fma_f32 v20, v20, v18, -v22
	v_dual_sub_f32 v6, v6, v20 :: v_dual_fmac_f32 v19, v21, v18
	s_delay_alu instid0(VALU_DEP_1)
	v_sub_f32_e32 v7, v7, v19
	scratch_store_b64 off, v[6:7], s18
	s_cbranch_scc0 .LBB156_36
; %bb.37:                               ;   in Loop: Header=BB156_34 Depth=4
	s_sub_co_i32 s20, s14, s41
	s_wait_alu 0xfffe
	s_ashr_i32 s21, s20, 31
	s_wait_alu 0xfffe
	s_mov_b64 s[18:19], s[20:21]
	s_branch .LBB156_33
.LBB156_38:                             ;   in Loop: Header=BB156_34 Depth=4
                                        ; implicit-def: $vgpr6
                                        ; implicit-def: $sgpr20
                                        ; implicit-def: $sgpr18_sgpr19
	s_cbranch_execz .LBB156_33
; %bb.39:                               ;   in Loop: Header=BB156_34 Depth=4
	scratch_load_b64 v[6:7], off, off
	s_mov_b64 s[18:19], s[14:15]
	s_mov_b32 s20, s14
	s_branch .LBB156_33
.LBB156_40:                             ;   in Loop: Header=BB156_4 Depth=1
	s_mov_b32 s12, 0
.LBB156_41:                             ;   in Loop: Header=BB156_4 Depth=1
	s_delay_alu instid0(SALU_CYCLE_1)
	s_and_b32 vcc_lo, exec_lo, s12
	s_wait_alu 0xfffe
	s_cbranch_vccz .LBB156_2
; %bb.42:                               ;   in Loop: Header=BB156_4 Depth=1
	v_add_co_u32 v16, vcc_lo, v4, v14
	s_wait_alu 0xfffd
	v_add_co_ci_u32_e64 v17, null, v5, v13, vcc_lo
	s_mov_b32 s14, 0
	s_mov_b32 s18, 0
	s_branch .LBB156_44
.LBB156_43:                             ;   in Loop: Header=BB156_44 Depth=2
	s_cmp_lt_i32 s14, s26
	s_cselect_b32 s12, -1, 0
	s_add_co_i32 s15, s18, 1
	s_cmp_lt_u32 s18, 2
	s_cselect_b32 s18, -1, 0
	s_wait_alu 0xfffe
	s_and_b32 s12, s12, s18
	s_mov_b32 s18, s15
	s_and_not1_b32 vcc_lo, exec_lo, s12
	s_wait_alu 0xfffe
	s_cbranch_vccnz .LBB156_2
.LBB156_44:                             ;   Parent Loop BB156_4 Depth=1
                                        ; =>  This Loop Header: Depth=2
                                        ;       Child Loop BB156_47 Depth 3
                                        ;         Child Loop BB156_48 Depth 4
                                        ;         Child Loop BB156_51 Depth 4
                                        ;           Child Loop BB156_52 Depth 5
                                        ;         Child Loop BB156_56 Depth 4
                                        ;           Child Loop BB156_58 Depth 5
	s_mov_b32 s19, s13
	s_getpc_b64 s[20:21]
	s_wait_alu 0xfffe
	s_sext_i32_i16 s21, s21
	s_add_co_u32 s20, s20, __const._ZL30rocblas_trsm_small_left_deviceILi20ELi20ELb1E19rocblas_complex_numIfES1_PKPKS1_PKPS1_Ev13rocblas_fill_18rocblas_operation_17rocblas_diagonal_iiT3_T4_lilT5_lili.step_sizes@rel32@lo+12
	s_wait_alu 0xfffe
	s_add_co_ci_u32 s21, s21, __const._ZL30rocblas_trsm_small_left_deviceILi20ELi20ELb1E19rocblas_complex_numIfES1_PKPKS1_PKPS1_Ev13rocblas_fill_18rocblas_operation_17rocblas_diagonal_iiT3_T4_lilT5_lili.step_sizes@rel32@hi+24
	s_lshl_b64 s[22:23], s[18:19], 2
	s_wait_alu 0xfffe
	s_add_nc_u64 s[20:21], s[20:21], s[22:23]
	s_load_b32 s20, s[20:21], 0x0
	s_wait_kmcnt 0x0
	s_add_co_i32 s19, s20, -1
	s_wait_alu 0xfffe
	s_add_co_i32 s12, s19, s14
	s_delay_alu instid0(SALU_CYCLE_1)
	s_cmp_ge_i32 s12, s26
	s_cbranch_scc1 .LBB156_43
; %bb.45:                               ;   in Loop: Header=BB156_44 Depth=2
	s_ashr_i32 s15, s14, 31
	s_ashr_i32 s21, s20, 31
	s_lshl_b64 s[22:23], s[14:15], 3
	s_max_i32 s36, s20, 1
	s_wait_alu 0xfffe
	v_add_co_u32 v4, vcc_lo, v16, s22
	s_wait_alu 0xfffd
	v_add_co_ci_u32_e64 v5, null, s23, v17, vcc_lo
	s_lshl_b64 s[22:23], s[20:21], 3
	s_lshl_b32 s15, s14, 3
	s_lshl_b32 s21, s20, 3
	s_mul_i32 s37, s14, 0xa8
	s_mul_i32 s38, s20, 0xa8
	s_branch .LBB156_47
.LBB156_46:                             ;   in Loop: Header=BB156_47 Depth=3
	v_add_co_u32 v4, vcc_lo, v4, s22
	s_add_co_i32 s14, s14, s20
	s_wait_alu 0xfffd
	v_add_co_ci_u32_e64 v5, null, s23, v5, vcc_lo
	s_add_co_i32 s12, s19, s14
	s_add_co_i32 s15, s15, s21
	;; [unrolled: 1-line block ×3, first 2 shown]
	s_cmp_ge_i32 s12, s26
	s_cbranch_scc1 .LBB156_43
.LBB156_47:                             ;   Parent Loop BB156_4 Depth=1
                                        ;     Parent Loop BB156_44 Depth=2
                                        ; =>    This Loop Header: Depth=3
                                        ;         Child Loop BB156_48 Depth 4
                                        ;         Child Loop BB156_51 Depth 4
                                        ;           Child Loop BB156_52 Depth 5
                                        ;         Child Loop BB156_56 Depth 4
                                        ;           Child Loop BB156_58 Depth 5
	v_dual_mov_b32 v7, v5 :: v_dual_mov_b32 v6, v4
	s_mov_b32 s12, 4
	s_mov_b32 s39, s36
.LBB156_48:                             ;   Parent Loop BB156_4 Depth=1
                                        ;     Parent Loop BB156_44 Depth=2
                                        ;       Parent Loop BB156_47 Depth=3
                                        ; =>      This Inner Loop Header: Depth=4
	flat_load_b64 v[18:19], v[6:7] offset:-4
	v_add_co_u32 v6, vcc_lo, v6, 8
	s_wait_alu 0xfffd
	v_add_co_ci_u32_e64 v7, null, 0, v7, vcc_lo
	s_add_co_i32 s39, s39, -1
	s_mov_b32 s40, s12
	s_add_co_i32 s12, s12, 8
	s_cmp_eq_u32 s39, 0
	s_wait_loadcnt_dscnt 0x0
	v_mul_f32_e32 v20, s16, v19
	s_delay_alu instid0(VALU_DEP_1) | instskip(NEXT) | instid1(VALU_DEP_1)
	v_dual_mul_f32 v21, s17, v19 :: v_dual_fmac_f32 v20, s17, v18
	v_fma_f32 v19, v18, s16, -v21
	scratch_store_b64 off, v[19:20], s40 offset:-4
	s_cbranch_scc0 .LBB156_48
; %bb.49:                               ;   in Loop: Header=BB156_47 Depth=3
	s_cmp_lt_i32 s14, 1
	s_cbranch_scc1 .LBB156_54
; %bb.50:                               ;   in Loop: Header=BB156_47 Depth=3
	s_mov_b32 s12, 0
	s_mov_b32 s39, s15
.LBB156_51:                             ;   Parent Loop BB156_4 Depth=1
                                        ;     Parent Loop BB156_44 Depth=2
                                        ;       Parent Loop BB156_47 Depth=3
                                        ; =>      This Loop Header: Depth=4
                                        ;           Child Loop BB156_52 Depth 5
	s_lshl_b64 s[40:41], s[12:13], 3
	s_mov_b32 s42, s36
	s_wait_alu 0xfffe
	v_add_co_u32 v6, vcc_lo, v8, s40
	s_wait_alu 0xfffd
	v_add_co_ci_u32_e64 v7, null, s41, v9, vcc_lo
	s_mov_b32 s40, s30
	s_mov_b32 s41, s39
	flat_load_b64 v[6:7], v[6:7]
.LBB156_52:                             ;   Parent Loop BB156_4 Depth=1
                                        ;     Parent Loop BB156_44 Depth=2
                                        ;       Parent Loop BB156_47 Depth=3
                                        ;         Parent Loop BB156_51 Depth=4
                                        ; =>        This Inner Loop Header: Depth=5
	scratch_load_b64 v[18:19], off, s40 offset:-4
	s_wait_alu 0xfffe
	v_mov_b32_e32 v20, s41
	s_add_co_i32 s42, s42, -1
	s_add_co_i32 s41, s41, 8
	ds_load_b64 v[20:21], v20
	s_wait_loadcnt_dscnt 0x100
	v_mul_f32_e32 v22, v21, v7
	v_mul_f32_e32 v21, v21, v6
	s_delay_alu instid0(VALU_DEP_1) | instskip(SKIP_1) | instid1(VALU_DEP_1)
	v_fmac_f32_e32 v21, v20, v7
	s_wait_loadcnt 0x0
	v_sub_f32_e32 v19, v19, v21
	v_fma_f32 v22, v20, v6, -v22
	s_delay_alu instid0(VALU_DEP_1)
	v_sub_f32_e32 v18, v18, v22
	scratch_store_b64 off, v[18:19], s40 offset:-4
	s_add_co_i32 s40, s40, 8
	s_wait_alu 0xfffe
	s_cmp_eq_u32 s42, 0
	s_cbranch_scc0 .LBB156_52
; %bb.53:                               ;   in Loop: Header=BB156_51 Depth=4
	s_add_co_i32 s12, s12, 1
	s_addk_co_i32 s39, 0xa0
	s_cmp_eq_u32 s12, s14
	s_cbranch_scc0 .LBB156_51
.LBB156_54:                             ;   in Loop: Header=BB156_47 Depth=3
	s_mov_b32 s12, 0
	s_mov_b32 s39, s37
	s_branch .LBB156_56
.LBB156_55:                             ;   in Loop: Header=BB156_56 Depth=4
	s_add_co_i32 s40, s12, s14
	s_lshl_b32 s42, s12, 3
	s_wait_alu 0xfffe
	s_mul_i32 s41, s40, 0xa8
	s_add_co_i32 s12, s12, 1
	s_wait_alu 0xfffe
	v_mov_b32_e32 v18, s41
	s_ashr_i32 s41, s40, 31
	s_add_co_i32 s39, s39, 8
	s_wait_alu 0xfffe
	s_lshl_b64 s[40:41], s[40:41], 3
	s_cmp_eq_u32 s12, s36
	ds_load_b64 v[18:19], v18
	s_wait_loadcnt_dscnt 0x0
	v_mul_f32_e32 v20, v19, v7
	v_mul_f32_e32 v21, v18, v7
	s_delay_alu instid0(VALU_DEP_2) | instskip(NEXT) | instid1(VALU_DEP_2)
	v_fma_f32 v20, v18, v6, -v20
	v_fmac_f32_e32 v21, v19, v6
	s_wait_alu 0xfffe
	v_add_co_u32 v6, vcc_lo, v8, s40
	s_wait_alu 0xfffd
	v_add_co_ci_u32_e64 v7, null, s41, v9, vcc_lo
	scratch_store_b64 off, v[20:21], s42
	flat_store_b64 v[6:7], v[20:21]
	s_cbranch_scc1 .LBB156_46
.LBB156_56:                             ;   Parent Loop BB156_4 Depth=1
                                        ;     Parent Loop BB156_44 Depth=2
                                        ;       Parent Loop BB156_47 Depth=3
                                        ; =>      This Loop Header: Depth=4
                                        ;           Child Loop BB156_58 Depth 5
	s_cmp_lg_u32 s12, 0
	s_cbranch_scc0 .LBB156_60
; %bb.57:                               ;   in Loop: Header=BB156_56 Depth=4
	s_lshl_b32 s40, s12, 3
	s_mov_b32 s41, 0
	scratch_load_b64 v[6:7], off, s40
	s_mov_b32 s42, s39
	s_mov_b32 s43, s12
.LBB156_58:                             ;   Parent Loop BB156_4 Depth=1
                                        ;     Parent Loop BB156_44 Depth=2
                                        ;       Parent Loop BB156_47 Depth=3
                                        ;         Parent Loop BB156_56 Depth=4
                                        ; =>        This Inner Loop Header: Depth=5
	scratch_load_b64 v[18:19], off, s41
	s_wait_alu 0xfffe
	v_mov_b32_e32 v20, s42
	s_add_co_i32 s43, s43, -1
	s_addk_co_i32 s42, 0xa0
	s_add_co_i32 s41, s41, 8
	s_wait_alu 0xfffe
	s_cmp_eq_u32 s43, 0
	ds_load_b64 v[20:21], v20
	s_wait_loadcnt_dscnt 0x0
	v_mul_f32_e32 v22, v21, v19
	v_mul_f32_e32 v19, v20, v19
	s_delay_alu instid0(VALU_DEP_2) | instskip(NEXT) | instid1(VALU_DEP_1)
	v_fma_f32 v20, v20, v18, -v22
	v_dual_sub_f32 v6, v6, v20 :: v_dual_fmac_f32 v19, v21, v18
	s_delay_alu instid0(VALU_DEP_1)
	v_sub_f32_e32 v7, v7, v19
	scratch_store_b64 off, v[6:7], s40
	s_cbranch_scc0 .LBB156_58
; %bb.59:                               ;   in Loop: Header=BB156_56 Depth=4
	s_branch .LBB156_55
.LBB156_60:                             ;   in Loop: Header=BB156_56 Depth=4
                                        ; implicit-def: $vgpr6
	s_cbranch_execz .LBB156_55
; %bb.61:                               ;   in Loop: Header=BB156_56 Depth=4
	scratch_load_b64 v[6:7], off, off
	s_branch .LBB156_55
.LBB156_62:
	s_or_b32 exec_lo, exec_lo, s33
	s_and_saveexec_b32 s0, s34
	s_wait_alu 0xfffe
	s_xor_b32 s0, exec_lo, s0
.LBB156_63:
	s_endpgm
	.section	.rodata,"a",@progbits
	.p2align	6, 0x0
	.amdhsa_kernel _ZL30rocblas_trsm_small_left_deviceILi20ELi20ELb1E19rocblas_complex_numIfES1_PKPKS1_PKPS1_Ev13rocblas_fill_18rocblas_operation_17rocblas_diagonal_iiT3_T4_lilT5_lili
		.amdhsa_group_segment_fixed_size 3200
		.amdhsa_private_segment_fixed_size 176
		.amdhsa_kernarg_size 360
		.amdhsa_user_sgpr_count 2
		.amdhsa_user_sgpr_dispatch_ptr 0
		.amdhsa_user_sgpr_queue_ptr 0
		.amdhsa_user_sgpr_kernarg_segment_ptr 1
		.amdhsa_user_sgpr_dispatch_id 0
		.amdhsa_user_sgpr_private_segment_size 0
		.amdhsa_wavefront_size32 1
		.amdhsa_uses_dynamic_stack 0
		.amdhsa_enable_private_segment 1
		.amdhsa_system_sgpr_workgroup_id_x 1
		.amdhsa_system_sgpr_workgroup_id_y 0
		.amdhsa_system_sgpr_workgroup_id_z 1
		.amdhsa_system_sgpr_workgroup_info 0
		.amdhsa_system_vgpr_workitem_id 0
		.amdhsa_next_free_vgpr 121
		.amdhsa_next_free_sgpr 44
		.amdhsa_reserve_vcc 1
		.amdhsa_float_round_mode_32 0
		.amdhsa_float_round_mode_16_64 0
		.amdhsa_float_denorm_mode_32 3
		.amdhsa_float_denorm_mode_16_64 3
		.amdhsa_fp16_overflow 0
		.amdhsa_workgroup_processor_mode 1
		.amdhsa_memory_ordered 1
		.amdhsa_forward_progress 1
		.amdhsa_inst_pref_size 25
		.amdhsa_round_robin_scheduling 0
		.amdhsa_exception_fp_ieee_invalid_op 0
		.amdhsa_exception_fp_denorm_src 0
		.amdhsa_exception_fp_ieee_div_zero 0
		.amdhsa_exception_fp_ieee_overflow 0
		.amdhsa_exception_fp_ieee_underflow 0
		.amdhsa_exception_fp_ieee_inexact 0
		.amdhsa_exception_int_div_zero 0
	.end_amdhsa_kernel
	.section	.text._ZL30rocblas_trsm_small_left_deviceILi20ELi20ELb1E19rocblas_complex_numIfES1_PKPKS1_PKPS1_Ev13rocblas_fill_18rocblas_operation_17rocblas_diagonal_iiT3_T4_lilT5_lili,"axG",@progbits,_ZL30rocblas_trsm_small_left_deviceILi20ELi20ELb1E19rocblas_complex_numIfES1_PKPKS1_PKPS1_Ev13rocblas_fill_18rocblas_operation_17rocblas_diagonal_iiT3_T4_lilT5_lili,comdat
.Lfunc_end156:
	.size	_ZL30rocblas_trsm_small_left_deviceILi20ELi20ELb1E19rocblas_complex_numIfES1_PKPKS1_PKPS1_Ev13rocblas_fill_18rocblas_operation_17rocblas_diagonal_iiT3_T4_lilT5_lili, .Lfunc_end156-_ZL30rocblas_trsm_small_left_deviceILi20ELi20ELb1E19rocblas_complex_numIfES1_PKPKS1_PKPS1_Ev13rocblas_fill_18rocblas_operation_17rocblas_diagonal_iiT3_T4_lilT5_lili
                                        ; -- End function
	.set _ZL30rocblas_trsm_small_left_deviceILi20ELi20ELb1E19rocblas_complex_numIfES1_PKPKS1_PKPS1_Ev13rocblas_fill_18rocblas_operation_17rocblas_diagonal_iiT3_T4_lilT5_lili.num_vgpr, 23
	.set _ZL30rocblas_trsm_small_left_deviceILi20ELi20ELb1E19rocblas_complex_numIfES1_PKPKS1_PKPS1_Ev13rocblas_fill_18rocblas_operation_17rocblas_diagonal_iiT3_T4_lilT5_lili.num_agpr, 0
	.set _ZL30rocblas_trsm_small_left_deviceILi20ELi20ELb1E19rocblas_complex_numIfES1_PKPKS1_PKPS1_Ev13rocblas_fill_18rocblas_operation_17rocblas_diagonal_iiT3_T4_lilT5_lili.numbered_sgpr, 44
	.set _ZL30rocblas_trsm_small_left_deviceILi20ELi20ELb1E19rocblas_complex_numIfES1_PKPKS1_PKPS1_Ev13rocblas_fill_18rocblas_operation_17rocblas_diagonal_iiT3_T4_lilT5_lili.num_named_barrier, 0
	.set _ZL30rocblas_trsm_small_left_deviceILi20ELi20ELb1E19rocblas_complex_numIfES1_PKPKS1_PKPS1_Ev13rocblas_fill_18rocblas_operation_17rocblas_diagonal_iiT3_T4_lilT5_lili.private_seg_size, 176
	.set _ZL30rocblas_trsm_small_left_deviceILi20ELi20ELb1E19rocblas_complex_numIfES1_PKPKS1_PKPS1_Ev13rocblas_fill_18rocblas_operation_17rocblas_diagonal_iiT3_T4_lilT5_lili.uses_vcc, 1
	.set _ZL30rocblas_trsm_small_left_deviceILi20ELi20ELb1E19rocblas_complex_numIfES1_PKPKS1_PKPS1_Ev13rocblas_fill_18rocblas_operation_17rocblas_diagonal_iiT3_T4_lilT5_lili.uses_flat_scratch, 0
	.set _ZL30rocblas_trsm_small_left_deviceILi20ELi20ELb1E19rocblas_complex_numIfES1_PKPKS1_PKPS1_Ev13rocblas_fill_18rocblas_operation_17rocblas_diagonal_iiT3_T4_lilT5_lili.has_dyn_sized_stack, 0
	.set _ZL30rocblas_trsm_small_left_deviceILi20ELi20ELb1E19rocblas_complex_numIfES1_PKPKS1_PKPS1_Ev13rocblas_fill_18rocblas_operation_17rocblas_diagonal_iiT3_T4_lilT5_lili.has_recursion, 0
	.set _ZL30rocblas_trsm_small_left_deviceILi20ELi20ELb1E19rocblas_complex_numIfES1_PKPKS1_PKPS1_Ev13rocblas_fill_18rocblas_operation_17rocblas_diagonal_iiT3_T4_lilT5_lili.has_indirect_call, 0
	.section	.AMDGPU.csdata,"",@progbits
; Kernel info:
; codeLenInByte = 3096
; TotalNumSgprs: 46
; NumVgprs: 23
; ScratchSize: 176
; MemoryBound: 0
; FloatMode: 240
; IeeeMode: 1
; LDSByteSize: 3200 bytes/workgroup (compile time only)
; SGPRBlocks: 0
; VGPRBlocks: 15
; NumSGPRsForWavesPerEU: 46
; NumVGPRsForWavesPerEU: 121
; Occupancy: 10
; WaveLimiterHint : 1
; COMPUTE_PGM_RSRC2:SCRATCH_EN: 1
; COMPUTE_PGM_RSRC2:USER_SGPR: 2
; COMPUTE_PGM_RSRC2:TRAP_HANDLER: 0
; COMPUTE_PGM_RSRC2:TGID_X_EN: 1
; COMPUTE_PGM_RSRC2:TGID_Y_EN: 0
; COMPUTE_PGM_RSRC2:TGID_Z_EN: 1
; COMPUTE_PGM_RSRC2:TIDIG_COMP_CNT: 0
	.section	.text._ZL31rocblas_trsm_small_right_deviceI19rocblas_complex_numIfES1_PKPKS1_PKPS1_Li20EEv13rocblas_fill_18rocblas_operation_17rocblas_diagonal_iiT0_T1_lilT2_lili,"axG",@progbits,_ZL31rocblas_trsm_small_right_deviceI19rocblas_complex_numIfES1_PKPKS1_PKPS1_Li20EEv13rocblas_fill_18rocblas_operation_17rocblas_diagonal_iiT0_T1_lilT2_lili,comdat
	.globl	_ZL31rocblas_trsm_small_right_deviceI19rocblas_complex_numIfES1_PKPKS1_PKPS1_Li20EEv13rocblas_fill_18rocblas_operation_17rocblas_diagonal_iiT0_T1_lilT2_lili ; -- Begin function _ZL31rocblas_trsm_small_right_deviceI19rocblas_complex_numIfES1_PKPKS1_PKPS1_Li20EEv13rocblas_fill_18rocblas_operation_17rocblas_diagonal_iiT0_T1_lilT2_lili
	.p2align	8
	.type	_ZL31rocblas_trsm_small_right_deviceI19rocblas_complex_numIfES1_PKPKS1_PKPS1_Li20EEv13rocblas_fill_18rocblas_operation_17rocblas_diagonal_iiT0_T1_lilT2_lili,@function
_ZL31rocblas_trsm_small_right_deviceI19rocblas_complex_numIfES1_PKPKS1_PKPS1_Li20EEv13rocblas_fill_18rocblas_operation_17rocblas_diagonal_iiT0_T1_lilT2_lili: ; @_ZL31rocblas_trsm_small_right_deviceI19rocblas_complex_numIfES1_PKPKS1_PKPS1_Li20EEv13rocblas_fill_18rocblas_operation_17rocblas_diagonal_iiT0_T1_lilT2_lili
; %bb.0:
	s_load_b32 s19, s[0:1], 0x60
	s_lshr_b32 s2, ttmp7, 16
	s_wait_kmcnt 0x0
	s_cmp_ge_u32 s2, s19
	s_cbranch_scc1 .LBB157_150
; %bb.1:
	s_clause 0x6
	s_load_b32 s20, s[0:1], 0x30
	s_load_b32 s30, s[0:1], 0x50
	s_load_b128 s[12:15], s[0:1], 0x0
	s_load_b96 s[16:18], s[0:1], 0x10
	s_load_b32 s3, s[0:1], 0x68
	s_load_b128 s[4:7], s[0:1], 0x20
	s_load_b128 s[8:11], s[0:1], 0x40
	s_mul_i32 s0, ttmp9, 0xffffffec
	v_dual_mov_b32 v12, 1.0 :: v_dual_lshlrev_b32 v21, 3, v0
	s_mov_b32 s22, ttmp9
	v_mul_u32_u24_e32 v1, 0xa0, v0
	s_delay_alu instid0(VALU_DEP_2) | instskip(SKIP_1) | instid1(VALU_DEP_3)
	v_dual_mov_b32 v13, 0 :: v_dual_add_nc_u32 v14, 0xc80, v21
	v_lshlrev_b32_e32 v29, 3, v0
	v_add_nc_u32_e32 v28, v21, v1
	s_wait_kmcnt 0x0
	s_ashr_i32 s21, s20, 31
	s_ashr_i32 s31, s30, 31
	s_cmp_lg_u32 s12, 0x7a
	s_cselect_b32 s27, -1, 0
	s_cmp_lg_u32 s13, 0x71
	s_cselect_b32 s1, -1, 0
	s_min_i32 s24, s16, 20
	s_add_co_i32 s3, s3, -1
	s_add_co_i32 s0, s15, s0
	s_add_co_i32 s25, s24, -1
	s_cmp_ge_u32 ttmp9, s3
	s_mov_b32 s3, 0
	s_cselect_b32 s15, s0, 20
	s_ashr_i32 s23, ttmp9, 31
	s_cmp_eq_u32 s14, 0x84
	v_cmp_gt_i32_e32 vcc_lo, s15, v0
	s_cselect_b32 s26, -1, 0
	s_cmp_gt_i32 s16, 0
	v_cmp_gt_i32_e64 s0, s24, v0
	s_cselect_b32 s14, -1, 0
	s_cmp_lg_u32 s13, 0x6f
	s_cselect_b32 s13, -1, 0
	s_cmp_lg_u32 s12, 0x79
	s_cselect_b32 s12, -1, 0
	s_or_b32 s27, s27, s13
	s_or_b32 s28, s12, s13
	s_cmp_gt_i32 s16, 3
	v_cndmask_b32_e64 v22, 0, 1, s12
	s_mul_u64 s[12:13], s[22:23], 0xa0
	s_cselect_b32 s22, -1, 0
	s_wait_alu 0xfffe
	s_and_b32 s23, vcc_lo, s14
	s_lshl_b64 s[14:15], s[6:7], 3
	s_lshl_b64 s[6:7], s[10:11], 3
	s_wait_alu 0xfffe
	v_add_co_u32 v2, s10, s14, v21
	s_delay_alu instid0(VALU_DEP_1)
	v_add_co_ci_u32_e64 v23, null, s15, 0, s10
	s_add_nc_u64 s[14:15], s[12:13], s[6:7]
	v_or_b32_e32 v24, 4, v2
	s_wait_alu 0xfffe
	v_add_co_u32 v3, s14, s14, v21
	s_wait_alu 0xf1ff
	v_add_co_ci_u32_e64 v25, null, s15, 0, s14
	s_lshl_b64 s[14:15], s[30:31], 3
	s_mul_i32 s30, s24, 0xa0
	v_or_b32_e32 v26, 4, v3
	v_add3_u32 v27, s30, v21, 0xbe0
	s_mul_i32 s31, s24, 0xa8
	s_lshl_b32 s33, s24, 3
	s_lshl_b64 s[10:11], s[20:21], 3
	s_wait_alu 0xfffe
	s_add_co_i32 s29, s31, 0xffffff40
	s_addk_co_i32 s30, 0xff60
	s_addk_co_i32 s31, 0xfd78
	s_add_co_i32 s33, s33, -8
	s_branch .LBB157_3
.LBB157_2:                              ;   in Loop: Header=BB157_3 Depth=1
	s_wait_alu 0xfffe
	s_or_b32 exec_lo, exec_lo, s20
	s_add_co_i32 s2, s2, 0x10000
	s_delay_alu instid0(SALU_CYCLE_1)
	s_cmp_lt_u32 s2, s19
	s_cbranch_scc0 .LBB157_150
.LBB157_3:                              ; =>This Loop Header: Depth=1
                                        ;     Child Loop BB157_6 Depth 2
                                        ;     Child Loop BB157_14 Depth 2
	;; [unrolled: 1-line block ×3, first 2 shown]
                                        ;       Child Loop BB157_21 Depth 3
                                        ;     Child Loop BB157_43 Depth 2
                                        ;       Child Loop BB157_44 Depth 3
                                        ;     Child Loop BB157_52 Depth 2
	;; [unrolled: 2-line block ×8, first 2 shown]
	s_lshl_b64 s[20:21], s[2:3], 3
	s_wait_alu 0xfffe
	s_add_nc_u64 s[34:35], s[8:9], s[20:21]
	global_load_b64 v[15:16], v13, s[34:35]
	s_and_saveexec_b32 s34, s0
	s_cbranch_execz .LBB157_12
; %bb.4:                                ;   in Loop: Header=BB157_3 Depth=1
	s_add_nc_u64 s[20:21], s[4:5], s[20:21]
	v_mov_b32_e32 v4, v21
	global_load_b64 v[0:1], v13, s[20:21]
	s_mov_b32 s20, s24
	s_wait_loadcnt 0x0
	v_add_co_u32 v0, vcc_lo, v0, v24
	s_wait_alu 0xfffd
	v_add_co_ci_u32_e64 v1, null, v1, v23, vcc_lo
	s_branch .LBB157_6
.LBB157_5:                              ;   in Loop: Header=BB157_6 Depth=2
	flat_load_b32 v2, v[0:1] offset:-4
	v_add_co_u32 v0, vcc_lo, v0, s10
	s_wait_alu 0xfffd
	v_add_co_ci_u32_e64 v1, null, s11, v1, vcc_lo
	s_add_co_i32 s20, s20, -1
	s_wait_alu 0xfffe
	s_cmp_eq_u32 s20, 0
	s_wait_loadcnt_dscnt 0x0
	ds_store_b64 v4, v[2:3]
	v_add_nc_u32_e32 v4, 0xa0, v4
	s_cbranch_scc1 .LBB157_10
.LBB157_6:                              ;   Parent Loop BB157_3 Depth=1
                                        ; =>  This Inner Loop Header: Depth=2
	s_and_b32 vcc_lo, exec_lo, s1
	s_mov_b32 s21, -1
                                        ; implicit-def: $vgpr3
	s_wait_alu 0xfffe
	s_cbranch_vccz .LBB157_8
; %bb.7:                                ;   in Loop: Header=BB157_6 Depth=2
	flat_load_b32 v3, v[0:1]
	s_mov_b32 s21, 0
.LBB157_8:                              ;   in Loop: Header=BB157_6 Depth=2
	s_wait_alu 0xfffe
	s_and_not1_b32 vcc_lo, exec_lo, s21
	s_wait_alu 0xfffe
	s_cbranch_vccnz .LBB157_5
; %bb.9:                                ;   in Loop: Header=BB157_6 Depth=2
	flat_load_b32 v2, v[0:1]
	s_wait_loadcnt_dscnt 0x0
	v_xor_b32_e32 v3, 0x80000000, v2
	s_branch .LBB157_5
.LBB157_10:                             ;   in Loop: Header=BB157_3 Depth=1
	s_and_b32 vcc_lo, exec_lo, s26
	s_wait_alu 0xfffe
	s_cbranch_vccz .LBB157_12
; %bb.11:                               ;   in Loop: Header=BB157_3 Depth=1
	ds_store_b64 v28, v[12:13]
.LBB157_12:                             ;   in Loop: Header=BB157_3 Depth=1
	s_wait_alu 0xfffe
	s_or_b32 exec_lo, exec_lo, s34
	s_and_saveexec_b32 s20, s23
	s_cbranch_execz .LBB157_15
; %bb.13:                               ;   in Loop: Header=BB157_3 Depth=1
	s_wait_loadcnt 0x0
	v_add_co_u32 v0, vcc_lo, v15, v26
	s_wait_alu 0xfffd
	v_add_co_ci_u32_e64 v1, null, v16, v25, vcc_lo
	v_mov_b32_e32 v2, v14
	s_mov_b32 s21, s16
.LBB157_14:                             ;   Parent Loop BB157_3 Depth=1
                                        ; =>  This Inner Loop Header: Depth=2
	flat_load_b64 v[3:4], v[0:1] offset:-4
	v_add_co_u32 v0, vcc_lo, v0, s14
	s_wait_alu 0xfffd
	v_add_co_ci_u32_e64 v1, null, s15, v1, vcc_lo
	s_wait_alu 0xfffe
	s_add_co_i32 s21, s21, -1
	s_wait_alu 0xfffe
	s_cmp_lg_u32 s21, 0
	s_wait_loadcnt_dscnt 0x0
	v_mul_f32_e32 v5, s17, v4
	s_delay_alu instid0(VALU_DEP_1) | instskip(NEXT) | instid1(VALU_DEP_1)
	v_dual_mul_f32 v6, s18, v4 :: v_dual_fmac_f32 v5, s18, v3
	v_fma_f32 v4, s17, v3, -v6
	ds_store_b64 v2, v[4:5]
	v_add_nc_u32_e32 v2, 0xa0, v2
	s_cbranch_scc1 .LBB157_14
.LBB157_15:                             ;   in Loop: Header=BB157_3 Depth=1
	s_wait_alu 0xfffe
	s_or_b32 exec_lo, exec_lo, s20
	s_delay_alu instid0(SALU_CYCLE_1)
	s_and_b32 vcc_lo, exec_lo, s28
	s_mov_b32 s20, -1
	; wave barrier
	s_wait_loadcnt_dscnt 0x0
	global_inv scope:SCOPE_SE
	s_wait_alu 0xfffe
	s_cbranch_vccz .LBB157_115
; %bb.16:                               ;   in Loop: Header=BB157_3 Depth=1
	s_and_b32 vcc_lo, exec_lo, s27
	s_wait_alu 0xfffe
	s_cbranch_vccz .LBB157_83
; %bb.17:                               ;   in Loop: Header=BB157_3 Depth=1
	v_cmp_ne_u32_e32 vcc_lo, 1, v22
	s_cbranch_vccnz .LBB157_50
; %bb.18:                               ;   in Loop: Header=BB157_3 Depth=1
	s_and_not1_b32 vcc_lo, exec_lo, s22
	s_mov_b32 s34, 0
	s_wait_alu 0xfffe
	s_cbranch_vccnz .LBB157_40
; %bb.19:                               ;   in Loop: Header=BB157_3 Depth=1
	s_mov_b32 s20, 0
	s_mov_b32 s21, 0
.LBB157_20:                             ;   Parent Loop BB157_3 Depth=1
                                        ; =>  This Loop Header: Depth=2
                                        ;       Child Loop BB157_21 Depth 3
	s_wait_alu 0xfffe
	v_mad_co_u64_u32 v[8:9], null, 0xa0, s21, v[14:15]
	s_or_b32 s34, s21, 3
	s_cmp_eq_u32 s21, 0
	s_wait_alu 0xfffe
	s_mulk_i32 s34, 0xa0
	s_wait_alu 0xfffe
	v_dual_mov_b32 v4, v14 :: v_dual_add_nc_u32 v11, s34, v14
	s_mov_b32 s34, s20
	ds_load_2addr_b64 v[0:3], v8 offset1:20
	ds_load_b64 v[17:18], v8 offset:320
	ds_load_b64 v[9:10], v11
	s_mov_b32 s35, s21
	s_cbranch_scc1 .LBB157_22
.LBB157_21:                             ;   Parent Loop BB157_3 Depth=1
                                        ;     Parent Loop BB157_20 Depth=2
                                        ; =>    This Inner Loop Header: Depth=3
	s_wait_alu 0xfffe
	v_mov_b32_e32 v7, s34
	s_add_co_i32 s35, s35, -1
	s_addk_co_i32 s34, 0xa0
	s_wait_alu 0xfffe
	s_cmp_eq_u32 s35, 0
	ds_load_b64 v[5:6], v4
	ds_load_b128 v[30:33], v7
	ds_load_b128 v[34:37], v7 offset:16
	v_add_nc_u32_e32 v4, 0xa0, v4
	s_wait_dscnt 0x1
	v_mul_f32_e32 v20, v33, v6
	s_wait_dscnt 0x0
	v_dual_mul_f32 v33, v33, v5 :: v_dual_mul_f32 v38, v35, v6
	v_mul_f32_e32 v35, v35, v5
	s_delay_alu instid0(VALU_DEP_3) | instskip(SKIP_1) | instid1(VALU_DEP_3)
	v_fma_f32 v20, v32, v5, -v20
	v_mul_f32_e32 v7, v31, v6
	v_fmac_f32_e32 v35, v34, v6
	v_mul_f32_e32 v39, v37, v6
	s_delay_alu instid0(VALU_DEP_4) | instskip(NEXT) | instid1(VALU_DEP_4)
	v_dual_mul_f32 v37, v37, v5 :: v_dual_sub_f32 v2, v2, v20
	v_fma_f32 v7, v30, v5, -v7
	v_mul_f32_e32 v19, v30, v6
	v_fma_f32 v30, v34, v5, -v38
	s_delay_alu instid0(VALU_DEP_4) | instskip(SKIP_1) | instid1(VALU_DEP_4)
	v_fmac_f32_e32 v37, v36, v6
	v_fmac_f32_e32 v33, v32, v6
	v_dual_sub_f32 v0, v0, v7 :: v_dual_fmac_f32 v19, v31, v5
	v_sub_f32_e32 v18, v18, v35
	v_fma_f32 v5, v36, v5, -v39
	v_dual_sub_f32 v17, v17, v30 :: v_dual_sub_f32 v10, v10, v37
	s_delay_alu instid0(VALU_DEP_4) | instskip(SKIP_1) | instid1(VALU_DEP_4)
	v_sub_f32_e32 v1, v1, v19
	v_sub_f32_e32 v3, v3, v33
	;; [unrolled: 1-line block ×3, first 2 shown]
	s_cbranch_scc0 .LBB157_21
.LBB157_22:                             ;   in Loop: Header=BB157_20 Depth=2
	s_lshl_b32 s34, s21, 3
	s_mul_i32 s35, s21, 0xa0
	s_mov_b32 s36, -1
	s_wait_alu 0xfffe
	s_add_co_i32 s35, s34, s35
                                        ; implicit-def: $vgpr20
	s_wait_alu 0xfffe
	v_mov_b32_e32 v4, s35
	ds_load_b64 v[4:5], v4
	s_wait_dscnt 0x0
	v_and_b32_e32 v6, 0x7fffffff, v4
	v_and_b32_e32 v7, 0x7fffffff, v5
	s_delay_alu instid0(VALU_DEP_1)
	v_cmp_ngt_f32_e32 vcc_lo, v6, v7
	s_cbranch_vccz .LBB157_24
; %bb.23:                               ;   in Loop: Header=BB157_20 Depth=2
	v_div_scale_f32 v6, null, v5, v5, v4
	v_div_scale_f32 v20, vcc_lo, v4, v5, v4
	s_mov_b32 s36, 0
	v_rcp_f32_e32 v7, v6
	v_xor_b32_e32 v6, 0x80000000, v6
	s_delay_alu instid0(TRANS32_DEP_1) | instid1(VALU_DEP_1)
	v_fma_f32 v19, v6, v7, 1.0
	s_delay_alu instid0(VALU_DEP_1) | instskip(NEXT) | instid1(VALU_DEP_1)
	v_fmac_f32_e32 v7, v19, v7
	v_mul_f32_e32 v19, v20, v7
	s_delay_alu instid0(VALU_DEP_1) | instskip(NEXT) | instid1(VALU_DEP_1)
	v_fma_f32 v30, v6, v19, v20
	v_fmac_f32_e32 v19, v30, v7
	s_delay_alu instid0(VALU_DEP_1) | instskip(SKIP_1) | instid1(VALU_DEP_1)
	v_fmac_f32_e32 v20, v6, v19
	s_wait_alu 0xfffd
	v_div_fmas_f32 v6, v20, v7, v19
	s_delay_alu instid0(VALU_DEP_1) | instskip(NEXT) | instid1(VALU_DEP_1)
	v_div_fixup_f32 v6, v6, v5, v4
	v_fma_f32 v7, v4, v6, v5
	s_delay_alu instid0(VALU_DEP_1) | instskip(SKIP_1) | instid1(VALU_DEP_2)
	v_div_scale_f32 v19, null, v7, v7, 1.0
	v_div_scale_f32 v31, vcc_lo, 1.0, v7, 1.0
	v_rcp_f32_e32 v20, v19
	v_xor_b32_e32 v19, 0x80000000, v19
	s_delay_alu instid0(TRANS32_DEP_1) | instid1(VALU_DEP_1)
	v_fma_f32 v30, v19, v20, 1.0
	s_delay_alu instid0(VALU_DEP_1) | instskip(NEXT) | instid1(VALU_DEP_1)
	v_fmac_f32_e32 v20, v30, v20
	v_mul_f32_e32 v30, v31, v20
	s_delay_alu instid0(VALU_DEP_1) | instskip(NEXT) | instid1(VALU_DEP_1)
	v_fma_f32 v32, v19, v30, v31
	v_fmac_f32_e32 v30, v32, v20
	s_delay_alu instid0(VALU_DEP_1) | instskip(SKIP_1) | instid1(VALU_DEP_1)
	v_fmac_f32_e32 v31, v19, v30
	s_wait_alu 0xfffd
	v_div_fmas_f32 v19, v31, v20, v30
	v_fma_f32 v20, v0, v6, v1
	v_fma_f32 v6, v1, v6, -v0
	s_delay_alu instid0(VALU_DEP_3) | instskip(NEXT) | instid1(VALU_DEP_1)
	v_div_fixup_f32 v7, v19, v7, 1.0
	v_mul_f32_e32 v19, v20, v7
	s_delay_alu instid0(VALU_DEP_3)
	v_mul_f32_e32 v20, v6, v7
.LBB157_24:                             ;   in Loop: Header=BB157_20 Depth=2
	s_wait_alu 0xfffe
	s_and_not1_b32 vcc_lo, exec_lo, s36
	s_wait_alu 0xfffe
	s_cbranch_vccnz .LBB157_26
; %bb.25:                               ;   in Loop: Header=BB157_20 Depth=2
	v_div_scale_f32 v6, null, v4, v4, v5
	v_div_scale_f32 v20, vcc_lo, v5, v4, v5
	s_delay_alu instid0(VALU_DEP_2)
	v_rcp_f32_e32 v7, v6
	v_xor_b32_e32 v6, 0x80000000, v6
	s_delay_alu instid0(TRANS32_DEP_1) | instid1(VALU_DEP_1)
	v_fma_f32 v19, v6, v7, 1.0
	s_delay_alu instid0(VALU_DEP_1) | instskip(NEXT) | instid1(VALU_DEP_1)
	v_fmac_f32_e32 v7, v19, v7
	v_mul_f32_e32 v19, v20, v7
	s_delay_alu instid0(VALU_DEP_1) | instskip(NEXT) | instid1(VALU_DEP_1)
	v_fma_f32 v30, v6, v19, v20
	v_fmac_f32_e32 v19, v30, v7
	s_delay_alu instid0(VALU_DEP_1) | instskip(SKIP_1) | instid1(VALU_DEP_1)
	v_fmac_f32_e32 v20, v6, v19
	s_wait_alu 0xfffd
	v_div_fmas_f32 v6, v20, v7, v19
	s_delay_alu instid0(VALU_DEP_1) | instskip(NEXT) | instid1(VALU_DEP_1)
	v_div_fixup_f32 v6, v6, v4, v5
	v_fmac_f32_e32 v4, v5, v6
	s_delay_alu instid0(VALU_DEP_1) | instskip(SKIP_1) | instid1(VALU_DEP_2)
	v_div_scale_f32 v5, null, v4, v4, 1.0
	v_div_scale_f32 v20, vcc_lo, 1.0, v4, 1.0
	v_rcp_f32_e32 v7, v5
	v_xor_b32_e32 v5, 0x80000000, v5
	s_delay_alu instid0(TRANS32_DEP_1) | instid1(VALU_DEP_1)
	v_fma_f32 v19, v5, v7, 1.0
	s_delay_alu instid0(VALU_DEP_1) | instskip(NEXT) | instid1(VALU_DEP_1)
	v_fmac_f32_e32 v7, v19, v7
	v_mul_f32_e32 v19, v20, v7
	s_delay_alu instid0(VALU_DEP_1) | instskip(NEXT) | instid1(VALU_DEP_1)
	v_fma_f32 v30, v5, v19, v20
	v_fmac_f32_e32 v19, v30, v7
	s_delay_alu instid0(VALU_DEP_1) | instskip(SKIP_1) | instid1(VALU_DEP_1)
	v_fmac_f32_e32 v20, v5, v19
	s_wait_alu 0xfffd
	v_div_fmas_f32 v5, v20, v7, v19
	v_fma_f32 v7, v1, v6, v0
	v_fma_f32 v0, -v0, v6, v1
	s_delay_alu instid0(VALU_DEP_3) | instskip(NEXT) | instid1(VALU_DEP_1)
	v_div_fixup_f32 v4, v5, v4, 1.0
	v_mul_f32_e32 v19, v7, v4
	s_delay_alu instid0(VALU_DEP_3)
	v_mul_f32_e32 v20, v0, v4
.LBB157_26:                             ;   in Loop: Header=BB157_20 Depth=2
	v_mov_b32_e32 v0, s35
	s_mov_b32 s36, -1
	ds_store_b64 v8, v[19:20]
	ds_load_2addr_b64 v[4:7], v0 offset0:1 offset1:21
	s_wait_dscnt 0x0
	v_mul_f32_e32 v0, v20, v5
	v_mul_f32_e32 v1, v19, v5
	v_and_b32_e32 v5, 0x7fffffff, v6
	v_and_b32_e32 v30, 0x7fffffff, v7
	s_delay_alu instid0(VALU_DEP_4) | instskip(NEXT) | instid1(VALU_DEP_4)
	v_fma_f32 v0, v19, v4, -v0
	v_fmac_f32_e32 v1, v20, v4
	s_delay_alu instid0(VALU_DEP_3) | instskip(NEXT) | instid1(VALU_DEP_2)
	v_cmp_ngt_f32_e32 vcc_lo, v5, v30
                                        ; implicit-def: $vgpr5
	v_dual_sub_f32 v0, v2, v0 :: v_dual_sub_f32 v1, v3, v1
	s_cbranch_vccz .LBB157_28
; %bb.27:                               ;   in Loop: Header=BB157_20 Depth=2
	v_div_scale_f32 v2, null, v7, v7, v6
	v_div_scale_f32 v5, vcc_lo, v6, v7, v6
	s_mov_b32 s36, 0
	v_rcp_f32_e32 v3, v2
	v_xor_b32_e32 v2, 0x80000000, v2
	s_delay_alu instid0(TRANS32_DEP_1) | instid1(VALU_DEP_1)
	v_fma_f32 v4, v2, v3, 1.0
	s_delay_alu instid0(VALU_DEP_1) | instskip(NEXT) | instid1(VALU_DEP_1)
	v_fmac_f32_e32 v3, v4, v3
	v_mul_f32_e32 v4, v5, v3
	s_delay_alu instid0(VALU_DEP_1) | instskip(NEXT) | instid1(VALU_DEP_1)
	v_fma_f32 v30, v2, v4, v5
	v_fmac_f32_e32 v4, v30, v3
	s_delay_alu instid0(VALU_DEP_1) | instskip(SKIP_1) | instid1(VALU_DEP_1)
	v_fmac_f32_e32 v5, v2, v4
	s_wait_alu 0xfffd
	v_div_fmas_f32 v2, v5, v3, v4
	s_delay_alu instid0(VALU_DEP_1) | instskip(NEXT) | instid1(VALU_DEP_1)
	v_div_fixup_f32 v2, v2, v7, v6
	v_fma_f32 v3, v6, v2, v7
	s_delay_alu instid0(VALU_DEP_1) | instskip(SKIP_1) | instid1(VALU_DEP_2)
	v_div_scale_f32 v4, null, v3, v3, 1.0
	v_div_scale_f32 v31, vcc_lo, 1.0, v3, 1.0
	v_rcp_f32_e32 v5, v4
	v_xor_b32_e32 v4, 0x80000000, v4
	s_delay_alu instid0(TRANS32_DEP_1) | instid1(VALU_DEP_1)
	v_fma_f32 v30, v4, v5, 1.0
	s_delay_alu instid0(VALU_DEP_1) | instskip(NEXT) | instid1(VALU_DEP_1)
	v_fmac_f32_e32 v5, v30, v5
	v_mul_f32_e32 v30, v31, v5
	s_delay_alu instid0(VALU_DEP_1) | instskip(NEXT) | instid1(VALU_DEP_1)
	v_fma_f32 v32, v4, v30, v31
	v_fmac_f32_e32 v30, v32, v5
	s_delay_alu instid0(VALU_DEP_1) | instskip(SKIP_1) | instid1(VALU_DEP_1)
	v_fmac_f32_e32 v31, v4, v30
	s_wait_alu 0xfffd
	v_div_fmas_f32 v4, v31, v5, v30
	v_fma_f32 v5, v2, v0, v1
	v_fma_f32 v2, v2, v1, -v0
	s_delay_alu instid0(VALU_DEP_3) | instskip(NEXT) | instid1(VALU_DEP_1)
	v_div_fixup_f32 v3, v4, v3, 1.0
	v_mul_f32_e32 v4, v5, v3
	s_delay_alu instid0(VALU_DEP_3)
	v_mul_f32_e32 v5, v2, v3
.LBB157_28:                             ;   in Loop: Header=BB157_20 Depth=2
	s_wait_alu 0xfffe
	s_and_not1_b32 vcc_lo, exec_lo, s36
	s_wait_alu 0xfffe
	s_cbranch_vccnz .LBB157_30
; %bb.29:                               ;   in Loop: Header=BB157_20 Depth=2
	v_div_scale_f32 v2, null, v6, v6, v7
	v_div_scale_f32 v5, vcc_lo, v7, v6, v7
	s_delay_alu instid0(VALU_DEP_2)
	v_rcp_f32_e32 v3, v2
	v_xor_b32_e32 v2, 0x80000000, v2
	s_delay_alu instid0(TRANS32_DEP_1) | instid1(VALU_DEP_1)
	v_fma_f32 v4, v2, v3, 1.0
	s_delay_alu instid0(VALU_DEP_1) | instskip(NEXT) | instid1(VALU_DEP_1)
	v_fmac_f32_e32 v3, v4, v3
	v_mul_f32_e32 v4, v5, v3
	s_delay_alu instid0(VALU_DEP_1) | instskip(NEXT) | instid1(VALU_DEP_1)
	v_fma_f32 v30, v2, v4, v5
	v_fmac_f32_e32 v4, v30, v3
	s_delay_alu instid0(VALU_DEP_1) | instskip(SKIP_1) | instid1(VALU_DEP_1)
	v_fmac_f32_e32 v5, v2, v4
	s_wait_alu 0xfffd
	v_div_fmas_f32 v2, v5, v3, v4
	s_delay_alu instid0(VALU_DEP_1) | instskip(NEXT) | instid1(VALU_DEP_1)
	v_div_fixup_f32 v2, v2, v6, v7
	v_fmac_f32_e32 v6, v7, v2
	s_delay_alu instid0(VALU_DEP_1) | instskip(SKIP_1) | instid1(VALU_DEP_2)
	v_div_scale_f32 v3, null, v6, v6, 1.0
	v_div_scale_f32 v7, vcc_lo, 1.0, v6, 1.0
	v_rcp_f32_e32 v4, v3
	v_xor_b32_e32 v3, 0x80000000, v3
	s_delay_alu instid0(TRANS32_DEP_1) | instid1(VALU_DEP_1)
	v_fma_f32 v5, v3, v4, 1.0
	s_delay_alu instid0(VALU_DEP_1) | instskip(NEXT) | instid1(VALU_DEP_1)
	v_fmac_f32_e32 v4, v5, v4
	v_mul_f32_e32 v5, v7, v4
	s_delay_alu instid0(VALU_DEP_1) | instskip(NEXT) | instid1(VALU_DEP_1)
	v_fma_f32 v30, v3, v5, v7
	v_fmac_f32_e32 v5, v30, v4
	s_delay_alu instid0(VALU_DEP_1) | instskip(SKIP_1) | instid1(VALU_DEP_1)
	v_fmac_f32_e32 v7, v3, v5
	s_wait_alu 0xfffd
	v_div_fmas_f32 v3, v7, v4, v5
	v_fma_f32 v4, v2, v1, v0
	v_fma_f32 v0, -v2, v0, v1
	s_delay_alu instid0(VALU_DEP_3) | instskip(NEXT) | instid1(VALU_DEP_1)
	v_div_fixup_f32 v3, v3, v6, 1.0
	v_mul_f32_e32 v4, v4, v3
	s_delay_alu instid0(VALU_DEP_3)
	v_mul_f32_e32 v5, v0, v3
.LBB157_30:                             ;   in Loop: Header=BB157_20 Depth=2
	v_mov_b32_e32 v0, s35
	s_add_co_i32 s36, s35, 0xa8
	s_or_b32 s37, s34, 8
	s_mov_b32 s38, -1
	s_wait_alu 0xfffe
	s_sub_co_i32 s37, s36, s37
	ds_load_2addr_b64 v[0:3], v0 offset0:2 offset1:42
	s_wait_alu 0xfffe
	s_add_co_i32 s37, s37, s34
	ds_store_b64 v8, v[4:5] offset:160
	s_wait_dscnt 0x1
	s_wait_alu 0xfffe
	v_dual_mov_b32 v6, s37 :: v_dual_and_b32 v31, 0x7fffffff, v2
	ds_load_b64 v[6:7], v6 offset:16
	v_mul_f32_e32 v30, v20, v1
	v_mul_f32_e32 v1, v19, v1
	s_delay_alu instid0(VALU_DEP_2) | instskip(NEXT) | instid1(VALU_DEP_2)
	v_fma_f32 v30, v19, v0, -v30
	v_dual_fmac_f32 v1, v20, v0 :: v_dual_and_b32 v32, 0x7fffffff, v3
	s_delay_alu instid0(VALU_DEP_2) | instskip(NEXT) | instid1(VALU_DEP_2)
	v_sub_f32_e32 v17, v17, v30
	v_cmp_ngt_f32_e32 vcc_lo, v31, v32
	s_and_b32 vcc_lo, exec_lo, vcc_lo
	s_wait_dscnt 0x0
	v_dual_mul_f32 v0, v5, v7 :: v_dual_sub_f32 v1, v18, v1
	s_delay_alu instid0(VALU_DEP_1) | instskip(NEXT) | instid1(VALU_DEP_1)
	v_fma_f32 v0, v4, v6, -v0
	v_dual_mul_f32 v7, v4, v7 :: v_dual_sub_f32 v0, v17, v0
	s_delay_alu instid0(VALU_DEP_1) | instskip(NEXT) | instid1(VALU_DEP_1)
	v_fmac_f32_e32 v7, v5, v6
	v_sub_f32_e32 v1, v1, v7
                                        ; implicit-def: $vgpr7
	s_wait_alu 0xfffe
	s_cbranch_vccz .LBB157_32
; %bb.31:                               ;   in Loop: Header=BB157_20 Depth=2
	v_div_scale_f32 v6, null, v3, v3, v2
	v_div_scale_f32 v18, vcc_lo, v2, v3, v2
	s_mov_b32 s38, 0
	v_rcp_f32_e32 v7, v6
	v_xor_b32_e32 v6, 0x80000000, v6
	s_delay_alu instid0(TRANS32_DEP_1) | instid1(VALU_DEP_1)
	v_fma_f32 v17, v6, v7, 1.0
	s_delay_alu instid0(VALU_DEP_1) | instskip(NEXT) | instid1(VALU_DEP_1)
	v_fmac_f32_e32 v7, v17, v7
	v_mul_f32_e32 v17, v18, v7
	s_delay_alu instid0(VALU_DEP_1) | instskip(NEXT) | instid1(VALU_DEP_1)
	v_fma_f32 v30, v6, v17, v18
	v_fmac_f32_e32 v17, v30, v7
	s_delay_alu instid0(VALU_DEP_1) | instskip(SKIP_1) | instid1(VALU_DEP_1)
	v_fmac_f32_e32 v18, v6, v17
	s_wait_alu 0xfffd
	v_div_fmas_f32 v6, v18, v7, v17
	s_delay_alu instid0(VALU_DEP_1) | instskip(NEXT) | instid1(VALU_DEP_1)
	v_div_fixup_f32 v6, v6, v3, v2
	v_fma_f32 v7, v2, v6, v3
	s_delay_alu instid0(VALU_DEP_1) | instskip(SKIP_1) | instid1(VALU_DEP_2)
	v_div_scale_f32 v17, null, v7, v7, 1.0
	v_div_scale_f32 v31, vcc_lo, 1.0, v7, 1.0
	v_rcp_f32_e32 v18, v17
	v_xor_b32_e32 v17, 0x80000000, v17
	s_delay_alu instid0(TRANS32_DEP_1) | instid1(VALU_DEP_1)
	v_fma_f32 v30, v17, v18, 1.0
	s_delay_alu instid0(VALU_DEP_1) | instskip(NEXT) | instid1(VALU_DEP_1)
	v_fmac_f32_e32 v18, v30, v18
	v_mul_f32_e32 v30, v31, v18
	s_delay_alu instid0(VALU_DEP_1) | instskip(NEXT) | instid1(VALU_DEP_1)
	v_fma_f32 v32, v17, v30, v31
	v_fmac_f32_e32 v30, v32, v18
	s_delay_alu instid0(VALU_DEP_1) | instskip(SKIP_1) | instid1(VALU_DEP_1)
	v_fmac_f32_e32 v31, v17, v30
	s_wait_alu 0xfffd
	v_div_fmas_f32 v17, v31, v18, v30
	v_fma_f32 v18, v6, v0, v1
	s_delay_alu instid0(VALU_DEP_2) | instskip(SKIP_1) | instid1(VALU_DEP_2)
	v_div_fixup_f32 v7, v17, v7, 1.0
	v_fma_f32 v17, v6, v1, -v0
	v_mul_f32_e32 v6, v18, v7
	s_delay_alu instid0(VALU_DEP_2)
	v_mul_f32_e32 v7, v17, v7
.LBB157_32:                             ;   in Loop: Header=BB157_20 Depth=2
	s_wait_alu 0xfffe
	s_and_not1_b32 vcc_lo, exec_lo, s38
	s_wait_alu 0xfffe
	s_cbranch_vccnz .LBB157_34
; %bb.33:                               ;   in Loop: Header=BB157_20 Depth=2
	v_div_scale_f32 v6, null, v2, v2, v3
	v_div_scale_f32 v18, vcc_lo, v3, v2, v3
	s_delay_alu instid0(VALU_DEP_2)
	v_rcp_f32_e32 v7, v6
	v_xor_b32_e32 v6, 0x80000000, v6
	s_delay_alu instid0(TRANS32_DEP_1) | instid1(VALU_DEP_1)
	v_fma_f32 v17, v6, v7, 1.0
	s_delay_alu instid0(VALU_DEP_1) | instskip(NEXT) | instid1(VALU_DEP_1)
	v_fmac_f32_e32 v7, v17, v7
	v_mul_f32_e32 v17, v18, v7
	s_delay_alu instid0(VALU_DEP_1) | instskip(NEXT) | instid1(VALU_DEP_1)
	v_fma_f32 v30, v6, v17, v18
	v_fmac_f32_e32 v17, v30, v7
	s_delay_alu instid0(VALU_DEP_1) | instskip(SKIP_1) | instid1(VALU_DEP_1)
	v_fmac_f32_e32 v18, v6, v17
	s_wait_alu 0xfffd
	v_div_fmas_f32 v6, v18, v7, v17
	s_delay_alu instid0(VALU_DEP_1) | instskip(NEXT) | instid1(VALU_DEP_1)
	v_div_fixup_f32 v6, v6, v2, v3
	v_fmac_f32_e32 v2, v3, v6
	s_delay_alu instid0(VALU_DEP_1) | instskip(SKIP_1) | instid1(VALU_DEP_2)
	v_div_scale_f32 v3, null, v2, v2, 1.0
	v_div_scale_f32 v18, vcc_lo, 1.0, v2, 1.0
	v_rcp_f32_e32 v7, v3
	v_xor_b32_e32 v3, 0x80000000, v3
	s_delay_alu instid0(TRANS32_DEP_1) | instid1(VALU_DEP_1)
	v_fma_f32 v17, v3, v7, 1.0
	s_delay_alu instid0(VALU_DEP_1) | instskip(NEXT) | instid1(VALU_DEP_1)
	v_fmac_f32_e32 v7, v17, v7
	v_mul_f32_e32 v17, v18, v7
	s_delay_alu instid0(VALU_DEP_1) | instskip(NEXT) | instid1(VALU_DEP_1)
	v_fma_f32 v30, v3, v17, v18
	v_fmac_f32_e32 v17, v30, v7
	s_delay_alu instid0(VALU_DEP_1) | instskip(SKIP_1) | instid1(VALU_DEP_1)
	v_fmac_f32_e32 v18, v3, v17
	s_wait_alu 0xfffd
	v_div_fmas_f32 v3, v18, v7, v17
	v_fma_f32 v7, v6, v1, v0
	v_fma_f32 v0, -v6, v0, v1
	s_delay_alu instid0(VALU_DEP_3) | instskip(NEXT) | instid1(VALU_DEP_1)
	v_div_fixup_f32 v2, v3, v2, 1.0
	v_mul_f32_e32 v6, v7, v2
	s_delay_alu instid0(VALU_DEP_3)
	v_mul_f32_e32 v7, v0, v2
.LBB157_34:                             ;   in Loop: Header=BB157_20 Depth=2
	v_dual_mov_b32 v0, s35 :: v_dual_mov_b32 v17, s37
	s_or_b32 s35, s34, 16
	ds_store_b64 v8, v[6:7] offset:320
	s_wait_alu 0xfffe
	s_sub_co_i32 s35, s36, s35
	ds_load_2addr_b64 v[0:3], v0 offset0:3 offset1:63
	s_wait_alu 0xfffe
	s_add_co_i32 s34, s35, s34
	ds_load_b64 v[17:18], v17 offset:24
	s_wait_alu 0xfffe
	v_mov_b32_e32 v30, s34
	s_mov_b32 s34, -1
	s_wait_dscnt 0x1
	v_mul_f32_e32 v32, v20, v1
	v_mul_f32_e32 v1, v19, v1
	ds_load_b64 v[30:31], v30 offset:192
	s_wait_dscnt 0x1
	v_mul_f32_e32 v33, v5, v18
	v_mul_f32_e32 v18, v4, v18
	v_dual_fmac_f32 v1, v20, v0 :: v_dual_and_b32 v34, 0x7fffffff, v2
	v_fma_f32 v19, v19, v0, -v32
	s_delay_alu instid0(VALU_DEP_4) | instskip(NEXT) | instid1(VALU_DEP_4)
	v_fma_f32 v0, v4, v17, -v33
	v_fmac_f32_e32 v18, v5, v17
	s_wait_dscnt 0x0
	v_dual_sub_f32 v1, v10, v1 :: v_dual_mul_f32 v4, v7, v31
	v_mul_f32_e32 v5, v6, v31
	s_delay_alu instid0(VALU_DEP_2) | instskip(SKIP_1) | instid1(VALU_DEP_3)
	v_fma_f32 v4, v6, v30, -v4
	v_sub_f32_e32 v9, v9, v19
	v_dual_fmac_f32 v5, v7, v30 :: v_dual_and_b32 v10, 0x7fffffff, v3
	v_sub_f32_e32 v1, v1, v18
	s_delay_alu instid0(VALU_DEP_3) | instskip(NEXT) | instid1(VALU_DEP_3)
	v_sub_f32_e32 v0, v9, v0
	v_cmp_ngt_f32_e32 vcc_lo, v34, v10
	s_delay_alu instid0(VALU_DEP_2)
	v_dual_sub_f32 v5, v1, v5 :: v_dual_sub_f32 v4, v0, v4
                                        ; implicit-def: $vgpr1
	s_cbranch_vccz .LBB157_36
; %bb.35:                               ;   in Loop: Header=BB157_20 Depth=2
	v_div_scale_f32 v0, null, v3, v3, v2
	v_div_scale_f32 v7, vcc_lo, v2, v3, v2
	s_mov_b32 s34, 0
	v_rcp_f32_e32 v1, v0
	v_xor_b32_e32 v0, 0x80000000, v0
	s_delay_alu instid0(TRANS32_DEP_1) | instid1(VALU_DEP_1)
	v_fma_f32 v6, v0, v1, 1.0
	s_delay_alu instid0(VALU_DEP_1) | instskip(NEXT) | instid1(VALU_DEP_1)
	v_fmac_f32_e32 v1, v6, v1
	v_mul_f32_e32 v6, v7, v1
	s_delay_alu instid0(VALU_DEP_1) | instskip(NEXT) | instid1(VALU_DEP_1)
	v_fma_f32 v8, v0, v6, v7
	v_fmac_f32_e32 v6, v8, v1
	s_delay_alu instid0(VALU_DEP_1) | instskip(SKIP_1) | instid1(VALU_DEP_1)
	v_fmac_f32_e32 v7, v0, v6
	s_wait_alu 0xfffd
	v_div_fmas_f32 v0, v7, v1, v6
	s_delay_alu instid0(VALU_DEP_1) | instskip(NEXT) | instid1(VALU_DEP_1)
	v_div_fixup_f32 v0, v0, v3, v2
	v_fma_f32 v1, v2, v0, v3
	s_delay_alu instid0(VALU_DEP_1) | instskip(SKIP_1) | instid1(VALU_DEP_2)
	v_div_scale_f32 v6, null, v1, v1, 1.0
	v_div_scale_f32 v9, vcc_lo, 1.0, v1, 1.0
	v_rcp_f32_e32 v7, v6
	v_xor_b32_e32 v6, 0x80000000, v6
	s_delay_alu instid0(TRANS32_DEP_1) | instid1(VALU_DEP_1)
	v_fma_f32 v8, v6, v7, 1.0
	s_delay_alu instid0(VALU_DEP_1) | instskip(NEXT) | instid1(VALU_DEP_1)
	v_fmac_f32_e32 v7, v8, v7
	v_mul_f32_e32 v8, v9, v7
	s_delay_alu instid0(VALU_DEP_1) | instskip(NEXT) | instid1(VALU_DEP_1)
	v_fma_f32 v10, v6, v8, v9
	v_fmac_f32_e32 v8, v10, v7
	s_delay_alu instid0(VALU_DEP_1) | instskip(SKIP_1) | instid1(VALU_DEP_1)
	v_fmac_f32_e32 v9, v6, v8
	s_wait_alu 0xfffd
	v_div_fmas_f32 v6, v9, v7, v8
	v_fma_f32 v7, v0, v4, v5
	s_delay_alu instid0(VALU_DEP_2) | instskip(SKIP_1) | instid1(VALU_DEP_2)
	v_div_fixup_f32 v1, v6, v1, 1.0
	v_fma_f32 v6, v0, v5, -v4
	v_mul_f32_e32 v0, v7, v1
	s_delay_alu instid0(VALU_DEP_2)
	v_mul_f32_e32 v1, v6, v1
.LBB157_36:                             ;   in Loop: Header=BB157_20 Depth=2
	s_wait_alu 0xfffe
	s_and_not1_b32 vcc_lo, exec_lo, s34
	s_wait_alu 0xfffe
	s_cbranch_vccnz .LBB157_38
; %bb.37:                               ;   in Loop: Header=BB157_20 Depth=2
	v_div_scale_f32 v0, null, v2, v2, v3
	v_div_scale_f32 v7, vcc_lo, v3, v2, v3
	s_delay_alu instid0(VALU_DEP_2)
	v_rcp_f32_e32 v1, v0
	v_xor_b32_e32 v0, 0x80000000, v0
	s_delay_alu instid0(TRANS32_DEP_1) | instid1(VALU_DEP_1)
	v_fma_f32 v6, v0, v1, 1.0
	s_delay_alu instid0(VALU_DEP_1) | instskip(NEXT) | instid1(VALU_DEP_1)
	v_fmac_f32_e32 v1, v6, v1
	v_mul_f32_e32 v6, v7, v1
	s_delay_alu instid0(VALU_DEP_1) | instskip(NEXT) | instid1(VALU_DEP_1)
	v_fma_f32 v8, v0, v6, v7
	v_fmac_f32_e32 v6, v8, v1
	s_delay_alu instid0(VALU_DEP_1) | instskip(SKIP_1) | instid1(VALU_DEP_1)
	v_fmac_f32_e32 v7, v0, v6
	s_wait_alu 0xfffd
	v_div_fmas_f32 v0, v7, v1, v6
	s_delay_alu instid0(VALU_DEP_1) | instskip(NEXT) | instid1(VALU_DEP_1)
	v_div_fixup_f32 v0, v0, v2, v3
	v_fmac_f32_e32 v2, v3, v0
	s_delay_alu instid0(VALU_DEP_1) | instskip(SKIP_1) | instid1(VALU_DEP_2)
	v_div_scale_f32 v1, null, v2, v2, 1.0
	v_div_scale_f32 v7, vcc_lo, 1.0, v2, 1.0
	v_rcp_f32_e32 v3, v1
	v_xor_b32_e32 v1, 0x80000000, v1
	s_delay_alu instid0(TRANS32_DEP_1) | instid1(VALU_DEP_1)
	v_fma_f32 v6, v1, v3, 1.0
	s_delay_alu instid0(VALU_DEP_1) | instskip(NEXT) | instid1(VALU_DEP_1)
	v_fmac_f32_e32 v3, v6, v3
	v_mul_f32_e32 v6, v7, v3
	s_delay_alu instid0(VALU_DEP_1) | instskip(NEXT) | instid1(VALU_DEP_1)
	v_fma_f32 v8, v1, v6, v7
	v_fmac_f32_e32 v6, v8, v3
	s_delay_alu instid0(VALU_DEP_1) | instskip(SKIP_1) | instid1(VALU_DEP_1)
	v_fmac_f32_e32 v7, v1, v6
	s_wait_alu 0xfffd
	v_div_fmas_f32 v1, v7, v3, v6
	v_fma_f32 v3, v0, v5, v4
	s_delay_alu instid0(VALU_DEP_2) | instskip(SKIP_1) | instid1(VALU_DEP_2)
	v_div_fixup_f32 v1, v1, v2, 1.0
	v_fma_f32 v2, -v0, v4, v5
	v_mul_f32_e32 v0, v3, v1
	s_delay_alu instid0(VALU_DEP_2)
	v_mul_f32_e32 v1, v2, v1
.LBB157_38:                             ;   in Loop: Header=BB157_20 Depth=2
	s_add_co_i32 s34, s21, 4
	s_add_co_i32 s21, s21, 7
	;; [unrolled: 1-line block ×3, first 2 shown]
	s_wait_alu 0xfffe
	s_cmp_ge_i32 s21, s24
	ds_store_b64 v11, v[0:1]
	s_cbranch_scc1 .LBB157_40
; %bb.39:                               ;   in Loop: Header=BB157_20 Depth=2
	s_mov_b32 s21, s34
	s_branch .LBB157_20
.LBB157_40:                             ;   in Loop: Header=BB157_3 Depth=1
	s_cmp_ge_i32 s34, s24
	s_cbranch_scc1 .LBB157_49
; %bb.41:                               ;   in Loop: Header=BB157_3 Depth=1
	s_lshl_b32 s20, s34, 3
	s_branch .LBB157_43
.LBB157_42:                             ;   in Loop: Header=BB157_43 Depth=2
	s_add_co_i32 s34, s34, 1
	s_add_co_i32 s20, s20, 8
	s_wait_alu 0xfffe
	s_cmp_ge_i32 s34, s24
	ds_store_b64 v6, v[4:5]
	s_cbranch_scc1 .LBB157_49
.LBB157_43:                             ;   Parent Loop BB157_3 Depth=1
                                        ; =>  This Loop Header: Depth=2
                                        ;       Child Loop BB157_44 Depth 3
	s_mul_i32 s21, s34, 0xa0
	v_mov_b32_e32 v2, v14
	s_wait_alu 0xfffe
	v_add_nc_u32_e32 v6, s21, v14
	s_cmp_eq_u32 s34, 0
	s_mov_b32 s35, s20
	s_mov_b32 s36, s34
	ds_load_b64 v[0:1], v6
	s_cbranch_scc1 .LBB157_45
.LBB157_44:                             ;   Parent Loop BB157_3 Depth=1
                                        ;     Parent Loop BB157_43 Depth=2
                                        ; =>    This Inner Loop Header: Depth=3
	s_wait_alu 0xfffe
	v_mov_b32_e32 v5, s35
	s_add_co_i32 s36, s36, -1
	s_addk_co_i32 s35, 0xa0
	s_wait_alu 0xfffe
	s_cmp_eq_u32 s36, 0
	ds_load_b64 v[3:4], v2
	ds_load_b64 v[7:8], v5
	s_wait_dscnt 0x0
	v_dual_mul_f32 v5, v8, v4 :: v_dual_add_nc_u32 v2, 0xa0, v2
	v_mul_f32_e32 v4, v7, v4
	s_delay_alu instid0(VALU_DEP_2) | instskip(NEXT) | instid1(VALU_DEP_2)
	v_fma_f32 v5, v7, v3, -v5
	v_fmac_f32_e32 v4, v8, v3
	s_delay_alu instid0(VALU_DEP_1)
	v_dual_sub_f32 v0, v0, v5 :: v_dual_sub_f32 v1, v1, v4
	s_cbranch_scc0 .LBB157_44
.LBB157_45:                             ;   in Loop: Header=BB157_43 Depth=2
	s_lshl_b32 s35, s34, 3
	s_wait_alu 0xfffe
	s_add_co_i32 s21, s35, s21
	s_wait_alu 0xfffe
	v_mov_b32_e32 v2, s21
	s_mov_b32 s21, -1
	ds_load_b64 v[2:3], v2
	s_wait_dscnt 0x0
	v_and_b32_e32 v4, 0x7fffffff, v2
	v_and_b32_e32 v5, 0x7fffffff, v3
	s_delay_alu instid0(VALU_DEP_1)
	v_cmp_ngt_f32_e32 vcc_lo, v4, v5
                                        ; implicit-def: $vgpr4
	s_cbranch_vccz .LBB157_47
; %bb.46:                               ;   in Loop: Header=BB157_43 Depth=2
	v_div_scale_f32 v4, null, v3, v3, v2
	v_div_scale_f32 v8, vcc_lo, v2, v3, v2
	s_mov_b32 s21, 0
	v_rcp_f32_e32 v5, v4
	v_xor_b32_e32 v4, 0x80000000, v4
	s_delay_alu instid0(TRANS32_DEP_1) | instid1(VALU_DEP_1)
	v_fma_f32 v7, v4, v5, 1.0
	s_delay_alu instid0(VALU_DEP_1) | instskip(NEXT) | instid1(VALU_DEP_1)
	v_fmac_f32_e32 v5, v7, v5
	v_mul_f32_e32 v7, v8, v5
	s_delay_alu instid0(VALU_DEP_1) | instskip(NEXT) | instid1(VALU_DEP_1)
	v_fma_f32 v9, v4, v7, v8
	v_fmac_f32_e32 v7, v9, v5
	s_delay_alu instid0(VALU_DEP_1) | instskip(SKIP_1) | instid1(VALU_DEP_1)
	v_fmac_f32_e32 v8, v4, v7
	s_wait_alu 0xfffd
	v_div_fmas_f32 v4, v8, v5, v7
	s_delay_alu instid0(VALU_DEP_1) | instskip(NEXT) | instid1(VALU_DEP_1)
	v_div_fixup_f32 v4, v4, v3, v2
	v_fma_f32 v5, v2, v4, v3
	s_delay_alu instid0(VALU_DEP_1) | instskip(SKIP_1) | instid1(VALU_DEP_2)
	v_div_scale_f32 v7, null, v5, v5, 1.0
	v_div_scale_f32 v10, vcc_lo, 1.0, v5, 1.0
	v_rcp_f32_e32 v8, v7
	v_xor_b32_e32 v7, 0x80000000, v7
	s_delay_alu instid0(TRANS32_DEP_1) | instid1(VALU_DEP_1)
	v_fma_f32 v9, v7, v8, 1.0
	s_delay_alu instid0(VALU_DEP_1) | instskip(NEXT) | instid1(VALU_DEP_1)
	v_fmac_f32_e32 v8, v9, v8
	v_mul_f32_e32 v9, v10, v8
	s_delay_alu instid0(VALU_DEP_1) | instskip(NEXT) | instid1(VALU_DEP_1)
	v_fma_f32 v11, v7, v9, v10
	v_fmac_f32_e32 v9, v11, v8
	s_delay_alu instid0(VALU_DEP_1) | instskip(SKIP_1) | instid1(VALU_DEP_1)
	v_fmac_f32_e32 v10, v7, v9
	s_wait_alu 0xfffd
	v_div_fmas_f32 v7, v10, v8, v9
	v_fma_f32 v8, v0, v4, v1
	s_delay_alu instid0(VALU_DEP_2) | instskip(SKIP_1) | instid1(VALU_DEP_2)
	v_div_fixup_f32 v5, v7, v5, 1.0
	v_fma_f32 v7, v1, v4, -v0
	v_mul_f32_e32 v4, v8, v5
	s_delay_alu instid0(VALU_DEP_2)
	v_mul_f32_e32 v5, v7, v5
.LBB157_47:                             ;   in Loop: Header=BB157_43 Depth=2
	s_wait_alu 0xfffe
	s_and_not1_b32 vcc_lo, exec_lo, s21
	s_wait_alu 0xfffe
	s_cbranch_vccnz .LBB157_42
; %bb.48:                               ;   in Loop: Header=BB157_43 Depth=2
	v_div_scale_f32 v4, null, v2, v2, v3
	v_div_scale_f32 v8, vcc_lo, v3, v2, v3
	s_delay_alu instid0(VALU_DEP_2)
	v_rcp_f32_e32 v5, v4
	v_xor_b32_e32 v4, 0x80000000, v4
	s_delay_alu instid0(TRANS32_DEP_1) | instid1(VALU_DEP_1)
	v_fma_f32 v7, v4, v5, 1.0
	s_delay_alu instid0(VALU_DEP_1) | instskip(NEXT) | instid1(VALU_DEP_1)
	v_fmac_f32_e32 v5, v7, v5
	v_mul_f32_e32 v7, v8, v5
	s_delay_alu instid0(VALU_DEP_1) | instskip(NEXT) | instid1(VALU_DEP_1)
	v_fma_f32 v9, v4, v7, v8
	v_fmac_f32_e32 v7, v9, v5
	s_delay_alu instid0(VALU_DEP_1) | instskip(SKIP_1) | instid1(VALU_DEP_1)
	v_fmac_f32_e32 v8, v4, v7
	s_wait_alu 0xfffd
	v_div_fmas_f32 v4, v8, v5, v7
	s_delay_alu instid0(VALU_DEP_1) | instskip(NEXT) | instid1(VALU_DEP_1)
	v_div_fixup_f32 v4, v4, v2, v3
	v_fmac_f32_e32 v2, v3, v4
	s_delay_alu instid0(VALU_DEP_1) | instskip(SKIP_1) | instid1(VALU_DEP_2)
	v_div_scale_f32 v3, null, v2, v2, 1.0
	v_div_scale_f32 v8, vcc_lo, 1.0, v2, 1.0
	v_rcp_f32_e32 v5, v3
	v_xor_b32_e32 v3, 0x80000000, v3
	s_delay_alu instid0(TRANS32_DEP_1) | instid1(VALU_DEP_1)
	v_fma_f32 v7, v3, v5, 1.0
	s_delay_alu instid0(VALU_DEP_1) | instskip(NEXT) | instid1(VALU_DEP_1)
	v_fmac_f32_e32 v5, v7, v5
	v_mul_f32_e32 v7, v8, v5
	s_delay_alu instid0(VALU_DEP_1) | instskip(NEXT) | instid1(VALU_DEP_1)
	v_fma_f32 v9, v3, v7, v8
	v_fmac_f32_e32 v7, v9, v5
	s_delay_alu instid0(VALU_DEP_1) | instskip(SKIP_1) | instid1(VALU_DEP_1)
	v_fmac_f32_e32 v8, v3, v7
	s_wait_alu 0xfffd
	v_div_fmas_f32 v3, v8, v5, v7
	v_fma_f32 v5, v1, v4, v0
	v_fma_f32 v0, -v0, v4, v1
	s_delay_alu instid0(VALU_DEP_3) | instskip(NEXT) | instid1(VALU_DEP_1)
	v_div_fixup_f32 v2, v3, v2, 1.0
	v_mul_f32_e32 v4, v5, v2
	s_delay_alu instid0(VALU_DEP_3)
	v_mul_f32_e32 v5, v0, v2
	s_branch .LBB157_42
.LBB157_49:                             ;   in Loop: Header=BB157_3 Depth=1
	s_mov_b32 s20, 0
.LBB157_50:                             ;   in Loop: Header=BB157_3 Depth=1
	s_wait_alu 0xfffe
	s_and_b32 vcc_lo, exec_lo, s20
	s_wait_alu 0xfffe
	s_cbranch_vccz .LBB157_82
; %bb.51:                               ;   in Loop: Header=BB157_3 Depth=1
	s_mov_b32 s34, s25
	s_and_not1_b32 vcc_lo, exec_lo, s22
	s_mov_b32 s20, s29
	s_mov_b32 s21, s25
	s_wait_alu 0xfffe
	s_cbranch_vccnz .LBB157_73
.LBB157_52:                             ;   Parent Loop BB157_3 Depth=1
                                        ; =>  This Loop Header: Depth=2
                                        ;       Child Loop BB157_53 Depth 3
	s_wait_alu 0xfffe
	s_mul_i32 s35, s21, 0xa0
	s_mov_b32 s36, s25
	s_wait_alu 0xfffe
	v_add_nc_u32_e32 v20, s35, v14
	s_add_co_i32 s34, s35, 0xfffffe20
	s_cmp_le_i32 s25, s21
	s_wait_alu 0xfffe
	v_add_nc_u32_e32 v17, s34, v14
	s_mov_b32 s34, s20
	v_dual_mov_b32 v4, v27 :: v_dual_add_nc_u32 v19, 0xffffff60, v20
	v_add_nc_u32_e32 v18, 0xfffffec0, v20
	ds_load_b64 v[8:9], v20
	ds_load_b64 v[6:7], v19
	ds_load_b64 v[2:3], v18
	ds_load_b64 v[0:1], v17
	s_cbranch_scc1 .LBB157_54
.LBB157_53:                             ;   Parent Loop BB157_3 Depth=1
                                        ;     Parent Loop BB157_52 Depth=2
                                        ; =>    This Inner Loop Header: Depth=3
	s_wait_alu 0xfffe
	v_mov_b32_e32 v5, s34
	s_add_co_i32 s36, s36, -1
	s_addk_co_i32 s34, 0xff60
	s_wait_alu 0xfffe
	s_cmp_le_i32 s36, s21
	ds_load_b64 v[10:11], v4
	ds_load_2addr_b64 v[30:33], v5 offset0:2 offset1:3
	ds_load_2addr_b64 v[34:37], v5 offset1:1
	s_wait_dscnt 0x1
	v_dual_mul_f32 v5, v33, v11 :: v_dual_add_nc_u32 v4, 0xffffff60, v4
	v_mul_f32_e32 v38, v32, v11
	v_mul_f32_e32 v39, v31, v11
	s_wait_dscnt 0x0
	v_dual_mul_f32 v31, v31, v10 :: v_dual_mul_f32 v40, v37, v11
	v_mul_f32_e32 v41, v35, v11
	v_mul_f32_e32 v35, v35, v10
	v_fma_f32 v5, v32, v10, -v5
	v_mul_f32_e32 v37, v37, v10
	v_fmac_f32_e32 v38, v33, v10
	v_fma_f32 v32, v30, v10, -v39
	v_fmac_f32_e32 v31, v30, v11
	v_fma_f32 v30, v36, v10, -v40
	v_dual_fmac_f32 v35, v34, v11 :: v_dual_sub_f32 v8, v8, v5
	v_fmac_f32_e32 v37, v36, v11
	v_sub_f32_e32 v9, v9, v38
	s_delay_alu instid0(VALU_DEP_4) | instskip(SKIP_1) | instid1(VALU_DEP_4)
	v_sub_f32_e32 v2, v2, v30
	v_fma_f32 v10, v34, v10, -v41
	v_dual_sub_f32 v6, v6, v32 :: v_dual_sub_f32 v3, v3, v37
	s_delay_alu instid0(VALU_DEP_2)
	v_dual_sub_f32 v1, v1, v35 :: v_dual_sub_f32 v0, v0, v10
	v_sub_f32_e32 v7, v7, v31
	s_cbranch_scc0 .LBB157_53
.LBB157_54:                             ;   in Loop: Header=BB157_52 Depth=2
	s_add_co_i32 s34, s21, -3
; %bb.55:                               ;   in Loop: Header=BB157_52 Depth=2
	s_lshl_b32 s36, s21, 3
	s_wait_alu 0xfffe
	s_add_co_i32 s35, s36, s35
	s_mov_b32 s36, -1
	s_wait_alu 0xfffe
	v_mov_b32_e32 v4, s35
	ds_load_b64 v[10:11], v4
	s_wait_dscnt 0x0
	v_and_b32_e32 v4, 0x7fffffff, v10
	v_and_b32_e32 v5, 0x7fffffff, v11
	s_delay_alu instid0(VALU_DEP_1)
	v_cmp_ngt_f32_e32 vcc_lo, v4, v5
                                        ; implicit-def: $vgpr5
	s_cbranch_vccz .LBB157_57
; %bb.56:                               ;   in Loop: Header=BB157_52 Depth=2
	v_div_scale_f32 v4, null, v11, v11, v10
	v_div_scale_f32 v31, vcc_lo, v10, v11, v10
	s_mov_b32 s36, 0
	v_rcp_f32_e32 v5, v4
	v_xor_b32_e32 v4, 0x80000000, v4
	s_delay_alu instid0(TRANS32_DEP_1) | instid1(VALU_DEP_1)
	v_fma_f32 v30, v4, v5, 1.0
	s_delay_alu instid0(VALU_DEP_1) | instskip(NEXT) | instid1(VALU_DEP_1)
	v_fmac_f32_e32 v5, v30, v5
	v_mul_f32_e32 v30, v31, v5
	s_delay_alu instid0(VALU_DEP_1) | instskip(NEXT) | instid1(VALU_DEP_1)
	v_fma_f32 v32, v4, v30, v31
	v_fmac_f32_e32 v30, v32, v5
	s_delay_alu instid0(VALU_DEP_1) | instskip(SKIP_1) | instid1(VALU_DEP_1)
	v_fmac_f32_e32 v31, v4, v30
	s_wait_alu 0xfffd
	v_div_fmas_f32 v4, v31, v5, v30
	s_delay_alu instid0(VALU_DEP_1) | instskip(NEXT) | instid1(VALU_DEP_1)
	v_div_fixup_f32 v4, v4, v11, v10
	v_fma_f32 v5, v10, v4, v11
	s_delay_alu instid0(VALU_DEP_1) | instskip(SKIP_1) | instid1(VALU_DEP_2)
	v_div_scale_f32 v30, null, v5, v5, 1.0
	v_div_scale_f32 v33, vcc_lo, 1.0, v5, 1.0
	v_rcp_f32_e32 v31, v30
	v_xor_b32_e32 v30, 0x80000000, v30
	s_delay_alu instid0(TRANS32_DEP_1) | instid1(VALU_DEP_1)
	v_fma_f32 v32, v30, v31, 1.0
	s_delay_alu instid0(VALU_DEP_1) | instskip(NEXT) | instid1(VALU_DEP_1)
	v_fmac_f32_e32 v31, v32, v31
	v_mul_f32_e32 v32, v33, v31
	s_delay_alu instid0(VALU_DEP_1) | instskip(NEXT) | instid1(VALU_DEP_1)
	v_fma_f32 v34, v30, v32, v33
	v_fmac_f32_e32 v32, v34, v31
	s_delay_alu instid0(VALU_DEP_1) | instskip(SKIP_1) | instid1(VALU_DEP_1)
	v_fmac_f32_e32 v33, v30, v32
	s_wait_alu 0xfffd
	v_div_fmas_f32 v30, v33, v31, v32
	v_fma_f32 v31, v8, v4, v9
	s_delay_alu instid0(VALU_DEP_2) | instskip(SKIP_1) | instid1(VALU_DEP_2)
	v_div_fixup_f32 v5, v30, v5, 1.0
	v_fma_f32 v30, v9, v4, -v8
	v_mul_f32_e32 v4, v31, v5
	s_delay_alu instid0(VALU_DEP_2)
	v_mul_f32_e32 v5, v30, v5
.LBB157_57:                             ;   in Loop: Header=BB157_52 Depth=2
	s_wait_alu 0xfffe
	s_and_not1_b32 vcc_lo, exec_lo, s36
	s_wait_alu 0xfffe
	s_cbranch_vccnz .LBB157_59
; %bb.58:                               ;   in Loop: Header=BB157_52 Depth=2
	v_div_scale_f32 v4, null, v10, v10, v11
	v_div_scale_f32 v31, vcc_lo, v11, v10, v11
	s_delay_alu instid0(VALU_DEP_2)
	v_rcp_f32_e32 v5, v4
	v_xor_b32_e32 v4, 0x80000000, v4
	s_delay_alu instid0(TRANS32_DEP_1) | instid1(VALU_DEP_1)
	v_fma_f32 v30, v4, v5, 1.0
	s_delay_alu instid0(VALU_DEP_1) | instskip(NEXT) | instid1(VALU_DEP_1)
	v_fmac_f32_e32 v5, v30, v5
	v_mul_f32_e32 v30, v31, v5
	s_delay_alu instid0(VALU_DEP_1) | instskip(NEXT) | instid1(VALU_DEP_1)
	v_fma_f32 v32, v4, v30, v31
	v_fmac_f32_e32 v30, v32, v5
	s_delay_alu instid0(VALU_DEP_1) | instskip(SKIP_1) | instid1(VALU_DEP_1)
	v_fmac_f32_e32 v31, v4, v30
	s_wait_alu 0xfffd
	v_div_fmas_f32 v4, v31, v5, v30
	s_delay_alu instid0(VALU_DEP_1) | instskip(NEXT) | instid1(VALU_DEP_1)
	v_div_fixup_f32 v4, v4, v10, v11
	v_fmac_f32_e32 v10, v11, v4
	s_delay_alu instid0(VALU_DEP_1) | instskip(SKIP_1) | instid1(VALU_DEP_2)
	v_div_scale_f32 v5, null, v10, v10, 1.0
	v_div_scale_f32 v31, vcc_lo, 1.0, v10, 1.0
	v_rcp_f32_e32 v11, v5
	v_xor_b32_e32 v5, 0x80000000, v5
	s_delay_alu instid0(TRANS32_DEP_1) | instid1(VALU_DEP_1)
	v_fma_f32 v30, v5, v11, 1.0
	s_delay_alu instid0(VALU_DEP_1) | instskip(NEXT) | instid1(VALU_DEP_1)
	v_fmac_f32_e32 v11, v30, v11
	v_mul_f32_e32 v30, v31, v11
	s_delay_alu instid0(VALU_DEP_1) | instskip(NEXT) | instid1(VALU_DEP_1)
	v_fma_f32 v32, v5, v30, v31
	v_fmac_f32_e32 v30, v32, v11
	s_delay_alu instid0(VALU_DEP_1) | instskip(SKIP_1) | instid1(VALU_DEP_1)
	v_fmac_f32_e32 v31, v5, v30
	s_wait_alu 0xfffd
	v_div_fmas_f32 v5, v31, v11, v30
	v_fma_f32 v11, v9, v4, v8
	v_fma_f32 v8, -v8, v4, v9
	s_delay_alu instid0(VALU_DEP_3) | instskip(NEXT) | instid1(VALU_DEP_1)
	v_div_fixup_f32 v5, v5, v10, 1.0
	v_mul_f32_e32 v4, v11, v5
	s_delay_alu instid0(VALU_DEP_3)
	v_mul_f32_e32 v5, v8, v5
.LBB157_59:                             ;   in Loop: Header=BB157_52 Depth=2
	s_add_co_i32 s37, s35, -8
	s_add_co_i32 s36, s35, 0xffffff58
	s_wait_alu 0xfffe
	v_dual_mov_b32 v8, s37 :: v_dual_mov_b32 v9, s36
	s_mov_b32 s37, -1
	ds_load_b64 v[10:11], v8
	ds_load_b64 v[8:9], v9
	ds_store_b64 v20, v[4:5]
	s_wait_dscnt 0x1
	v_dual_mul_f32 v30, v5, v11 :: v_dual_and_b32 v31, 0x7fffffff, v8
	v_dual_mul_f32 v11, v4, v11 :: v_dual_and_b32 v32, 0x7fffffff, v9
	s_delay_alu instid0(VALU_DEP_2) | instskip(NEXT) | instid1(VALU_DEP_2)
	v_fma_f32 v30, v4, v10, -v30
	v_fmac_f32_e32 v11, v5, v10
	s_delay_alu instid0(VALU_DEP_3) | instskip(NEXT) | instid1(VALU_DEP_2)
	v_cmp_ngt_f32_e32 vcc_lo, v31, v32
	v_dual_sub_f32 v10, v6, v30 :: v_dual_sub_f32 v11, v7, v11
                                        ; implicit-def: $vgpr7
	s_cbranch_vccz .LBB157_61
; %bb.60:                               ;   in Loop: Header=BB157_52 Depth=2
	v_div_scale_f32 v6, null, v9, v9, v8
	v_div_scale_f32 v30, vcc_lo, v8, v9, v8
	s_mov_b32 s37, 0
	v_rcp_f32_e32 v7, v6
	v_xor_b32_e32 v6, 0x80000000, v6
	s_delay_alu instid0(TRANS32_DEP_1) | instid1(VALU_DEP_1)
	v_fma_f32 v20, v6, v7, 1.0
	s_delay_alu instid0(VALU_DEP_1) | instskip(NEXT) | instid1(VALU_DEP_1)
	v_fmac_f32_e32 v7, v20, v7
	v_mul_f32_e32 v20, v30, v7
	s_delay_alu instid0(VALU_DEP_1) | instskip(NEXT) | instid1(VALU_DEP_1)
	v_fma_f32 v31, v6, v20, v30
	v_fmac_f32_e32 v20, v31, v7
	s_delay_alu instid0(VALU_DEP_1) | instskip(SKIP_1) | instid1(VALU_DEP_1)
	v_fmac_f32_e32 v30, v6, v20
	s_wait_alu 0xfffd
	v_div_fmas_f32 v6, v30, v7, v20
	s_delay_alu instid0(VALU_DEP_1) | instskip(NEXT) | instid1(VALU_DEP_1)
	v_div_fixup_f32 v6, v6, v9, v8
	v_fma_f32 v7, v8, v6, v9
	s_delay_alu instid0(VALU_DEP_1) | instskip(SKIP_1) | instid1(VALU_DEP_2)
	v_div_scale_f32 v20, null, v7, v7, 1.0
	v_div_scale_f32 v32, vcc_lo, 1.0, v7, 1.0
	v_rcp_f32_e32 v30, v20
	v_xor_b32_e32 v20, 0x80000000, v20
	s_delay_alu instid0(TRANS32_DEP_1) | instid1(VALU_DEP_1)
	v_fma_f32 v31, v20, v30, 1.0
	s_delay_alu instid0(VALU_DEP_1) | instskip(NEXT) | instid1(VALU_DEP_1)
	v_fmac_f32_e32 v30, v31, v30
	v_mul_f32_e32 v31, v32, v30
	s_delay_alu instid0(VALU_DEP_1) | instskip(NEXT) | instid1(VALU_DEP_1)
	v_fma_f32 v33, v20, v31, v32
	v_fmac_f32_e32 v31, v33, v30
	s_delay_alu instid0(VALU_DEP_1) | instskip(SKIP_1) | instid1(VALU_DEP_1)
	v_fmac_f32_e32 v32, v20, v31
	s_wait_alu 0xfffd
	v_div_fmas_f32 v20, v32, v30, v31
	v_fma_f32 v30, v6, v10, v11
	s_delay_alu instid0(VALU_DEP_2) | instskip(SKIP_1) | instid1(VALU_DEP_2)
	v_div_fixup_f32 v7, v20, v7, 1.0
	v_fma_f32 v20, v6, v11, -v10
	v_mul_f32_e32 v6, v30, v7
	s_delay_alu instid0(VALU_DEP_2)
	v_mul_f32_e32 v7, v20, v7
.LBB157_61:                             ;   in Loop: Header=BB157_52 Depth=2
	s_wait_alu 0xfffe
	s_and_not1_b32 vcc_lo, exec_lo, s37
	s_wait_alu 0xfffe
	s_cbranch_vccnz .LBB157_63
; %bb.62:                               ;   in Loop: Header=BB157_52 Depth=2
	v_div_scale_f32 v6, null, v8, v8, v9
	v_div_scale_f32 v30, vcc_lo, v9, v8, v9
	s_delay_alu instid0(VALU_DEP_2)
	v_rcp_f32_e32 v7, v6
	v_xor_b32_e32 v6, 0x80000000, v6
	s_delay_alu instid0(TRANS32_DEP_1) | instid1(VALU_DEP_1)
	v_fma_f32 v20, v6, v7, 1.0
	s_delay_alu instid0(VALU_DEP_1) | instskip(NEXT) | instid1(VALU_DEP_1)
	v_fmac_f32_e32 v7, v20, v7
	v_mul_f32_e32 v20, v30, v7
	s_delay_alu instid0(VALU_DEP_1) | instskip(NEXT) | instid1(VALU_DEP_1)
	v_fma_f32 v31, v6, v20, v30
	v_fmac_f32_e32 v20, v31, v7
	s_delay_alu instid0(VALU_DEP_1) | instskip(SKIP_1) | instid1(VALU_DEP_1)
	v_fmac_f32_e32 v30, v6, v20
	s_wait_alu 0xfffd
	v_div_fmas_f32 v6, v30, v7, v20
	s_delay_alu instid0(VALU_DEP_1) | instskip(NEXT) | instid1(VALU_DEP_1)
	v_div_fixup_f32 v6, v6, v8, v9
	v_fmac_f32_e32 v8, v9, v6
	s_delay_alu instid0(VALU_DEP_1) | instskip(NEXT) | instid1(VALU_DEP_1)
	v_div_scale_f32 v7, null, v8, v8, 1.0
	v_rcp_f32_e32 v9, v7
	v_xor_b32_e32 v7, 0x80000000, v7
	s_delay_alu instid0(TRANS32_DEP_1) | instid1(VALU_DEP_1)
	v_fma_f32 v20, v7, v9, 1.0
	s_delay_alu instid0(VALU_DEP_1) | instskip(SKIP_1) | instid1(VALU_DEP_1)
	v_fmac_f32_e32 v9, v20, v9
	v_div_scale_f32 v30, vcc_lo, 1.0, v8, 1.0
	v_mul_f32_e32 v20, v30, v9
	s_delay_alu instid0(VALU_DEP_1) | instskip(NEXT) | instid1(VALU_DEP_1)
	v_fma_f32 v31, v7, v20, v30
	v_fmac_f32_e32 v20, v31, v9
	s_delay_alu instid0(VALU_DEP_1) | instskip(SKIP_1) | instid1(VALU_DEP_1)
	v_fmac_f32_e32 v30, v7, v20
	s_wait_alu 0xfffd
	v_div_fmas_f32 v7, v30, v9, v20
	v_fma_f32 v9, v6, v11, v10
	s_delay_alu instid0(VALU_DEP_2) | instskip(SKIP_1) | instid1(VALU_DEP_2)
	v_div_fixup_f32 v7, v7, v8, 1.0
	v_fma_f32 v8, -v6, v10, v11
	v_mul_f32_e32 v6, v9, v7
	s_delay_alu instid0(VALU_DEP_2)
	v_mul_f32_e32 v7, v8, v7
.LBB157_63:                             ;   in Loop: Header=BB157_52 Depth=2
	s_add_co_i32 s38, s21, -1
	s_add_co_i32 s37, s35, -16
	s_wait_alu 0xfffe
	s_lshl_b32 s38, s38, 3
	s_wait_alu 0xfffe
	s_sub_co_i32 s38, s36, s38
	s_add_co_i32 s36, s35, 0xfffffeb0
	s_wait_alu 0xfffe
	v_dual_mov_b32 v8, s37 :: v_dual_mov_b32 v9, s36
	s_add_co_i32 s37, s21, -2
	s_wait_alu 0xfffe
	s_lshl_b32 s37, s37, 3
	ds_load_b64 v[10:11], v8
	s_wait_alu 0xfffe
	s_add_co_i32 s39, s38, s37
	s_wait_alu 0xfffe
	v_mov_b32_e32 v8, s39
	s_mov_b32 s39, -1
	s_wait_dscnt 0x0
	v_mul_f32_e32 v20, v5, v11
	v_mul_f32_e32 v11, v4, v11
	ds_load_b64 v[30:31], v8
	ds_load_b64 v[8:9], v9
	ds_store_b64 v19, v[6:7]
	v_fmac_f32_e32 v11, v5, v10
	s_wait_dscnt 0x1
	v_and_b32_e32 v33, 0x7fffffff, v9
	v_fma_f32 v20, v4, v10, -v20
	v_mul_f32_e32 v10, v7, v31
	v_dual_mul_f32 v31, v6, v31 :: v_dual_and_b32 v32, 0x7fffffff, v8
	s_delay_alu instid0(VALU_DEP_3) | instskip(NEXT) | instid1(VALU_DEP_3)
	v_dual_sub_f32 v3, v3, v11 :: v_dual_sub_f32 v2, v2, v20
	v_fma_f32 v10, v6, v30, -v10
	s_delay_alu instid0(VALU_DEP_3) | instskip(NEXT) | instid1(VALU_DEP_4)
	v_fmac_f32_e32 v31, v7, v30
	v_cmp_ngt_f32_e32 vcc_lo, v32, v33
	s_delay_alu instid0(VALU_DEP_2)
	v_dual_sub_f32 v2, v2, v10 :: v_dual_sub_f32 v3, v3, v31
                                        ; implicit-def: $vgpr11
	s_cbranch_vccz .LBB157_65
; %bb.64:                               ;   in Loop: Header=BB157_52 Depth=2
	v_div_scale_f32 v10, null, v9, v9, v8
	v_div_scale_f32 v20, vcc_lo, v8, v9, v8
	s_mov_b32 s39, 0
	v_rcp_f32_e32 v11, v10
	v_xor_b32_e32 v10, 0x80000000, v10
	s_delay_alu instid0(TRANS32_DEP_1) | instid1(VALU_DEP_1)
	v_fma_f32 v19, v10, v11, 1.0
	s_delay_alu instid0(VALU_DEP_1) | instskip(NEXT) | instid1(VALU_DEP_1)
	v_fmac_f32_e32 v11, v19, v11
	v_mul_f32_e32 v19, v20, v11
	s_delay_alu instid0(VALU_DEP_1) | instskip(NEXT) | instid1(VALU_DEP_1)
	v_fma_f32 v30, v10, v19, v20
	v_fmac_f32_e32 v19, v30, v11
	s_delay_alu instid0(VALU_DEP_1) | instskip(SKIP_1) | instid1(VALU_DEP_1)
	v_fmac_f32_e32 v20, v10, v19
	s_wait_alu 0xfffd
	v_div_fmas_f32 v10, v20, v11, v19
	s_delay_alu instid0(VALU_DEP_1) | instskip(NEXT) | instid1(VALU_DEP_1)
	v_div_fixup_f32 v10, v10, v9, v8
	v_fma_f32 v11, v8, v10, v9
	s_delay_alu instid0(VALU_DEP_1) | instskip(SKIP_1) | instid1(VALU_DEP_2)
	v_div_scale_f32 v19, null, v11, v11, 1.0
	v_div_scale_f32 v31, vcc_lo, 1.0, v11, 1.0
	v_rcp_f32_e32 v20, v19
	v_xor_b32_e32 v19, 0x80000000, v19
	s_delay_alu instid0(TRANS32_DEP_1) | instid1(VALU_DEP_1)
	v_fma_f32 v30, v19, v20, 1.0
	s_delay_alu instid0(VALU_DEP_1) | instskip(NEXT) | instid1(VALU_DEP_1)
	v_fmac_f32_e32 v20, v30, v20
	v_mul_f32_e32 v30, v31, v20
	s_delay_alu instid0(VALU_DEP_1) | instskip(NEXT) | instid1(VALU_DEP_1)
	v_fma_f32 v32, v19, v30, v31
	v_fmac_f32_e32 v30, v32, v20
	s_delay_alu instid0(VALU_DEP_1) | instskip(SKIP_1) | instid1(VALU_DEP_1)
	v_fmac_f32_e32 v31, v19, v30
	s_wait_alu 0xfffd
	v_div_fmas_f32 v19, v31, v20, v30
	v_fma_f32 v20, v10, v2, v3
	s_delay_alu instid0(VALU_DEP_2) | instskip(SKIP_1) | instid1(VALU_DEP_2)
	v_div_fixup_f32 v11, v19, v11, 1.0
	v_fma_f32 v19, v10, v3, -v2
	v_mul_f32_e32 v10, v20, v11
	s_delay_alu instid0(VALU_DEP_2)
	v_mul_f32_e32 v11, v19, v11
.LBB157_65:                             ;   in Loop: Header=BB157_52 Depth=2
	s_wait_alu 0xfffe
	s_and_not1_b32 vcc_lo, exec_lo, s39
	s_wait_alu 0xfffe
	s_cbranch_vccnz .LBB157_67
; %bb.66:                               ;   in Loop: Header=BB157_52 Depth=2
	v_div_scale_f32 v10, null, v8, v8, v9
	v_div_scale_f32 v20, vcc_lo, v9, v8, v9
	s_delay_alu instid0(VALU_DEP_2)
	v_rcp_f32_e32 v11, v10
	v_xor_b32_e32 v10, 0x80000000, v10
	s_delay_alu instid0(TRANS32_DEP_1) | instid1(VALU_DEP_1)
	v_fma_f32 v19, v10, v11, 1.0
	s_delay_alu instid0(VALU_DEP_1) | instskip(NEXT) | instid1(VALU_DEP_1)
	v_fmac_f32_e32 v11, v19, v11
	v_mul_f32_e32 v19, v20, v11
	s_delay_alu instid0(VALU_DEP_1) | instskip(NEXT) | instid1(VALU_DEP_1)
	v_fma_f32 v30, v10, v19, v20
	v_fmac_f32_e32 v19, v30, v11
	s_delay_alu instid0(VALU_DEP_1) | instskip(SKIP_1) | instid1(VALU_DEP_1)
	v_fmac_f32_e32 v20, v10, v19
	s_wait_alu 0xfffd
	v_div_fmas_f32 v10, v20, v11, v19
	s_delay_alu instid0(VALU_DEP_1) | instskip(NEXT) | instid1(VALU_DEP_1)
	v_div_fixup_f32 v10, v10, v8, v9
	v_fmac_f32_e32 v8, v9, v10
	s_delay_alu instid0(VALU_DEP_1) | instskip(SKIP_1) | instid1(VALU_DEP_2)
	v_div_scale_f32 v9, null, v8, v8, 1.0
	v_div_scale_f32 v20, vcc_lo, 1.0, v8, 1.0
	v_rcp_f32_e32 v11, v9
	v_xor_b32_e32 v9, 0x80000000, v9
	s_delay_alu instid0(TRANS32_DEP_1) | instid1(VALU_DEP_1)
	v_fma_f32 v19, v9, v11, 1.0
	s_delay_alu instid0(VALU_DEP_1) | instskip(NEXT) | instid1(VALU_DEP_1)
	v_fmac_f32_e32 v11, v19, v11
	v_mul_f32_e32 v19, v20, v11
	s_delay_alu instid0(VALU_DEP_1) | instskip(NEXT) | instid1(VALU_DEP_1)
	v_fma_f32 v30, v9, v19, v20
	v_fmac_f32_e32 v19, v30, v11
	s_delay_alu instid0(VALU_DEP_1) | instskip(SKIP_1) | instid1(VALU_DEP_1)
	v_fmac_f32_e32 v20, v9, v19
	s_wait_alu 0xfffd
	v_div_fmas_f32 v9, v20, v11, v19
	v_fma_f32 v11, v10, v3, v2
	v_fma_f32 v2, -v10, v2, v3
	s_delay_alu instid0(VALU_DEP_3) | instskip(NEXT) | instid1(VALU_DEP_1)
	v_div_fixup_f32 v8, v9, v8, 1.0
	v_mul_f32_e32 v10, v11, v8
	s_delay_alu instid0(VALU_DEP_3)
	v_mul_f32_e32 v11, v2, v8
.LBB157_67:                             ;   in Loop: Header=BB157_52 Depth=2
	s_sub_co_i32 s35, s35, 24
	s_lshl_b32 s34, s34, 3
	s_wait_alu 0xfffe
	v_mov_b32_e32 v2, s35
	s_add_co_i32 s35, s38, s34
	s_sub_co_i32 s37, s36, s37
	s_wait_alu 0xfffe
	v_mov_b32_e32 v3, s35
	s_add_co_i32 s34, s37, s34
	ds_load_b64 v[8:9], v2
	ds_load_b64 v[19:20], v3
	s_wait_alu 0xfffe
	v_mov_b32_e32 v30, s34
	s_add_co_i32 s34, s36, 0xffffff58
	s_wait_alu 0xfffe
	v_mov_b32_e32 v2, s34
	s_mov_b32 s34, -1
	s_wait_dscnt 0x1
	v_mul_f32_e32 v32, v5, v9
	v_mul_f32_e32 v9, v4, v9
	s_wait_dscnt 0x0
	v_mul_f32_e32 v33, v7, v20
	ds_load_b64 v[30:31], v30
	ds_load_b64 v[2:3], v2
	v_mul_f32_e32 v20, v6, v20
	ds_store_b64 v18, v[10:11]
	v_fmac_f32_e32 v9, v5, v8
	v_fma_f32 v6, v6, v19, -v33
	s_wait_dscnt 0x2
	s_delay_alu instid0(VALU_DEP_2)
	v_dual_sub_f32 v1, v1, v9 :: v_dual_mul_f32 v34, v11, v31
	v_mul_f32_e32 v31, v10, v31
	v_fma_f32 v4, v4, v8, -v32
	s_wait_dscnt 0x1
	v_dual_fmac_f32 v20, v7, v19 :: v_dual_and_b32 v5, 0x7fffffff, v2
	v_fma_f32 v7, v10, v30, -v34
	s_delay_alu instid0(VALU_DEP_3) | instskip(NEXT) | instid1(VALU_DEP_3)
	v_dual_fmac_f32 v31, v11, v30 :: v_dual_sub_f32 v0, v0, v4
	v_dual_sub_f32 v1, v1, v20 :: v_dual_and_b32 v4, 0x7fffffff, v3
	s_delay_alu instid0(VALU_DEP_2) | instskip(NEXT) | instid1(VALU_DEP_2)
	v_sub_f32_e32 v0, v0, v6
	v_cmp_ngt_f32_e32 vcc_lo, v5, v4
	s_delay_alu instid0(VALU_DEP_3) | instskip(NEXT) | instid1(VALU_DEP_3)
	v_sub_f32_e32 v5, v1, v31
	v_sub_f32_e32 v4, v0, v7
                                        ; implicit-def: $vgpr1
	s_cbranch_vccz .LBB157_69
; %bb.68:                               ;   in Loop: Header=BB157_52 Depth=2
	v_div_scale_f32 v0, null, v3, v3, v2
	v_div_scale_f32 v7, vcc_lo, v2, v3, v2
	s_mov_b32 s34, 0
	v_rcp_f32_e32 v1, v0
	v_xor_b32_e32 v0, 0x80000000, v0
	s_delay_alu instid0(TRANS32_DEP_1) | instid1(VALU_DEP_1)
	v_fma_f32 v6, v0, v1, 1.0
	s_delay_alu instid0(VALU_DEP_1) | instskip(NEXT) | instid1(VALU_DEP_1)
	v_fmac_f32_e32 v1, v6, v1
	v_mul_f32_e32 v6, v7, v1
	s_delay_alu instid0(VALU_DEP_1) | instskip(NEXT) | instid1(VALU_DEP_1)
	v_fma_f32 v8, v0, v6, v7
	v_fmac_f32_e32 v6, v8, v1
	s_delay_alu instid0(VALU_DEP_1) | instskip(SKIP_1) | instid1(VALU_DEP_1)
	v_fmac_f32_e32 v7, v0, v6
	s_wait_alu 0xfffd
	v_div_fmas_f32 v0, v7, v1, v6
	s_delay_alu instid0(VALU_DEP_1) | instskip(NEXT) | instid1(VALU_DEP_1)
	v_div_fixup_f32 v0, v0, v3, v2
	v_fma_f32 v1, v2, v0, v3
	s_delay_alu instid0(VALU_DEP_1) | instskip(SKIP_1) | instid1(VALU_DEP_2)
	v_div_scale_f32 v6, null, v1, v1, 1.0
	v_div_scale_f32 v9, vcc_lo, 1.0, v1, 1.0
	v_rcp_f32_e32 v7, v6
	v_xor_b32_e32 v6, 0x80000000, v6
	s_delay_alu instid0(TRANS32_DEP_1) | instid1(VALU_DEP_1)
	v_fma_f32 v8, v6, v7, 1.0
	s_delay_alu instid0(VALU_DEP_1) | instskip(NEXT) | instid1(VALU_DEP_1)
	v_fmac_f32_e32 v7, v8, v7
	v_mul_f32_e32 v8, v9, v7
	s_delay_alu instid0(VALU_DEP_1) | instskip(NEXT) | instid1(VALU_DEP_1)
	v_fma_f32 v10, v6, v8, v9
	v_fmac_f32_e32 v8, v10, v7
	s_delay_alu instid0(VALU_DEP_1) | instskip(SKIP_1) | instid1(VALU_DEP_1)
	v_fmac_f32_e32 v9, v6, v8
	s_wait_alu 0xfffd
	v_div_fmas_f32 v6, v9, v7, v8
	v_fma_f32 v7, v0, v4, v5
	s_delay_alu instid0(VALU_DEP_2) | instskip(SKIP_1) | instid1(VALU_DEP_2)
	v_div_fixup_f32 v1, v6, v1, 1.0
	v_fma_f32 v6, v0, v5, -v4
	v_mul_f32_e32 v0, v7, v1
	s_delay_alu instid0(VALU_DEP_2)
	v_mul_f32_e32 v1, v6, v1
.LBB157_69:                             ;   in Loop: Header=BB157_52 Depth=2
	s_wait_alu 0xfffe
	s_and_not1_b32 vcc_lo, exec_lo, s34
	s_wait_alu 0xfffe
	s_cbranch_vccnz .LBB157_71
; %bb.70:                               ;   in Loop: Header=BB157_52 Depth=2
	v_div_scale_f32 v0, null, v2, v2, v3
	v_div_scale_f32 v7, vcc_lo, v3, v2, v3
	s_delay_alu instid0(VALU_DEP_2)
	v_rcp_f32_e32 v1, v0
	v_xor_b32_e32 v0, 0x80000000, v0
	s_delay_alu instid0(TRANS32_DEP_1) | instid1(VALU_DEP_1)
	v_fma_f32 v6, v0, v1, 1.0
	s_delay_alu instid0(VALU_DEP_1) | instskip(NEXT) | instid1(VALU_DEP_1)
	v_fmac_f32_e32 v1, v6, v1
	v_mul_f32_e32 v6, v7, v1
	s_delay_alu instid0(VALU_DEP_1) | instskip(NEXT) | instid1(VALU_DEP_1)
	v_fma_f32 v8, v0, v6, v7
	v_fmac_f32_e32 v6, v8, v1
	s_delay_alu instid0(VALU_DEP_1) | instskip(SKIP_1) | instid1(VALU_DEP_1)
	v_fmac_f32_e32 v7, v0, v6
	s_wait_alu 0xfffd
	v_div_fmas_f32 v0, v7, v1, v6
	s_delay_alu instid0(VALU_DEP_1) | instskip(NEXT) | instid1(VALU_DEP_1)
	v_div_fixup_f32 v0, v0, v2, v3
	v_fmac_f32_e32 v2, v3, v0
	s_delay_alu instid0(VALU_DEP_1) | instskip(SKIP_1) | instid1(VALU_DEP_2)
	v_div_scale_f32 v1, null, v2, v2, 1.0
	v_div_scale_f32 v7, vcc_lo, 1.0, v2, 1.0
	v_rcp_f32_e32 v3, v1
	v_xor_b32_e32 v1, 0x80000000, v1
	s_delay_alu instid0(TRANS32_DEP_1) | instid1(VALU_DEP_1)
	v_fma_f32 v6, v1, v3, 1.0
	s_delay_alu instid0(VALU_DEP_1) | instskip(NEXT) | instid1(VALU_DEP_1)
	v_fmac_f32_e32 v3, v6, v3
	v_mul_f32_e32 v6, v7, v3
	s_delay_alu instid0(VALU_DEP_1) | instskip(NEXT) | instid1(VALU_DEP_1)
	v_fma_f32 v8, v1, v6, v7
	v_fmac_f32_e32 v6, v8, v3
	s_delay_alu instid0(VALU_DEP_1) | instskip(SKIP_1) | instid1(VALU_DEP_1)
	v_fmac_f32_e32 v7, v1, v6
	s_wait_alu 0xfffd
	v_div_fmas_f32 v1, v7, v3, v6
	v_fma_f32 v3, v0, v5, v4
	s_delay_alu instid0(VALU_DEP_2) | instskip(SKIP_1) | instid1(VALU_DEP_2)
	v_div_fixup_f32 v1, v1, v2, 1.0
	v_fma_f32 v2, -v0, v4, v5
	v_mul_f32_e32 v0, v3, v1
	s_delay_alu instid0(VALU_DEP_2)
	v_mul_f32_e32 v1, v2, v1
.LBB157_71:                             ;   in Loop: Header=BB157_52 Depth=2
	s_add_co_i32 s34, s21, -4
	s_sub_co_i32 s20, s20, 32
	s_cmp_lt_i32 s21, 7
	ds_store_b64 v17, v[0:1]
	s_cbranch_scc1 .LBB157_73
; %bb.72:                               ;   in Loop: Header=BB157_52 Depth=2
	s_wait_alu 0xfffe
	s_mov_b32 s21, s34
	s_branch .LBB157_52
.LBB157_73:                             ;   in Loop: Header=BB157_3 Depth=1
	s_wait_alu 0xfffe
	s_cmp_lt_i32 s34, 0
	s_cbranch_scc1 .LBB157_82
; %bb.74:                               ;   in Loop: Header=BB157_3 Depth=1
	s_lshl_b32 s20, s34, 3
	s_wait_alu 0xfffe
	s_add_co_i32 s20, s30, s20
	s_branch .LBB157_76
.LBB157_75:                             ;   in Loop: Header=BB157_76 Depth=2
	s_add_co_i32 s21, s34, -1
	s_add_co_i32 s20, s20, -8
	s_cmp_lt_i32 s34, 1
	s_wait_alu 0xfffe
	s_mov_b32 s34, s21
	ds_store_b64 v6, v[4:5]
	s_cbranch_scc1 .LBB157_82
.LBB157_76:                             ;   Parent Loop BB157_3 Depth=1
                                        ; =>  This Loop Header: Depth=2
                                        ;       Child Loop BB157_77 Depth 3
	s_wait_alu 0xfffe
	s_mul_i32 s21, s34, 0xa0
	v_mov_b32_e32 v2, v27
	s_wait_alu 0xfffe
	v_add_nc_u32_e32 v6, s21, v14
	s_cmp_le_i32 s25, s34
	s_mov_b32 s35, s20
	s_mov_b32 s36, s25
	ds_load_b64 v[0:1], v6
	s_cbranch_scc1 .LBB157_78
.LBB157_77:                             ;   Parent Loop BB157_3 Depth=1
                                        ;     Parent Loop BB157_76 Depth=2
                                        ; =>    This Inner Loop Header: Depth=3
	s_wait_alu 0xfffe
	v_mov_b32_e32 v5, s35
	s_add_co_i32 s36, s36, -1
	s_addk_co_i32 s35, 0xff60
	s_wait_alu 0xfffe
	s_cmp_le_i32 s36, s34
	ds_load_b64 v[3:4], v2
	ds_load_b64 v[7:8], v5
	s_wait_dscnt 0x0
	v_dual_mul_f32 v5, v8, v4 :: v_dual_add_nc_u32 v2, 0xffffff60, v2
	v_mul_f32_e32 v4, v7, v4
	s_delay_alu instid0(VALU_DEP_2) | instskip(NEXT) | instid1(VALU_DEP_2)
	v_fma_f32 v5, v7, v3, -v5
	v_fmac_f32_e32 v4, v8, v3
	s_delay_alu instid0(VALU_DEP_1)
	v_dual_sub_f32 v0, v0, v5 :: v_dual_sub_f32 v1, v1, v4
	s_cbranch_scc0 .LBB157_77
.LBB157_78:                             ;   in Loop: Header=BB157_76 Depth=2
	s_lshl_b32 s35, s34, 3
	s_wait_alu 0xfffe
	s_add_co_i32 s21, s35, s21
	s_wait_alu 0xfffe
	v_mov_b32_e32 v2, s21
	s_mov_b32 s21, -1
	ds_load_b64 v[2:3], v2
	s_wait_dscnt 0x0
	v_and_b32_e32 v4, 0x7fffffff, v2
	v_and_b32_e32 v5, 0x7fffffff, v3
	s_delay_alu instid0(VALU_DEP_1)
	v_cmp_ngt_f32_e32 vcc_lo, v4, v5
                                        ; implicit-def: $vgpr4
	s_cbranch_vccz .LBB157_80
; %bb.79:                               ;   in Loop: Header=BB157_76 Depth=2
	v_div_scale_f32 v4, null, v3, v3, v2
	v_div_scale_f32 v8, vcc_lo, v2, v3, v2
	s_mov_b32 s21, 0
	v_rcp_f32_e32 v5, v4
	v_xor_b32_e32 v4, 0x80000000, v4
	s_delay_alu instid0(TRANS32_DEP_1) | instid1(VALU_DEP_1)
	v_fma_f32 v7, v4, v5, 1.0
	s_delay_alu instid0(VALU_DEP_1) | instskip(NEXT) | instid1(VALU_DEP_1)
	v_fmac_f32_e32 v5, v7, v5
	v_mul_f32_e32 v7, v8, v5
	s_delay_alu instid0(VALU_DEP_1) | instskip(NEXT) | instid1(VALU_DEP_1)
	v_fma_f32 v9, v4, v7, v8
	v_fmac_f32_e32 v7, v9, v5
	s_delay_alu instid0(VALU_DEP_1) | instskip(SKIP_1) | instid1(VALU_DEP_1)
	v_fmac_f32_e32 v8, v4, v7
	s_wait_alu 0xfffd
	v_div_fmas_f32 v4, v8, v5, v7
	s_delay_alu instid0(VALU_DEP_1) | instskip(NEXT) | instid1(VALU_DEP_1)
	v_div_fixup_f32 v4, v4, v3, v2
	v_fma_f32 v5, v2, v4, v3
	s_delay_alu instid0(VALU_DEP_1) | instskip(SKIP_1) | instid1(VALU_DEP_2)
	v_div_scale_f32 v7, null, v5, v5, 1.0
	v_div_scale_f32 v10, vcc_lo, 1.0, v5, 1.0
	v_rcp_f32_e32 v8, v7
	v_xor_b32_e32 v7, 0x80000000, v7
	s_delay_alu instid0(TRANS32_DEP_1) | instid1(VALU_DEP_1)
	v_fma_f32 v9, v7, v8, 1.0
	s_delay_alu instid0(VALU_DEP_1) | instskip(NEXT) | instid1(VALU_DEP_1)
	v_fmac_f32_e32 v8, v9, v8
	v_mul_f32_e32 v9, v10, v8
	s_delay_alu instid0(VALU_DEP_1) | instskip(NEXT) | instid1(VALU_DEP_1)
	v_fma_f32 v11, v7, v9, v10
	v_fmac_f32_e32 v9, v11, v8
	s_delay_alu instid0(VALU_DEP_1) | instskip(SKIP_1) | instid1(VALU_DEP_1)
	v_fmac_f32_e32 v10, v7, v9
	s_wait_alu 0xfffd
	v_div_fmas_f32 v7, v10, v8, v9
	v_fma_f32 v8, v0, v4, v1
	s_delay_alu instid0(VALU_DEP_2) | instskip(SKIP_1) | instid1(VALU_DEP_2)
	v_div_fixup_f32 v5, v7, v5, 1.0
	v_fma_f32 v7, v1, v4, -v0
	v_mul_f32_e32 v4, v8, v5
	s_delay_alu instid0(VALU_DEP_2)
	v_mul_f32_e32 v5, v7, v5
.LBB157_80:                             ;   in Loop: Header=BB157_76 Depth=2
	s_wait_alu 0xfffe
	s_and_not1_b32 vcc_lo, exec_lo, s21
	s_wait_alu 0xfffe
	s_cbranch_vccnz .LBB157_75
; %bb.81:                               ;   in Loop: Header=BB157_76 Depth=2
	v_div_scale_f32 v4, null, v2, v2, v3
	v_div_scale_f32 v8, vcc_lo, v3, v2, v3
	s_delay_alu instid0(VALU_DEP_2)
	v_rcp_f32_e32 v5, v4
	v_xor_b32_e32 v4, 0x80000000, v4
	s_delay_alu instid0(TRANS32_DEP_1) | instid1(VALU_DEP_1)
	v_fma_f32 v7, v4, v5, 1.0
	s_delay_alu instid0(VALU_DEP_1) | instskip(NEXT) | instid1(VALU_DEP_1)
	v_fmac_f32_e32 v5, v7, v5
	v_mul_f32_e32 v7, v8, v5
	s_delay_alu instid0(VALU_DEP_1) | instskip(NEXT) | instid1(VALU_DEP_1)
	v_fma_f32 v9, v4, v7, v8
	v_fmac_f32_e32 v7, v9, v5
	s_delay_alu instid0(VALU_DEP_1) | instskip(SKIP_1) | instid1(VALU_DEP_1)
	v_fmac_f32_e32 v8, v4, v7
	s_wait_alu 0xfffd
	v_div_fmas_f32 v4, v8, v5, v7
	s_delay_alu instid0(VALU_DEP_1) | instskip(NEXT) | instid1(VALU_DEP_1)
	v_div_fixup_f32 v4, v4, v2, v3
	v_fmac_f32_e32 v2, v3, v4
	s_delay_alu instid0(VALU_DEP_1) | instskip(SKIP_1) | instid1(VALU_DEP_2)
	v_div_scale_f32 v3, null, v2, v2, 1.0
	v_div_scale_f32 v8, vcc_lo, 1.0, v2, 1.0
	v_rcp_f32_e32 v5, v3
	v_xor_b32_e32 v3, 0x80000000, v3
	s_delay_alu instid0(TRANS32_DEP_1) | instid1(VALU_DEP_1)
	v_fma_f32 v7, v3, v5, 1.0
	s_delay_alu instid0(VALU_DEP_1) | instskip(NEXT) | instid1(VALU_DEP_1)
	v_fmac_f32_e32 v5, v7, v5
	v_mul_f32_e32 v7, v8, v5
	s_delay_alu instid0(VALU_DEP_1) | instskip(NEXT) | instid1(VALU_DEP_1)
	v_fma_f32 v9, v3, v7, v8
	v_fmac_f32_e32 v7, v9, v5
	s_delay_alu instid0(VALU_DEP_1) | instskip(SKIP_1) | instid1(VALU_DEP_1)
	v_fmac_f32_e32 v8, v3, v7
	s_wait_alu 0xfffd
	v_div_fmas_f32 v3, v8, v5, v7
	v_fma_f32 v5, v1, v4, v0
	v_fma_f32 v0, -v0, v4, v1
	s_delay_alu instid0(VALU_DEP_3) | instskip(NEXT) | instid1(VALU_DEP_1)
	v_div_fixup_f32 v2, v3, v2, 1.0
	v_mul_f32_e32 v4, v5, v2
	s_delay_alu instid0(VALU_DEP_3)
	v_mul_f32_e32 v5, v0, v2
	s_branch .LBB157_75
.LBB157_82:                             ;   in Loop: Header=BB157_3 Depth=1
	s_mov_b32 s20, 0
.LBB157_83:                             ;   in Loop: Header=BB157_3 Depth=1
	s_wait_alu 0xfffe
	s_and_not1_b32 vcc_lo, exec_lo, s20
	s_wait_alu 0xfffe
	s_cbranch_vccnz .LBB157_114
; %bb.84:                               ;   in Loop: Header=BB157_3 Depth=1
	s_mov_b32 s34, s25
	s_and_not1_b32 vcc_lo, exec_lo, s22
	s_mov_b32 s20, s31
	s_mov_b32 s21, s25
	s_wait_alu 0xfffe
	s_cbranch_vccnz .LBB157_105
.LBB157_85:                             ;   Parent Loop BB157_3 Depth=1
                                        ; =>  This Loop Header: Depth=2
                                        ;       Child Loop BB157_86 Depth 3
	s_wait_alu 0xfffe
	s_mul_i32 s34, s21, 20
	s_cmp_le_i32 s25, s21
	s_wait_alu 0xfffe
	v_lshl_add_u32 v20, s34, 3, v14
	s_mov_b32 s35, s20
	s_mov_b32 s36, s25
	s_delay_alu instid0(VALU_DEP_1)
	v_dual_mov_b32 v2, v27 :: v_dual_add_nc_u32 v19, 0xffffff60, v20
	v_add_nc_u32_e32 v18, 0xfffffec0, v20
	v_add_nc_u32_e32 v17, 0xfffffe20, v20
	ds_load_b64 v[0:1], v20
	ds_load_b64 v[10:11], v19
	;; [unrolled: 1-line block ×4, first 2 shown]
	s_cbranch_scc1 .LBB157_87
.LBB157_86:                             ;   Parent Loop BB157_3 Depth=1
                                        ;     Parent Loop BB157_85 Depth=2
                                        ; =>    This Inner Loop Header: Depth=3
	s_wait_alu 0xfffe
	v_mov_b32_e32 v3, s35
	s_add_co_i32 s36, s36, -1
	s_add_co_i32 s35, s35, -8
	s_wait_alu 0xfffe
	s_cmp_le_i32 s36, s21
	ds_load_b64 v[8:9], v2
	ds_load_2addr_b64 v[30:33], v3 offset0:40 offset1:60
	ds_load_2addr_b64 v[34:37], v3 offset1:20
	s_wait_dscnt 0x1
	v_dual_mul_f32 v3, v33, v9 :: v_dual_add_nc_u32 v2, 0xffffff60, v2
	v_mul_f32_e32 v38, v32, v9
	v_mul_f32_e32 v39, v31, v9
	s_wait_dscnt 0x0
	v_dual_mul_f32 v31, v31, v8 :: v_dual_mul_f32 v40, v37, v9
	v_mul_f32_e32 v41, v35, v9
	v_mul_f32_e32 v35, v35, v8
	v_fma_f32 v3, v32, v8, -v3
	v_mul_f32_e32 v37, v37, v8
	v_fmac_f32_e32 v38, v33, v8
	v_fma_f32 v32, v30, v8, -v39
	v_fmac_f32_e32 v31, v30, v9
	v_fma_f32 v30, v36, v8, -v40
	v_dual_fmac_f32 v35, v34, v9 :: v_dual_sub_f32 v0, v0, v3
	v_fmac_f32_e32 v37, v36, v9
	v_sub_f32_e32 v1, v1, v38
	s_delay_alu instid0(VALU_DEP_4) | instskip(SKIP_1) | instid1(VALU_DEP_4)
	v_sub_f32_e32 v6, v6, v30
	v_fma_f32 v8, v34, v8, -v41
	v_dual_sub_f32 v10, v10, v32 :: v_dual_sub_f32 v7, v7, v37
	s_delay_alu instid0(VALU_DEP_2)
	v_dual_sub_f32 v5, v5, v35 :: v_dual_sub_f32 v4, v4, v8
	v_sub_f32_e32 v11, v11, v31
	s_cbranch_scc0 .LBB157_86
.LBB157_87:                             ;   in Loop: Header=BB157_85 Depth=2
	s_mul_i32 s35, s21, 0xa8
	s_wait_alu 0xfffe
	v_mov_b32_e32 v2, s35
	s_mov_b32 s35, -1
	ds_load_b64 v[2:3], v2
	s_wait_dscnt 0x0
	v_and_b32_e32 v8, 0x7fffffff, v2
	v_and_b32_e32 v9, 0x7fffffff, v3
	s_delay_alu instid0(VALU_DEP_1)
	v_cmp_ngt_f32_e32 vcc_lo, v8, v9
                                        ; implicit-def: $vgpr9
	s_cbranch_vccz .LBB157_89
; %bb.88:                               ;   in Loop: Header=BB157_85 Depth=2
	v_div_scale_f32 v8, null, v3, v3, v2
	v_div_scale_f32 v31, vcc_lo, v2, v3, v2
	s_mov_b32 s35, 0
	v_rcp_f32_e32 v9, v8
	v_xor_b32_e32 v8, 0x80000000, v8
	s_delay_alu instid0(TRANS32_DEP_1) | instid1(VALU_DEP_1)
	v_fma_f32 v30, v8, v9, 1.0
	s_delay_alu instid0(VALU_DEP_1) | instskip(NEXT) | instid1(VALU_DEP_1)
	v_fmac_f32_e32 v9, v30, v9
	v_mul_f32_e32 v30, v31, v9
	s_delay_alu instid0(VALU_DEP_1) | instskip(NEXT) | instid1(VALU_DEP_1)
	v_fma_f32 v32, v8, v30, v31
	v_fmac_f32_e32 v30, v32, v9
	s_delay_alu instid0(VALU_DEP_1) | instskip(SKIP_1) | instid1(VALU_DEP_1)
	v_fmac_f32_e32 v31, v8, v30
	s_wait_alu 0xfffd
	v_div_fmas_f32 v8, v31, v9, v30
	s_delay_alu instid0(VALU_DEP_1) | instskip(NEXT) | instid1(VALU_DEP_1)
	v_div_fixup_f32 v8, v8, v3, v2
	v_fma_f32 v9, v2, v8, v3
	s_delay_alu instid0(VALU_DEP_1) | instskip(SKIP_1) | instid1(VALU_DEP_2)
	v_div_scale_f32 v30, null, v9, v9, 1.0
	v_div_scale_f32 v33, vcc_lo, 1.0, v9, 1.0
	v_rcp_f32_e32 v31, v30
	v_xor_b32_e32 v30, 0x80000000, v30
	s_delay_alu instid0(TRANS32_DEP_1) | instid1(VALU_DEP_1)
	v_fma_f32 v32, v30, v31, 1.0
	s_delay_alu instid0(VALU_DEP_1) | instskip(NEXT) | instid1(VALU_DEP_1)
	v_fmac_f32_e32 v31, v32, v31
	v_mul_f32_e32 v32, v33, v31
	s_delay_alu instid0(VALU_DEP_1) | instskip(NEXT) | instid1(VALU_DEP_1)
	v_fma_f32 v34, v30, v32, v33
	v_fmac_f32_e32 v32, v34, v31
	s_delay_alu instid0(VALU_DEP_1) | instskip(SKIP_1) | instid1(VALU_DEP_1)
	v_fmac_f32_e32 v33, v30, v32
	s_wait_alu 0xfffd
	v_div_fmas_f32 v30, v33, v31, v32
	v_fma_f32 v31, v0, v8, v1
	s_delay_alu instid0(VALU_DEP_2) | instskip(SKIP_1) | instid1(VALU_DEP_2)
	v_div_fixup_f32 v9, v30, v9, 1.0
	v_fma_f32 v30, v1, v8, -v0
	v_mul_f32_e32 v8, v31, v9
	s_delay_alu instid0(VALU_DEP_2)
	v_mul_f32_e32 v9, v30, v9
.LBB157_89:                             ;   in Loop: Header=BB157_85 Depth=2
	s_wait_alu 0xfffe
	s_and_not1_b32 vcc_lo, exec_lo, s35
	s_wait_alu 0xfffe
	s_cbranch_vccnz .LBB157_91
; %bb.90:                               ;   in Loop: Header=BB157_85 Depth=2
	v_div_scale_f32 v8, null, v2, v2, v3
	v_div_scale_f32 v31, vcc_lo, v3, v2, v3
	s_delay_alu instid0(VALU_DEP_2)
	v_rcp_f32_e32 v9, v8
	v_xor_b32_e32 v8, 0x80000000, v8
	s_delay_alu instid0(TRANS32_DEP_1) | instid1(VALU_DEP_1)
	v_fma_f32 v30, v8, v9, 1.0
	s_delay_alu instid0(VALU_DEP_1) | instskip(NEXT) | instid1(VALU_DEP_1)
	v_fmac_f32_e32 v9, v30, v9
	v_mul_f32_e32 v30, v31, v9
	s_delay_alu instid0(VALU_DEP_1) | instskip(NEXT) | instid1(VALU_DEP_1)
	v_fma_f32 v32, v8, v30, v31
	v_fmac_f32_e32 v30, v32, v9
	s_delay_alu instid0(VALU_DEP_1) | instskip(SKIP_1) | instid1(VALU_DEP_1)
	v_fmac_f32_e32 v31, v8, v30
	s_wait_alu 0xfffd
	v_div_fmas_f32 v8, v31, v9, v30
	s_delay_alu instid0(VALU_DEP_1) | instskip(NEXT) | instid1(VALU_DEP_1)
	v_div_fixup_f32 v8, v8, v2, v3
	v_fmac_f32_e32 v2, v3, v8
	s_delay_alu instid0(VALU_DEP_1) | instskip(SKIP_1) | instid1(VALU_DEP_2)
	v_div_scale_f32 v3, null, v2, v2, 1.0
	v_div_scale_f32 v31, vcc_lo, 1.0, v2, 1.0
	v_rcp_f32_e32 v9, v3
	v_xor_b32_e32 v3, 0x80000000, v3
	s_delay_alu instid0(TRANS32_DEP_1) | instid1(VALU_DEP_1)
	v_fma_f32 v30, v3, v9, 1.0
	s_delay_alu instid0(VALU_DEP_1) | instskip(NEXT) | instid1(VALU_DEP_1)
	v_fmac_f32_e32 v9, v30, v9
	v_mul_f32_e32 v30, v31, v9
	s_delay_alu instid0(VALU_DEP_1) | instskip(NEXT) | instid1(VALU_DEP_1)
	v_fma_f32 v32, v3, v30, v31
	v_fmac_f32_e32 v30, v32, v9
	s_delay_alu instid0(VALU_DEP_1) | instskip(SKIP_1) | instid1(VALU_DEP_1)
	v_fmac_f32_e32 v31, v3, v30
	s_wait_alu 0xfffd
	v_div_fmas_f32 v3, v31, v9, v30
	v_fma_f32 v9, v1, v8, v0
	v_fma_f32 v0, -v0, v8, v1
	s_delay_alu instid0(VALU_DEP_3) | instskip(NEXT) | instid1(VALU_DEP_1)
	v_div_fixup_f32 v2, v3, v2, 1.0
	v_mul_f32_e32 v8, v9, v2
	s_delay_alu instid0(VALU_DEP_3)
	v_mul_f32_e32 v9, v0, v2
.LBB157_91:                             ;   in Loop: Header=BB157_85 Depth=2
	s_lshl_b32 s35, s34, 3
	s_lshl_b32 s34, s21, 3
	s_wait_alu 0xfffe
	s_addk_co_i32 s35, 0xff60
	ds_store_b64 v20, v[8:9]
	s_wait_alu 0xfffe
	s_add_co_i32 s36, s34, s35
	s_wait_alu 0xfffe
	s_add_co_i32 s36, s36, -8
	s_wait_alu 0xfffe
	v_mov_b32_e32 v0, s36
	s_mov_b32 s36, -1
	ds_load_2addr_b64 v[0:3], v0 offset1:1
	s_wait_dscnt 0x0
	v_dual_mul_f32 v30, v9, v3 :: v_dual_and_b32 v31, 0x7fffffff, v0
	v_dual_mul_f32 v3, v8, v3 :: v_dual_and_b32 v32, 0x7fffffff, v1
	s_delay_alu instid0(VALU_DEP_2) | instskip(NEXT) | instid1(VALU_DEP_2)
	v_fma_f32 v30, v8, v2, -v30
	v_fmac_f32_e32 v3, v9, v2
	s_delay_alu instid0(VALU_DEP_3) | instskip(NEXT) | instid1(VALU_DEP_2)
	v_cmp_ngt_f32_e32 vcc_lo, v31, v32
	v_dual_sub_f32 v2, v10, v30 :: v_dual_sub_f32 v3, v11, v3
                                        ; implicit-def: $vgpr11
	s_cbranch_vccz .LBB157_93
; %bb.92:                               ;   in Loop: Header=BB157_85 Depth=2
	v_div_scale_f32 v10, null, v1, v1, v0
	v_div_scale_f32 v30, vcc_lo, v0, v1, v0
	s_mov_b32 s36, 0
	v_rcp_f32_e32 v11, v10
	v_xor_b32_e32 v10, 0x80000000, v10
	s_delay_alu instid0(TRANS32_DEP_1) | instid1(VALU_DEP_1)
	v_fma_f32 v20, v10, v11, 1.0
	s_delay_alu instid0(VALU_DEP_1) | instskip(NEXT) | instid1(VALU_DEP_1)
	v_fmac_f32_e32 v11, v20, v11
	v_mul_f32_e32 v20, v30, v11
	s_delay_alu instid0(VALU_DEP_1) | instskip(NEXT) | instid1(VALU_DEP_1)
	v_fma_f32 v31, v10, v20, v30
	v_fmac_f32_e32 v20, v31, v11
	s_delay_alu instid0(VALU_DEP_1) | instskip(SKIP_1) | instid1(VALU_DEP_1)
	v_fmac_f32_e32 v30, v10, v20
	s_wait_alu 0xfffd
	v_div_fmas_f32 v10, v30, v11, v20
	s_delay_alu instid0(VALU_DEP_1) | instskip(NEXT) | instid1(VALU_DEP_1)
	v_div_fixup_f32 v10, v10, v1, v0
	v_fma_f32 v11, v0, v10, v1
	s_delay_alu instid0(VALU_DEP_1) | instskip(SKIP_1) | instid1(VALU_DEP_2)
	v_div_scale_f32 v20, null, v11, v11, 1.0
	v_div_scale_f32 v32, vcc_lo, 1.0, v11, 1.0
	v_rcp_f32_e32 v30, v20
	v_xor_b32_e32 v20, 0x80000000, v20
	s_delay_alu instid0(TRANS32_DEP_1) | instid1(VALU_DEP_1)
	v_fma_f32 v31, v20, v30, 1.0
	s_delay_alu instid0(VALU_DEP_1) | instskip(NEXT) | instid1(VALU_DEP_1)
	v_fmac_f32_e32 v30, v31, v30
	v_mul_f32_e32 v31, v32, v30
	s_delay_alu instid0(VALU_DEP_1) | instskip(NEXT) | instid1(VALU_DEP_1)
	v_fma_f32 v33, v20, v31, v32
	v_fmac_f32_e32 v31, v33, v30
	s_delay_alu instid0(VALU_DEP_1) | instskip(SKIP_1) | instid1(VALU_DEP_1)
	v_fmac_f32_e32 v32, v20, v31
	s_wait_alu 0xfffd
	v_div_fmas_f32 v20, v32, v30, v31
	v_fma_f32 v30, v10, v2, v3
	s_delay_alu instid0(VALU_DEP_2) | instskip(SKIP_1) | instid1(VALU_DEP_2)
	v_div_fixup_f32 v11, v20, v11, 1.0
	v_fma_f32 v20, v10, v3, -v2
	v_mul_f32_e32 v10, v30, v11
	s_delay_alu instid0(VALU_DEP_2)
	v_mul_f32_e32 v11, v20, v11
.LBB157_93:                             ;   in Loop: Header=BB157_85 Depth=2
	s_wait_alu 0xfffe
	s_and_not1_b32 vcc_lo, exec_lo, s36
	s_wait_alu 0xfffe
	s_cbranch_vccnz .LBB157_95
; %bb.94:                               ;   in Loop: Header=BB157_85 Depth=2
	v_div_scale_f32 v10, null, v0, v0, v1
	v_div_scale_f32 v30, vcc_lo, v1, v0, v1
	s_delay_alu instid0(VALU_DEP_2)
	v_rcp_f32_e32 v11, v10
	v_xor_b32_e32 v10, 0x80000000, v10
	s_delay_alu instid0(TRANS32_DEP_1) | instid1(VALU_DEP_1)
	v_fma_f32 v20, v10, v11, 1.0
	s_delay_alu instid0(VALU_DEP_1) | instskip(NEXT) | instid1(VALU_DEP_1)
	v_fmac_f32_e32 v11, v20, v11
	v_mul_f32_e32 v20, v30, v11
	s_delay_alu instid0(VALU_DEP_1) | instskip(NEXT) | instid1(VALU_DEP_1)
	v_fma_f32 v31, v10, v20, v30
	v_fmac_f32_e32 v20, v31, v11
	s_delay_alu instid0(VALU_DEP_1) | instskip(SKIP_1) | instid1(VALU_DEP_1)
	v_fmac_f32_e32 v30, v10, v20
	s_wait_alu 0xfffd
	v_div_fmas_f32 v10, v30, v11, v20
	s_delay_alu instid0(VALU_DEP_1) | instskip(NEXT) | instid1(VALU_DEP_1)
	v_div_fixup_f32 v10, v10, v0, v1
	v_fmac_f32_e32 v0, v1, v10
	s_delay_alu instid0(VALU_DEP_1) | instskip(NEXT) | instid1(VALU_DEP_1)
	v_div_scale_f32 v1, null, v0, v0, 1.0
	v_rcp_f32_e32 v11, v1
	v_xor_b32_e32 v1, 0x80000000, v1
	s_delay_alu instid0(TRANS32_DEP_1) | instid1(VALU_DEP_1)
	v_fma_f32 v20, v1, v11, 1.0
	s_delay_alu instid0(VALU_DEP_1) | instskip(SKIP_1) | instid1(VALU_DEP_1)
	v_fmac_f32_e32 v11, v20, v11
	v_div_scale_f32 v30, vcc_lo, 1.0, v0, 1.0
	v_mul_f32_e32 v20, v30, v11
	s_delay_alu instid0(VALU_DEP_1) | instskip(NEXT) | instid1(VALU_DEP_1)
	v_fma_f32 v31, v1, v20, v30
	v_fmac_f32_e32 v20, v31, v11
	s_delay_alu instid0(VALU_DEP_1) | instskip(SKIP_1) | instid1(VALU_DEP_1)
	v_fmac_f32_e32 v30, v1, v20
	s_wait_alu 0xfffd
	v_div_fmas_f32 v1, v30, v11, v20
	v_fma_f32 v11, v10, v3, v2
	s_delay_alu instid0(VALU_DEP_2) | instskip(SKIP_1) | instid1(VALU_DEP_2)
	v_div_fixup_f32 v0, v1, v0, 1.0
	v_fma_f32 v1, -v10, v2, v3
	v_mul_f32_e32 v10, v11, v0
	s_delay_alu instid0(VALU_DEP_2)
	v_mul_f32_e32 v11, v1, v0
.LBB157_95:                             ;   in Loop: Header=BB157_85 Depth=2
	s_addk_co_i32 s35, 0xff60
	s_wait_alu 0xfffe
	s_add_co_i32 s34, s35, s34
	s_wait_alu 0xfffe
	s_add_co_i32 s35, s34, -16
	s_wait_alu 0xfffe
	v_dual_mov_b32 v0, s34 :: v_dual_mov_b32 v1, s35
	s_mov_b32 s35, -1
	ds_load_b64 v[30:31], v0
	ds_load_2addr_b64 v[0:3], v1 offset1:1
	ds_store_b64 v19, v[10:11]
	s_wait_dscnt 0x1
	v_dual_mul_f32 v20, v9, v31 :: v_dual_and_b32 v33, 0x7fffffff, v0
	v_mul_f32_e32 v31, v8, v31
	v_mul_f32_e32 v32, v11, v3
	v_mul_f32_e32 v3, v10, v3
	s_delay_alu instid0(VALU_DEP_4) | instskip(NEXT) | instid1(VALU_DEP_4)
	v_fma_f32 v20, v8, v30, -v20
	v_dual_fmac_f32 v31, v9, v30 :: v_dual_and_b32 v30, 0x7fffffff, v1
	s_delay_alu instid0(VALU_DEP_4) | instskip(NEXT) | instid1(VALU_DEP_3)
	v_fma_f32 v32, v10, v2, -v32
	v_dual_fmac_f32 v3, v11, v2 :: v_dual_sub_f32 v2, v6, v20
	s_delay_alu instid0(VALU_DEP_3) | instskip(NEXT) | instid1(VALU_DEP_4)
	v_sub_f32_e32 v6, v7, v31
	v_cmp_ngt_f32_e32 vcc_lo, v33, v30
	s_delay_alu instid0(VALU_DEP_3) | instskip(NEXT) | instid1(VALU_DEP_3)
	v_sub_f32_e32 v2, v2, v32
	v_sub_f32_e32 v3, v6, v3
                                        ; implicit-def: $vgpr7
	s_cbranch_vccz .LBB157_97
; %bb.96:                               ;   in Loop: Header=BB157_85 Depth=2
	v_div_scale_f32 v6, null, v1, v1, v0
	v_div_scale_f32 v20, vcc_lo, v0, v1, v0
	s_mov_b32 s35, 0
	v_rcp_f32_e32 v7, v6
	v_xor_b32_e32 v6, 0x80000000, v6
	s_delay_alu instid0(TRANS32_DEP_1) | instid1(VALU_DEP_1)
	v_fma_f32 v19, v6, v7, 1.0
	s_delay_alu instid0(VALU_DEP_1) | instskip(NEXT) | instid1(VALU_DEP_1)
	v_fmac_f32_e32 v7, v19, v7
	v_mul_f32_e32 v19, v20, v7
	s_delay_alu instid0(VALU_DEP_1) | instskip(NEXT) | instid1(VALU_DEP_1)
	v_fma_f32 v30, v6, v19, v20
	v_fmac_f32_e32 v19, v30, v7
	s_delay_alu instid0(VALU_DEP_1) | instskip(SKIP_1) | instid1(VALU_DEP_1)
	v_fmac_f32_e32 v20, v6, v19
	s_wait_alu 0xfffd
	v_div_fmas_f32 v6, v20, v7, v19
	s_delay_alu instid0(VALU_DEP_1) | instskip(NEXT) | instid1(VALU_DEP_1)
	v_div_fixup_f32 v6, v6, v1, v0
	v_fma_f32 v7, v0, v6, v1
	s_delay_alu instid0(VALU_DEP_1) | instskip(SKIP_1) | instid1(VALU_DEP_2)
	v_div_scale_f32 v19, null, v7, v7, 1.0
	v_div_scale_f32 v31, vcc_lo, 1.0, v7, 1.0
	v_rcp_f32_e32 v20, v19
	v_xor_b32_e32 v19, 0x80000000, v19
	s_delay_alu instid0(TRANS32_DEP_1) | instid1(VALU_DEP_1)
	v_fma_f32 v30, v19, v20, 1.0
	s_delay_alu instid0(VALU_DEP_1) | instskip(NEXT) | instid1(VALU_DEP_1)
	v_fmac_f32_e32 v20, v30, v20
	v_mul_f32_e32 v30, v31, v20
	s_delay_alu instid0(VALU_DEP_1) | instskip(NEXT) | instid1(VALU_DEP_1)
	v_fma_f32 v32, v19, v30, v31
	v_fmac_f32_e32 v30, v32, v20
	s_delay_alu instid0(VALU_DEP_1) | instskip(SKIP_1) | instid1(VALU_DEP_1)
	v_fmac_f32_e32 v31, v19, v30
	s_wait_alu 0xfffd
	v_div_fmas_f32 v19, v31, v20, v30
	v_fma_f32 v20, v6, v2, v3
	s_delay_alu instid0(VALU_DEP_2) | instskip(SKIP_1) | instid1(VALU_DEP_2)
	v_div_fixup_f32 v7, v19, v7, 1.0
	v_fma_f32 v19, v6, v3, -v2
	v_mul_f32_e32 v6, v20, v7
	s_delay_alu instid0(VALU_DEP_2)
	v_mul_f32_e32 v7, v19, v7
.LBB157_97:                             ;   in Loop: Header=BB157_85 Depth=2
	s_wait_alu 0xfffe
	s_and_not1_b32 vcc_lo, exec_lo, s35
	s_wait_alu 0xfffe
	s_cbranch_vccnz .LBB157_99
; %bb.98:                               ;   in Loop: Header=BB157_85 Depth=2
	v_div_scale_f32 v6, null, v0, v0, v1
	v_div_scale_f32 v20, vcc_lo, v1, v0, v1
	s_delay_alu instid0(VALU_DEP_2)
	v_rcp_f32_e32 v7, v6
	v_xor_b32_e32 v6, 0x80000000, v6
	s_delay_alu instid0(TRANS32_DEP_1) | instid1(VALU_DEP_1)
	v_fma_f32 v19, v6, v7, 1.0
	s_delay_alu instid0(VALU_DEP_1) | instskip(NEXT) | instid1(VALU_DEP_1)
	v_fmac_f32_e32 v7, v19, v7
	v_mul_f32_e32 v19, v20, v7
	s_delay_alu instid0(VALU_DEP_1) | instskip(NEXT) | instid1(VALU_DEP_1)
	v_fma_f32 v30, v6, v19, v20
	v_fmac_f32_e32 v19, v30, v7
	s_delay_alu instid0(VALU_DEP_1) | instskip(SKIP_1) | instid1(VALU_DEP_1)
	v_fmac_f32_e32 v20, v6, v19
	s_wait_alu 0xfffd
	v_div_fmas_f32 v6, v20, v7, v19
	s_delay_alu instid0(VALU_DEP_1) | instskip(NEXT) | instid1(VALU_DEP_1)
	v_div_fixup_f32 v6, v6, v0, v1
	v_fmac_f32_e32 v0, v1, v6
	s_delay_alu instid0(VALU_DEP_1) | instskip(SKIP_1) | instid1(VALU_DEP_2)
	v_div_scale_f32 v1, null, v0, v0, 1.0
	v_div_scale_f32 v20, vcc_lo, 1.0, v0, 1.0
	v_rcp_f32_e32 v7, v1
	v_xor_b32_e32 v1, 0x80000000, v1
	s_delay_alu instid0(TRANS32_DEP_1) | instid1(VALU_DEP_1)
	v_fma_f32 v19, v1, v7, 1.0
	s_delay_alu instid0(VALU_DEP_1) | instskip(NEXT) | instid1(VALU_DEP_1)
	v_fmac_f32_e32 v7, v19, v7
	v_mul_f32_e32 v19, v20, v7
	s_delay_alu instid0(VALU_DEP_1) | instskip(NEXT) | instid1(VALU_DEP_1)
	v_fma_f32 v30, v1, v19, v20
	v_fmac_f32_e32 v19, v30, v7
	s_delay_alu instid0(VALU_DEP_1) | instskip(SKIP_1) | instid1(VALU_DEP_1)
	v_fmac_f32_e32 v20, v1, v19
	s_wait_alu 0xfffd
	v_div_fmas_f32 v1, v20, v7, v19
	v_fma_f32 v7, v6, v3, v2
	s_delay_alu instid0(VALU_DEP_2) | instskip(SKIP_1) | instid1(VALU_DEP_2)
	v_div_fixup_f32 v0, v1, v0, 1.0
	v_fma_f32 v1, -v6, v2, v3
	v_mul_f32_e32 v6, v7, v0
	s_delay_alu instid0(VALU_DEP_2)
	v_mul_f32_e32 v7, v1, v0
.LBB157_99:                             ;   in Loop: Header=BB157_85 Depth=2
	s_add_co_i32 s35, s34, 0xffffff58
	s_addk_co_i32 s34, 0xff48
	s_wait_alu 0xfffe
	v_dual_mov_b32 v0, s35 :: v_dual_mov_b32 v1, s34
	s_mov_b32 s34, -1
	ds_load_2addr_b64 v[30:33], v0 offset1:1
	ds_load_2addr_b64 v[0:3], v1 offset1:1
	ds_store_b64 v18, v[6:7]
	s_wait_dscnt 0x1
	v_dual_mul_f32 v19, v9, v33 :: v_dual_mul_f32 v34, v7, v3
	v_dual_mul_f32 v20, v8, v33 :: v_dual_mul_f32 v33, v11, v31
	v_mul_f32_e32 v31, v10, v31
	s_delay_alu instid0(VALU_DEP_3) | instskip(NEXT) | instid1(VALU_DEP_3)
	v_fma_f32 v8, v8, v32, -v19
	v_dual_mul_f32 v3, v6, v3 :: v_dual_fmac_f32 v20, v9, v32
	s_delay_alu instid0(VALU_DEP_4) | instskip(NEXT) | instid1(VALU_DEP_3)
	v_fma_f32 v10, v10, v30, -v33
	v_dual_fmac_f32 v31, v11, v30 :: v_dual_sub_f32 v4, v4, v8
	v_and_b32_e32 v9, 0x7fffffff, v0
	v_fma_f32 v11, v6, v2, -v34
	v_dual_fmac_f32 v3, v7, v2 :: v_dual_and_b32 v8, 0x7fffffff, v1
	s_delay_alu instid0(VALU_DEP_4) | instskip(NEXT) | instid1(VALU_DEP_2)
	v_dual_sub_f32 v2, v4, v10 :: v_dual_sub_f32 v5, v5, v20
	v_cmp_ngt_f32_e32 vcc_lo, v9, v8
	s_delay_alu instid0(VALU_DEP_2) | instskip(NEXT) | instid1(VALU_DEP_3)
	v_sub_f32_e32 v4, v2, v11
	v_sub_f32_e32 v5, v5, v31
	s_delay_alu instid0(VALU_DEP_1)
	v_sub_f32_e32 v5, v5, v3
                                        ; implicit-def: $vgpr3
	s_cbranch_vccz .LBB157_101
; %bb.100:                              ;   in Loop: Header=BB157_85 Depth=2
	v_div_scale_f32 v2, null, v1, v1, v0
	v_div_scale_f32 v7, vcc_lo, v0, v1, v0
	s_mov_b32 s34, 0
	v_rcp_f32_e32 v3, v2
	v_xor_b32_e32 v2, 0x80000000, v2
	s_delay_alu instid0(TRANS32_DEP_1) | instid1(VALU_DEP_1)
	v_fma_f32 v6, v2, v3, 1.0
	s_delay_alu instid0(VALU_DEP_1) | instskip(NEXT) | instid1(VALU_DEP_1)
	v_fmac_f32_e32 v3, v6, v3
	v_mul_f32_e32 v6, v7, v3
	s_delay_alu instid0(VALU_DEP_1) | instskip(NEXT) | instid1(VALU_DEP_1)
	v_fma_f32 v8, v2, v6, v7
	v_fmac_f32_e32 v6, v8, v3
	s_delay_alu instid0(VALU_DEP_1) | instskip(SKIP_1) | instid1(VALU_DEP_1)
	v_fmac_f32_e32 v7, v2, v6
	s_wait_alu 0xfffd
	v_div_fmas_f32 v2, v7, v3, v6
	s_delay_alu instid0(VALU_DEP_1) | instskip(NEXT) | instid1(VALU_DEP_1)
	v_div_fixup_f32 v2, v2, v1, v0
	v_fma_f32 v3, v0, v2, v1
	s_delay_alu instid0(VALU_DEP_1) | instskip(SKIP_1) | instid1(VALU_DEP_2)
	v_div_scale_f32 v6, null, v3, v3, 1.0
	v_div_scale_f32 v9, vcc_lo, 1.0, v3, 1.0
	v_rcp_f32_e32 v7, v6
	v_xor_b32_e32 v6, 0x80000000, v6
	s_delay_alu instid0(TRANS32_DEP_1) | instid1(VALU_DEP_1)
	v_fma_f32 v8, v6, v7, 1.0
	s_delay_alu instid0(VALU_DEP_1) | instskip(NEXT) | instid1(VALU_DEP_1)
	v_fmac_f32_e32 v7, v8, v7
	v_mul_f32_e32 v8, v9, v7
	s_delay_alu instid0(VALU_DEP_1) | instskip(NEXT) | instid1(VALU_DEP_1)
	v_fma_f32 v10, v6, v8, v9
	v_fmac_f32_e32 v8, v10, v7
	s_delay_alu instid0(VALU_DEP_1) | instskip(SKIP_1) | instid1(VALU_DEP_1)
	v_fmac_f32_e32 v9, v6, v8
	s_wait_alu 0xfffd
	v_div_fmas_f32 v6, v9, v7, v8
	v_fma_f32 v7, v2, v4, v5
	s_delay_alu instid0(VALU_DEP_2) | instskip(SKIP_1) | instid1(VALU_DEP_2)
	v_div_fixup_f32 v3, v6, v3, 1.0
	v_fma_f32 v6, v2, v5, -v4
	v_mul_f32_e32 v2, v7, v3
	s_delay_alu instid0(VALU_DEP_2)
	v_mul_f32_e32 v3, v6, v3
.LBB157_101:                            ;   in Loop: Header=BB157_85 Depth=2
	s_wait_alu 0xfffe
	s_and_not1_b32 vcc_lo, exec_lo, s34
	s_wait_alu 0xfffe
	s_cbranch_vccnz .LBB157_103
; %bb.102:                              ;   in Loop: Header=BB157_85 Depth=2
	v_div_scale_f32 v2, null, v0, v0, v1
	v_div_scale_f32 v7, vcc_lo, v1, v0, v1
	s_delay_alu instid0(VALU_DEP_2)
	v_rcp_f32_e32 v3, v2
	v_xor_b32_e32 v2, 0x80000000, v2
	s_delay_alu instid0(TRANS32_DEP_1) | instid1(VALU_DEP_1)
	v_fma_f32 v6, v2, v3, 1.0
	s_delay_alu instid0(VALU_DEP_1) | instskip(NEXT) | instid1(VALU_DEP_1)
	v_fmac_f32_e32 v3, v6, v3
	v_mul_f32_e32 v6, v7, v3
	s_delay_alu instid0(VALU_DEP_1) | instskip(NEXT) | instid1(VALU_DEP_1)
	v_fma_f32 v8, v2, v6, v7
	v_fmac_f32_e32 v6, v8, v3
	s_delay_alu instid0(VALU_DEP_1) | instskip(SKIP_1) | instid1(VALU_DEP_1)
	v_fmac_f32_e32 v7, v2, v6
	s_wait_alu 0xfffd
	v_div_fmas_f32 v2, v7, v3, v6
	s_delay_alu instid0(VALU_DEP_1) | instskip(NEXT) | instid1(VALU_DEP_1)
	v_div_fixup_f32 v2, v2, v0, v1
	v_fmac_f32_e32 v0, v1, v2
	s_delay_alu instid0(VALU_DEP_1) | instskip(SKIP_1) | instid1(VALU_DEP_2)
	v_div_scale_f32 v1, null, v0, v0, 1.0
	v_div_scale_f32 v7, vcc_lo, 1.0, v0, 1.0
	v_rcp_f32_e32 v3, v1
	v_xor_b32_e32 v1, 0x80000000, v1
	s_delay_alu instid0(TRANS32_DEP_1) | instid1(VALU_DEP_1)
	v_fma_f32 v6, v1, v3, 1.0
	s_delay_alu instid0(VALU_DEP_1) | instskip(NEXT) | instid1(VALU_DEP_1)
	v_fmac_f32_e32 v3, v6, v3
	v_mul_f32_e32 v6, v7, v3
	s_delay_alu instid0(VALU_DEP_1) | instskip(NEXT) | instid1(VALU_DEP_1)
	v_fma_f32 v8, v1, v6, v7
	v_fmac_f32_e32 v6, v8, v3
	s_delay_alu instid0(VALU_DEP_1) | instskip(SKIP_1) | instid1(VALU_DEP_1)
	v_fmac_f32_e32 v7, v1, v6
	s_wait_alu 0xfffd
	v_div_fmas_f32 v1, v7, v3, v6
	v_fma_f32 v3, v2, v5, v4
	s_delay_alu instid0(VALU_DEP_2) | instskip(SKIP_1) | instid1(VALU_DEP_2)
	v_div_fixup_f32 v0, v1, v0, 1.0
	v_fma_f32 v1, -v2, v4, v5
	v_mul_f32_e32 v2, v3, v0
	s_delay_alu instid0(VALU_DEP_2)
	v_mul_f32_e32 v3, v1, v0
.LBB157_103:                            ;   in Loop: Header=BB157_85 Depth=2
	s_add_co_i32 s34, s21, -4
	s_addk_co_i32 s20, 0xfd80
	s_cmp_lt_i32 s21, 7
	ds_store_b64 v17, v[2:3]
	s_cbranch_scc1 .LBB157_105
; %bb.104:                              ;   in Loop: Header=BB157_85 Depth=2
	s_wait_alu 0xfffe
	s_mov_b32 s21, s34
	s_branch .LBB157_85
.LBB157_105:                            ;   in Loop: Header=BB157_3 Depth=1
	s_wait_alu 0xfffe
	s_cmp_lt_i32 s34, 0
	s_cbranch_scc1 .LBB157_114
; %bb.106:                              ;   in Loop: Header=BB157_3 Depth=1
	s_mul_i32 s20, s34, 0xa0
	s_wait_alu 0xfffe
	s_add_co_i32 s20, s33, s20
	s_branch .LBB157_108
.LBB157_107:                            ;   in Loop: Header=BB157_108 Depth=2
	v_sub_co_u32 v1, s21, s34, 1
	s_and_b32 vcc_lo, exec_lo, s21
	s_addk_co_i32 s20, 0xff60
	ds_store_b64 v0, v[5:6]
	v_readfirstlane_b32 s34, v1
	s_wait_alu 0xfffe
	s_cbranch_vccnz .LBB157_114
.LBB157_108:                            ;   Parent Loop BB157_3 Depth=1
                                        ; =>  This Loop Header: Depth=2
                                        ;       Child Loop BB157_109 Depth 3
	s_wait_alu 0xf1ff
	v_mad_co_u64_u32 v[0:1], null, 0xa0, s34, v[14:15]
	v_mov_b32_e32 v3, v27
	s_cmp_le_i32 s25, s34
	s_wait_alu 0xfffe
	s_mov_b32 s21, s20
	s_mov_b32 s35, s25
	ds_load_b64 v[1:2], v0
	s_cbranch_scc1 .LBB157_110
.LBB157_109:                            ;   Parent Loop BB157_3 Depth=1
                                        ;     Parent Loop BB157_108 Depth=2
                                        ; =>    This Inner Loop Header: Depth=3
	s_wait_alu 0xfffe
	v_mov_b32_e32 v6, s21
	s_add_co_i32 s35, s35, -1
	s_add_co_i32 s21, s21, -8
	s_wait_alu 0xfffe
	s_cmp_le_u32 s35, s34
	ds_load_b64 v[4:5], v3
	ds_load_b64 v[6:7], v6
	s_wait_dscnt 0x0
	v_dual_mul_f32 v8, v7, v5 :: v_dual_add_nc_u32 v3, 0xffffff60, v3
	v_mul_f32_e32 v5, v6, v5
	s_delay_alu instid0(VALU_DEP_2) | instskip(NEXT) | instid1(VALU_DEP_2)
	v_fma_f32 v6, v6, v4, -v8
	v_fmac_f32_e32 v5, v7, v4
	s_delay_alu instid0(VALU_DEP_1)
	v_dual_sub_f32 v1, v1, v6 :: v_dual_sub_f32 v2, v2, v5
	s_cbranch_scc0 .LBB157_109
.LBB157_110:                            ;   in Loop: Header=BB157_108 Depth=2
	s_mul_i32 s21, s34, 0xa8
	s_wait_alu 0xfffe
	v_mov_b32_e32 v3, s21
	s_mov_b32 s21, -1
	ds_load_b64 v[3:4], v3
	s_wait_dscnt 0x0
	v_and_b32_e32 v5, 0x7fffffff, v3
	v_and_b32_e32 v6, 0x7fffffff, v4
	s_delay_alu instid0(VALU_DEP_1)
	v_cmp_ngt_f32_e32 vcc_lo, v5, v6
                                        ; implicit-def: $vgpr5
	s_cbranch_vccz .LBB157_112
; %bb.111:                              ;   in Loop: Header=BB157_108 Depth=2
	v_div_scale_f32 v5, null, v4, v4, v3
	v_div_scale_f32 v8, vcc_lo, v3, v4, v3
	s_mov_b32 s21, 0
	v_rcp_f32_e32 v6, v5
	v_xor_b32_e32 v5, 0x80000000, v5
	s_delay_alu instid0(TRANS32_DEP_1) | instid1(VALU_DEP_1)
	v_fma_f32 v7, v5, v6, 1.0
	s_delay_alu instid0(VALU_DEP_1) | instskip(NEXT) | instid1(VALU_DEP_1)
	v_fmac_f32_e32 v6, v7, v6
	v_mul_f32_e32 v7, v8, v6
	s_delay_alu instid0(VALU_DEP_1) | instskip(NEXT) | instid1(VALU_DEP_1)
	v_fma_f32 v9, v5, v7, v8
	v_fmac_f32_e32 v7, v9, v6
	s_delay_alu instid0(VALU_DEP_1) | instskip(SKIP_1) | instid1(VALU_DEP_1)
	v_fmac_f32_e32 v8, v5, v7
	s_wait_alu 0xfffd
	v_div_fmas_f32 v5, v8, v6, v7
	s_delay_alu instid0(VALU_DEP_1) | instskip(NEXT) | instid1(VALU_DEP_1)
	v_div_fixup_f32 v5, v5, v4, v3
	v_fma_f32 v6, v3, v5, v4
	s_delay_alu instid0(VALU_DEP_1) | instskip(SKIP_1) | instid1(VALU_DEP_2)
	v_div_scale_f32 v7, null, v6, v6, 1.0
	v_div_scale_f32 v10, vcc_lo, 1.0, v6, 1.0
	v_rcp_f32_e32 v8, v7
	v_xor_b32_e32 v7, 0x80000000, v7
	s_delay_alu instid0(TRANS32_DEP_1) | instid1(VALU_DEP_1)
	v_fma_f32 v9, v7, v8, 1.0
	s_delay_alu instid0(VALU_DEP_1) | instskip(NEXT) | instid1(VALU_DEP_1)
	v_fmac_f32_e32 v8, v9, v8
	v_mul_f32_e32 v9, v10, v8
	s_delay_alu instid0(VALU_DEP_1) | instskip(NEXT) | instid1(VALU_DEP_1)
	v_fma_f32 v11, v7, v9, v10
	v_fmac_f32_e32 v9, v11, v8
	s_delay_alu instid0(VALU_DEP_1) | instskip(SKIP_1) | instid1(VALU_DEP_1)
	v_fmac_f32_e32 v10, v7, v9
	s_wait_alu 0xfffd
	v_div_fmas_f32 v7, v10, v8, v9
	v_fma_f32 v8, v1, v5, v2
	s_delay_alu instid0(VALU_DEP_2) | instskip(SKIP_1) | instid1(VALU_DEP_2)
	v_div_fixup_f32 v6, v7, v6, 1.0
	v_fma_f32 v7, v2, v5, -v1
	v_mul_f32_e32 v5, v8, v6
	s_delay_alu instid0(VALU_DEP_2)
	v_mul_f32_e32 v6, v7, v6
.LBB157_112:                            ;   in Loop: Header=BB157_108 Depth=2
	s_wait_alu 0xfffe
	s_and_not1_b32 vcc_lo, exec_lo, s21
	s_wait_alu 0xfffe
	s_cbranch_vccnz .LBB157_107
; %bb.113:                              ;   in Loop: Header=BB157_108 Depth=2
	v_div_scale_f32 v5, null, v3, v3, v4
	v_div_scale_f32 v8, vcc_lo, v4, v3, v4
	s_delay_alu instid0(VALU_DEP_2)
	v_rcp_f32_e32 v6, v5
	v_xor_b32_e32 v5, 0x80000000, v5
	s_delay_alu instid0(TRANS32_DEP_1) | instid1(VALU_DEP_1)
	v_fma_f32 v7, v5, v6, 1.0
	s_delay_alu instid0(VALU_DEP_1) | instskip(NEXT) | instid1(VALU_DEP_1)
	v_fmac_f32_e32 v6, v7, v6
	v_mul_f32_e32 v7, v8, v6
	s_delay_alu instid0(VALU_DEP_1) | instskip(NEXT) | instid1(VALU_DEP_1)
	v_fma_f32 v9, v5, v7, v8
	v_fmac_f32_e32 v7, v9, v6
	s_delay_alu instid0(VALU_DEP_1) | instskip(SKIP_1) | instid1(VALU_DEP_1)
	v_fmac_f32_e32 v8, v5, v7
	s_wait_alu 0xfffd
	v_div_fmas_f32 v5, v8, v6, v7
	s_delay_alu instid0(VALU_DEP_1) | instskip(NEXT) | instid1(VALU_DEP_1)
	v_div_fixup_f32 v5, v5, v3, v4
	v_fmac_f32_e32 v3, v4, v5
	s_delay_alu instid0(VALU_DEP_1) | instskip(SKIP_1) | instid1(VALU_DEP_2)
	v_div_scale_f32 v4, null, v3, v3, 1.0
	v_div_scale_f32 v8, vcc_lo, 1.0, v3, 1.0
	v_rcp_f32_e32 v6, v4
	v_xor_b32_e32 v4, 0x80000000, v4
	s_delay_alu instid0(TRANS32_DEP_1) | instid1(VALU_DEP_1)
	v_fma_f32 v7, v4, v6, 1.0
	s_delay_alu instid0(VALU_DEP_1) | instskip(NEXT) | instid1(VALU_DEP_1)
	v_fmac_f32_e32 v6, v7, v6
	v_mul_f32_e32 v7, v8, v6
	s_delay_alu instid0(VALU_DEP_1) | instskip(NEXT) | instid1(VALU_DEP_1)
	v_fma_f32 v9, v4, v7, v8
	v_fmac_f32_e32 v7, v9, v6
	s_delay_alu instid0(VALU_DEP_1) | instskip(SKIP_1) | instid1(VALU_DEP_1)
	v_fmac_f32_e32 v8, v4, v7
	s_wait_alu 0xfffd
	v_div_fmas_f32 v4, v8, v6, v7
	v_fma_f32 v6, v2, v5, v1
	v_fma_f32 v1, -v1, v5, v2
	s_delay_alu instid0(VALU_DEP_3) | instskip(NEXT) | instid1(VALU_DEP_1)
	v_div_fixup_f32 v3, v4, v3, 1.0
	v_mul_f32_e32 v5, v6, v3
	s_delay_alu instid0(VALU_DEP_3)
	v_mul_f32_e32 v6, v1, v3
	s_branch .LBB157_107
.LBB157_114:                            ;   in Loop: Header=BB157_3 Depth=1
	s_mov_b32 s20, 0
.LBB157_115:                            ;   in Loop: Header=BB157_3 Depth=1
	s_wait_alu 0xfffe
	s_and_not1_b32 vcc_lo, exec_lo, s20
	s_wait_alu 0xfffe
	s_cbranch_vccnz .LBB157_147
; %bb.116:                              ;   in Loop: Header=BB157_3 Depth=1
	s_and_not1_b32 vcc_lo, exec_lo, s22
	s_mov_b32 s34, 0
	s_wait_alu 0xfffe
	s_cbranch_vccnz .LBB157_138
; %bb.117:                              ;   in Loop: Header=BB157_3 Depth=1
	s_mov_b32 s20, 0
	s_mov_b32 s21, 0
.LBB157_118:                            ;   Parent Loop BB157_3 Depth=1
                                        ; =>  This Loop Header: Depth=2
                                        ;       Child Loop BB157_119 Depth 3
	s_wait_alu 0xfffe
	s_mul_i32 s34, s21, 20
	v_mov_b32_e32 v8, v14
	s_wait_alu 0xfffe
	v_lshl_add_u32 v19, s34, 3, v14
	s_cmp_eq_u32 s21, 0
	s_mov_b32 s35, s20
	s_mov_b32 s36, s21
	ds_load_2addr_b64 v[4:7], v19 offset1:20
	ds_load_2addr_b64 v[0:3], v19 offset0:40 offset1:60
	s_cbranch_scc1 .LBB157_120
.LBB157_119:                            ;   Parent Loop BB157_3 Depth=1
                                        ;     Parent Loop BB157_118 Depth=2
                                        ; =>    This Inner Loop Header: Depth=3
	s_wait_alu 0xfffe
	v_mov_b32_e32 v11, s35
	s_add_co_i32 s36, s36, -1
	s_add_co_i32 s35, s35, 8
	s_wait_alu 0xfffe
	s_cmp_eq_u32 s36, 0
	ds_load_b64 v[9:10], v8
	ds_load_2addr_b64 v[30:33], v11 offset1:20
	ds_load_2addr_b64 v[34:37], v11 offset0:40 offset1:60
	s_wait_dscnt 0x1
	v_dual_mul_f32 v11, v31, v10 :: v_dual_add_nc_u32 v8, 0xa0, v8
	v_mul_f32_e32 v20, v33, v9
	v_mul_f32_e32 v18, v33, v10
	s_wait_dscnt 0x0
	v_mul_f32_e32 v33, v35, v10
	v_mul_f32_e32 v35, v35, v9
	v_fma_f32 v11, v30, v9, -v11
	v_mul_f32_e32 v17, v30, v10
	v_fma_f32 v18, v32, v9, -v18
	v_fma_f32 v30, v34, v9, -v33
	s_delay_alu instid0(VALU_DEP_4) | instskip(NEXT) | instid1(VALU_DEP_4)
	v_dual_fmac_f32 v35, v34, v10 :: v_dual_sub_f32 v4, v4, v11
	v_dual_mul_f32 v38, v37, v10 :: v_dual_fmac_f32 v17, v31, v9
	v_dual_mul_f32 v37, v37, v9 :: v_dual_fmac_f32 v20, v32, v10
	v_sub_f32_e32 v6, v6, v18
	s_delay_alu instid0(VALU_DEP_3) | instskip(NEXT) | instid1(VALU_DEP_4)
	v_fma_f32 v9, v36, v9, -v38
	v_sub_f32_e32 v5, v5, v17
	s_delay_alu instid0(VALU_DEP_4) | instskip(SKIP_1) | instid1(VALU_DEP_4)
	v_fmac_f32_e32 v37, v36, v10
	v_dual_sub_f32 v7, v7, v20 :: v_dual_sub_f32 v0, v0, v30
	v_dual_sub_f32 v1, v1, v35 :: v_dual_sub_f32 v2, v2, v9
	s_delay_alu instid0(VALU_DEP_3)
	v_sub_f32_e32 v3, v3, v37
	s_cbranch_scc0 .LBB157_119
.LBB157_120:                            ;   in Loop: Header=BB157_118 Depth=2
	s_mul_i32 s35, s21, 0xa8
                                        ; implicit-def: $vgpr18
	s_wait_alu 0xfffe
	v_mov_b32_e32 v8, s35
	s_mov_b32 s35, -1
	ds_load_b64 v[8:9], v8
	s_wait_dscnt 0x0
	v_and_b32_e32 v10, 0x7fffffff, v8
	v_and_b32_e32 v11, 0x7fffffff, v9
	s_delay_alu instid0(VALU_DEP_1)
	v_cmp_ngt_f32_e32 vcc_lo, v10, v11
	s_cbranch_vccz .LBB157_122
; %bb.121:                              ;   in Loop: Header=BB157_118 Depth=2
	v_div_scale_f32 v10, null, v9, v9, v8
	v_div_scale_f32 v18, vcc_lo, v8, v9, v8
	s_mov_b32 s35, 0
	v_rcp_f32_e32 v11, v10
	v_xor_b32_e32 v10, 0x80000000, v10
	s_delay_alu instid0(TRANS32_DEP_1) | instid1(VALU_DEP_1)
	v_fma_f32 v17, v10, v11, 1.0
	s_delay_alu instid0(VALU_DEP_1) | instskip(NEXT) | instid1(VALU_DEP_1)
	v_fmac_f32_e32 v11, v17, v11
	v_mul_f32_e32 v17, v18, v11
	s_delay_alu instid0(VALU_DEP_1) | instskip(NEXT) | instid1(VALU_DEP_1)
	v_fma_f32 v20, v10, v17, v18
	v_fmac_f32_e32 v17, v20, v11
	s_delay_alu instid0(VALU_DEP_1) | instskip(SKIP_1) | instid1(VALU_DEP_1)
	v_fmac_f32_e32 v18, v10, v17
	s_wait_alu 0xfffd
	v_div_fmas_f32 v10, v18, v11, v17
	s_delay_alu instid0(VALU_DEP_1) | instskip(NEXT) | instid1(VALU_DEP_1)
	v_div_fixup_f32 v10, v10, v9, v8
	v_fma_f32 v11, v8, v10, v9
	s_delay_alu instid0(VALU_DEP_1) | instskip(SKIP_1) | instid1(VALU_DEP_2)
	v_div_scale_f32 v17, null, v11, v11, 1.0
	v_div_scale_f32 v30, vcc_lo, 1.0, v11, 1.0
	v_rcp_f32_e32 v18, v17
	v_xor_b32_e32 v17, 0x80000000, v17
	s_delay_alu instid0(TRANS32_DEP_1) | instid1(VALU_DEP_1)
	v_fma_f32 v20, v17, v18, 1.0
	s_delay_alu instid0(VALU_DEP_1) | instskip(NEXT) | instid1(VALU_DEP_1)
	v_fmac_f32_e32 v18, v20, v18
	v_mul_f32_e32 v20, v30, v18
	s_delay_alu instid0(VALU_DEP_1) | instskip(NEXT) | instid1(VALU_DEP_1)
	v_fma_f32 v31, v17, v20, v30
	v_fmac_f32_e32 v20, v31, v18
	s_delay_alu instid0(VALU_DEP_1) | instskip(SKIP_1) | instid1(VALU_DEP_1)
	v_fmac_f32_e32 v30, v17, v20
	s_wait_alu 0xfffd
	v_div_fmas_f32 v17, v30, v18, v20
	v_fma_f32 v18, v4, v10, v5
	v_fma_f32 v10, v5, v10, -v4
	s_delay_alu instid0(VALU_DEP_3) | instskip(NEXT) | instid1(VALU_DEP_1)
	v_div_fixup_f32 v11, v17, v11, 1.0
	v_mul_f32_e32 v17, v18, v11
	s_delay_alu instid0(VALU_DEP_3)
	v_mul_f32_e32 v18, v10, v11
.LBB157_122:                            ;   in Loop: Header=BB157_118 Depth=2
	s_wait_alu 0xfffe
	s_and_not1_b32 vcc_lo, exec_lo, s35
	s_wait_alu 0xfffe
	s_cbranch_vccnz .LBB157_124
; %bb.123:                              ;   in Loop: Header=BB157_118 Depth=2
	v_div_scale_f32 v10, null, v8, v8, v9
	v_div_scale_f32 v18, vcc_lo, v9, v8, v9
	s_delay_alu instid0(VALU_DEP_2)
	v_rcp_f32_e32 v11, v10
	v_xor_b32_e32 v10, 0x80000000, v10
	s_delay_alu instid0(TRANS32_DEP_1) | instid1(VALU_DEP_1)
	v_fma_f32 v17, v10, v11, 1.0
	s_delay_alu instid0(VALU_DEP_1) | instskip(NEXT) | instid1(VALU_DEP_1)
	v_fmac_f32_e32 v11, v17, v11
	v_mul_f32_e32 v17, v18, v11
	s_delay_alu instid0(VALU_DEP_1) | instskip(NEXT) | instid1(VALU_DEP_1)
	v_fma_f32 v20, v10, v17, v18
	v_fmac_f32_e32 v17, v20, v11
	s_delay_alu instid0(VALU_DEP_1) | instskip(SKIP_1) | instid1(VALU_DEP_1)
	v_fmac_f32_e32 v18, v10, v17
	s_wait_alu 0xfffd
	v_div_fmas_f32 v10, v18, v11, v17
	s_delay_alu instid0(VALU_DEP_1) | instskip(NEXT) | instid1(VALU_DEP_1)
	v_div_fixup_f32 v10, v10, v8, v9
	v_fmac_f32_e32 v8, v9, v10
	s_delay_alu instid0(VALU_DEP_1) | instskip(SKIP_1) | instid1(VALU_DEP_2)
	v_div_scale_f32 v9, null, v8, v8, 1.0
	v_div_scale_f32 v18, vcc_lo, 1.0, v8, 1.0
	v_rcp_f32_e32 v11, v9
	v_xor_b32_e32 v9, 0x80000000, v9
	s_delay_alu instid0(TRANS32_DEP_1) | instid1(VALU_DEP_1)
	v_fma_f32 v17, v9, v11, 1.0
	s_delay_alu instid0(VALU_DEP_1) | instskip(NEXT) | instid1(VALU_DEP_1)
	v_fmac_f32_e32 v11, v17, v11
	v_mul_f32_e32 v17, v18, v11
	s_delay_alu instid0(VALU_DEP_1) | instskip(NEXT) | instid1(VALU_DEP_1)
	v_fma_f32 v20, v9, v17, v18
	v_fmac_f32_e32 v17, v20, v11
	s_delay_alu instid0(VALU_DEP_1) | instskip(SKIP_1) | instid1(VALU_DEP_1)
	v_fmac_f32_e32 v18, v9, v17
	s_wait_alu 0xfffd
	v_div_fmas_f32 v9, v18, v11, v17
	v_fma_f32 v11, v5, v10, v4
	v_fma_f32 v4, -v4, v10, v5
	s_delay_alu instid0(VALU_DEP_3) | instskip(NEXT) | instid1(VALU_DEP_1)
	v_div_fixup_f32 v8, v9, v8, 1.0
	v_mul_f32_e32 v17, v11, v8
	s_delay_alu instid0(VALU_DEP_3)
	v_mul_f32_e32 v18, v4, v8
.LBB157_124:                            ;   in Loop: Header=BB157_118 Depth=2
	s_lshl_b32 s35, s34, 3
	s_lshl_b32 s34, s21, 3
	s_wait_alu 0xfffe
	s_addk_co_i32 s35, 0xa0
	ds_store_b64 v19, v[17:18]
	s_wait_alu 0xfffe
	s_add_co_i32 s36, s35, s34
	s_wait_alu 0xfffe
	v_mov_b32_e32 v4, s36
	s_mov_b32 s36, -1
	ds_load_b128 v[8:11], v4
	s_wait_dscnt 0x0
	v_mul_f32_e32 v4, v18, v9
	v_mul_f32_e32 v5, v17, v9
	v_and_b32_e32 v9, 0x7fffffff, v10
	v_and_b32_e32 v20, 0x7fffffff, v11
	s_delay_alu instid0(VALU_DEP_4) | instskip(NEXT) | instid1(VALU_DEP_4)
	v_fma_f32 v4, v17, v8, -v4
	v_fmac_f32_e32 v5, v18, v8
	s_delay_alu instid0(VALU_DEP_3) | instskip(NEXT) | instid1(VALU_DEP_2)
	v_cmp_ngt_f32_e32 vcc_lo, v9, v20
                                        ; implicit-def: $vgpr9
	v_dual_sub_f32 v4, v6, v4 :: v_dual_sub_f32 v5, v7, v5
	s_cbranch_vccz .LBB157_126
; %bb.125:                              ;   in Loop: Header=BB157_118 Depth=2
	v_div_scale_f32 v6, null, v11, v11, v10
	v_div_scale_f32 v9, vcc_lo, v10, v11, v10
	s_mov_b32 s36, 0
	v_rcp_f32_e32 v7, v6
	v_xor_b32_e32 v6, 0x80000000, v6
	s_delay_alu instid0(TRANS32_DEP_1) | instid1(VALU_DEP_1)
	v_fma_f32 v8, v6, v7, 1.0
	s_delay_alu instid0(VALU_DEP_1) | instskip(NEXT) | instid1(VALU_DEP_1)
	v_fmac_f32_e32 v7, v8, v7
	v_mul_f32_e32 v8, v9, v7
	s_delay_alu instid0(VALU_DEP_1) | instskip(NEXT) | instid1(VALU_DEP_1)
	v_fma_f32 v20, v6, v8, v9
	v_fmac_f32_e32 v8, v20, v7
	s_delay_alu instid0(VALU_DEP_1) | instskip(SKIP_1) | instid1(VALU_DEP_1)
	v_fmac_f32_e32 v9, v6, v8
	s_wait_alu 0xfffd
	v_div_fmas_f32 v6, v9, v7, v8
	s_delay_alu instid0(VALU_DEP_1) | instskip(NEXT) | instid1(VALU_DEP_1)
	v_div_fixup_f32 v6, v6, v11, v10
	v_fma_f32 v7, v10, v6, v11
	s_delay_alu instid0(VALU_DEP_1) | instskip(SKIP_1) | instid1(VALU_DEP_2)
	v_div_scale_f32 v8, null, v7, v7, 1.0
	v_div_scale_f32 v30, vcc_lo, 1.0, v7, 1.0
	v_rcp_f32_e32 v9, v8
	v_xor_b32_e32 v8, 0x80000000, v8
	s_delay_alu instid0(TRANS32_DEP_1) | instid1(VALU_DEP_1)
	v_fma_f32 v20, v8, v9, 1.0
	s_delay_alu instid0(VALU_DEP_1) | instskip(NEXT) | instid1(VALU_DEP_1)
	v_fmac_f32_e32 v9, v20, v9
	v_mul_f32_e32 v20, v30, v9
	s_delay_alu instid0(VALU_DEP_1) | instskip(NEXT) | instid1(VALU_DEP_1)
	v_fma_f32 v31, v8, v20, v30
	v_fmac_f32_e32 v20, v31, v9
	s_delay_alu instid0(VALU_DEP_1) | instskip(SKIP_1) | instid1(VALU_DEP_1)
	v_fmac_f32_e32 v30, v8, v20
	s_wait_alu 0xfffd
	v_div_fmas_f32 v8, v30, v9, v20
	v_fma_f32 v9, v6, v4, v5
	v_fma_f32 v6, v6, v5, -v4
	s_delay_alu instid0(VALU_DEP_3) | instskip(NEXT) | instid1(VALU_DEP_1)
	v_div_fixup_f32 v7, v8, v7, 1.0
	v_mul_f32_e32 v8, v9, v7
	s_delay_alu instid0(VALU_DEP_3)
	v_mul_f32_e32 v9, v6, v7
.LBB157_126:                            ;   in Loop: Header=BB157_118 Depth=2
	s_wait_alu 0xfffe
	s_and_not1_b32 vcc_lo, exec_lo, s36
	s_wait_alu 0xfffe
	s_cbranch_vccnz .LBB157_128
; %bb.127:                              ;   in Loop: Header=BB157_118 Depth=2
	v_div_scale_f32 v6, null, v10, v10, v11
	v_div_scale_f32 v9, vcc_lo, v11, v10, v11
	s_delay_alu instid0(VALU_DEP_2)
	v_rcp_f32_e32 v7, v6
	v_xor_b32_e32 v6, 0x80000000, v6
	s_delay_alu instid0(TRANS32_DEP_1) | instid1(VALU_DEP_1)
	v_fma_f32 v8, v6, v7, 1.0
	s_delay_alu instid0(VALU_DEP_1) | instskip(NEXT) | instid1(VALU_DEP_1)
	v_fmac_f32_e32 v7, v8, v7
	v_mul_f32_e32 v8, v9, v7
	s_delay_alu instid0(VALU_DEP_1) | instskip(NEXT) | instid1(VALU_DEP_1)
	v_fma_f32 v20, v6, v8, v9
	v_fmac_f32_e32 v8, v20, v7
	s_delay_alu instid0(VALU_DEP_1) | instskip(SKIP_1) | instid1(VALU_DEP_1)
	v_fmac_f32_e32 v9, v6, v8
	s_wait_alu 0xfffd
	v_div_fmas_f32 v6, v9, v7, v8
	s_delay_alu instid0(VALU_DEP_1) | instskip(NEXT) | instid1(VALU_DEP_1)
	v_div_fixup_f32 v6, v6, v10, v11
	v_fmac_f32_e32 v10, v11, v6
	s_delay_alu instid0(VALU_DEP_1) | instskip(SKIP_1) | instid1(VALU_DEP_2)
	v_div_scale_f32 v7, null, v10, v10, 1.0
	v_div_scale_f32 v11, vcc_lo, 1.0, v10, 1.0
	v_rcp_f32_e32 v8, v7
	v_xor_b32_e32 v7, 0x80000000, v7
	s_delay_alu instid0(TRANS32_DEP_1) | instid1(VALU_DEP_1)
	v_fma_f32 v9, v7, v8, 1.0
	s_delay_alu instid0(VALU_DEP_1) | instskip(NEXT) | instid1(VALU_DEP_1)
	v_fmac_f32_e32 v8, v9, v8
	v_mul_f32_e32 v9, v11, v8
	s_delay_alu instid0(VALU_DEP_1) | instskip(NEXT) | instid1(VALU_DEP_1)
	v_fma_f32 v20, v7, v9, v11
	v_fmac_f32_e32 v9, v20, v8
	s_delay_alu instid0(VALU_DEP_1) | instskip(SKIP_1) | instid1(VALU_DEP_1)
	v_fmac_f32_e32 v11, v7, v9
	s_wait_alu 0xfffd
	v_div_fmas_f32 v7, v11, v8, v9
	v_fma_f32 v8, v6, v5, v4
	v_fma_f32 v4, -v6, v4, v5
	s_delay_alu instid0(VALU_DEP_3) | instskip(NEXT) | instid1(VALU_DEP_1)
	v_div_fixup_f32 v7, v7, v10, 1.0
	v_mul_f32_e32 v8, v8, v7
	s_delay_alu instid0(VALU_DEP_3)
	v_mul_f32_e32 v9, v4, v7
.LBB157_128:                            ;   in Loop: Header=BB157_118 Depth=2
	s_addk_co_i32 s35, 0xa0
	s_wait_alu 0xfffe
	s_add_co_i32 s34, s35, s34
	s_mov_b32 s35, -1
	s_wait_alu 0xfffe
	v_mov_b32_e32 v4, s34
	ds_load_b128 v[30:33], v4
	ds_load_b64 v[4:5], v4 offset:16
	ds_store_b64 v19, v[8:9] offset:160
	s_wait_dscnt 0x2
	v_dual_mul_f32 v6, v18, v31 :: v_dual_mul_f32 v11, v8, v33
	v_mul_f32_e32 v7, v17, v31
	v_mul_f32_e32 v10, v9, v33
	s_delay_alu instid0(VALU_DEP_3) | instskip(NEXT) | instid1(VALU_DEP_4)
	v_fma_f32 v6, v17, v30, -v6
	v_fmac_f32_e32 v11, v9, v32
	s_wait_dscnt 0x1
	v_dual_fmac_f32 v7, v18, v30 :: v_dual_and_b32 v20, 0x7fffffff, v4
	v_and_b32_e32 v30, 0x7fffffff, v5
	v_fma_f32 v10, v8, v32, -v10
	s_delay_alu instid0(VALU_DEP_3) | instskip(NEXT) | instid1(VALU_DEP_3)
	v_dual_sub_f32 v1, v1, v7 :: v_dual_sub_f32 v0, v0, v6
	v_cmp_ngt_f32_e32 vcc_lo, v20, v30
	s_delay_alu instid0(VALU_DEP_2)
	v_dual_sub_f32 v7, v1, v11 :: v_dual_sub_f32 v6, v0, v10
                                        ; implicit-def: $vgpr1
	s_cbranch_vccz .LBB157_130
; %bb.129:                              ;   in Loop: Header=BB157_118 Depth=2
	v_div_scale_f32 v0, null, v5, v5, v4
	v_div_scale_f32 v11, vcc_lo, v4, v5, v4
	s_mov_b32 s35, 0
	v_rcp_f32_e32 v1, v0
	v_xor_b32_e32 v0, 0x80000000, v0
	s_delay_alu instid0(TRANS32_DEP_1) | instid1(VALU_DEP_1)
	v_fma_f32 v10, v0, v1, 1.0
	s_delay_alu instid0(VALU_DEP_1) | instskip(NEXT) | instid1(VALU_DEP_1)
	v_fmac_f32_e32 v1, v10, v1
	v_mul_f32_e32 v10, v11, v1
	s_delay_alu instid0(VALU_DEP_1) | instskip(NEXT) | instid1(VALU_DEP_1)
	v_fma_f32 v20, v0, v10, v11
	v_fmac_f32_e32 v10, v20, v1
	s_delay_alu instid0(VALU_DEP_1) | instskip(SKIP_1) | instid1(VALU_DEP_1)
	v_fmac_f32_e32 v11, v0, v10
	s_wait_alu 0xfffd
	v_div_fmas_f32 v0, v11, v1, v10
	s_delay_alu instid0(VALU_DEP_1) | instskip(NEXT) | instid1(VALU_DEP_1)
	v_div_fixup_f32 v0, v0, v5, v4
	v_fma_f32 v1, v4, v0, v5
	s_delay_alu instid0(VALU_DEP_1) | instskip(SKIP_1) | instid1(VALU_DEP_2)
	v_div_scale_f32 v10, null, v1, v1, 1.0
	v_div_scale_f32 v30, vcc_lo, 1.0, v1, 1.0
	v_rcp_f32_e32 v11, v10
	v_xor_b32_e32 v10, 0x80000000, v10
	s_delay_alu instid0(TRANS32_DEP_1) | instid1(VALU_DEP_1)
	v_fma_f32 v20, v10, v11, 1.0
	s_delay_alu instid0(VALU_DEP_1) | instskip(NEXT) | instid1(VALU_DEP_1)
	v_fmac_f32_e32 v11, v20, v11
	v_mul_f32_e32 v20, v30, v11
	s_delay_alu instid0(VALU_DEP_1) | instskip(NEXT) | instid1(VALU_DEP_1)
	v_fma_f32 v31, v10, v20, v30
	v_fmac_f32_e32 v20, v31, v11
	s_delay_alu instid0(VALU_DEP_1) | instskip(SKIP_1) | instid1(VALU_DEP_1)
	v_fmac_f32_e32 v30, v10, v20
	s_wait_alu 0xfffd
	v_div_fmas_f32 v10, v30, v11, v20
	v_fma_f32 v11, v0, v6, v7
	s_delay_alu instid0(VALU_DEP_2) | instskip(SKIP_1) | instid1(VALU_DEP_2)
	v_div_fixup_f32 v1, v10, v1, 1.0
	v_fma_f32 v10, v0, v7, -v6
	v_mul_f32_e32 v0, v11, v1
	s_delay_alu instid0(VALU_DEP_2)
	v_mul_f32_e32 v1, v10, v1
.LBB157_130:                            ;   in Loop: Header=BB157_118 Depth=2
	s_wait_alu 0xfffe
	s_and_not1_b32 vcc_lo, exec_lo, s35
	s_wait_alu 0xfffe
	s_cbranch_vccnz .LBB157_132
; %bb.131:                              ;   in Loop: Header=BB157_118 Depth=2
	v_div_scale_f32 v0, null, v4, v4, v5
	v_div_scale_f32 v11, vcc_lo, v5, v4, v5
	s_delay_alu instid0(VALU_DEP_2)
	v_rcp_f32_e32 v1, v0
	v_xor_b32_e32 v0, 0x80000000, v0
	s_delay_alu instid0(TRANS32_DEP_1) | instid1(VALU_DEP_1)
	v_fma_f32 v10, v0, v1, 1.0
	s_delay_alu instid0(VALU_DEP_1) | instskip(NEXT) | instid1(VALU_DEP_1)
	v_fmac_f32_e32 v1, v10, v1
	v_mul_f32_e32 v10, v11, v1
	s_delay_alu instid0(VALU_DEP_1) | instskip(NEXT) | instid1(VALU_DEP_1)
	v_fma_f32 v20, v0, v10, v11
	v_fmac_f32_e32 v10, v20, v1
	s_delay_alu instid0(VALU_DEP_1) | instskip(SKIP_1) | instid1(VALU_DEP_1)
	v_fmac_f32_e32 v11, v0, v10
	s_wait_alu 0xfffd
	v_div_fmas_f32 v0, v11, v1, v10
	s_delay_alu instid0(VALU_DEP_1) | instskip(NEXT) | instid1(VALU_DEP_1)
	v_div_fixup_f32 v0, v0, v4, v5
	v_fmac_f32_e32 v4, v5, v0
	s_delay_alu instid0(VALU_DEP_1) | instskip(SKIP_1) | instid1(VALU_DEP_2)
	v_div_scale_f32 v1, null, v4, v4, 1.0
	v_div_scale_f32 v11, vcc_lo, 1.0, v4, 1.0
	v_rcp_f32_e32 v5, v1
	v_xor_b32_e32 v1, 0x80000000, v1
	s_delay_alu instid0(TRANS32_DEP_1) | instid1(VALU_DEP_1)
	v_fma_f32 v10, v1, v5, 1.0
	s_delay_alu instid0(VALU_DEP_1) | instskip(NEXT) | instid1(VALU_DEP_1)
	v_fmac_f32_e32 v5, v10, v5
	v_mul_f32_e32 v10, v11, v5
	s_delay_alu instid0(VALU_DEP_1) | instskip(NEXT) | instid1(VALU_DEP_1)
	v_fma_f32 v20, v1, v10, v11
	v_fmac_f32_e32 v10, v20, v5
	s_delay_alu instid0(VALU_DEP_1) | instskip(SKIP_1) | instid1(VALU_DEP_1)
	v_fmac_f32_e32 v11, v1, v10
	s_wait_alu 0xfffd
	v_div_fmas_f32 v1, v11, v5, v10
	v_fma_f32 v5, v0, v7, v6
	s_delay_alu instid0(VALU_DEP_2) | instskip(SKIP_1) | instid1(VALU_DEP_2)
	v_div_fixup_f32 v1, v1, v4, 1.0
	v_fma_f32 v4, -v0, v6, v7
	v_mul_f32_e32 v0, v5, v1
	s_delay_alu instid0(VALU_DEP_2)
	v_mul_f32_e32 v1, v4, v1
.LBB157_132:                            ;   in Loop: Header=BB157_118 Depth=2
	v_mov_b32_e32 v4, s34
	s_mov_b32 s34, -1
	ds_load_b128 v[30:33], v4 offset:160
	ds_load_b128 v[4:7], v4 offset:176
	ds_store_b64 v19, v[0:1] offset:320
	s_wait_dscnt 0x2
	v_mul_f32_e32 v10, v18, v31
	v_mul_f32_e32 v11, v17, v31
	;; [unrolled: 1-line block ×4, first 2 shown]
	s_delay_alu instid0(VALU_DEP_4)
	v_fma_f32 v10, v17, v30, -v10
	s_wait_dscnt 0x1
	v_mul_f32_e32 v33, v1, v5
	v_fmac_f32_e32 v11, v18, v30
	v_fma_f32 v8, v8, v32, -v20
	v_and_b32_e32 v17, 0x7fffffff, v6
	v_dual_sub_f32 v2, v2, v10 :: v_dual_mul_f32 v5, v0, v5
	s_delay_alu instid0(VALU_DEP_4) | instskip(SKIP_1) | instid1(VALU_DEP_3)
	v_sub_f32_e32 v3, v3, v11
	v_fma_f32 v10, v0, v4, -v33
	v_sub_f32_e32 v2, v2, v8
	v_fmac_f32_e32 v31, v9, v32
	v_and_b32_e32 v9, 0x7fffffff, v7
	v_fmac_f32_e32 v5, v1, v4
                                        ; implicit-def: $vgpr1
	s_delay_alu instid0(VALU_DEP_3) | instskip(NEXT) | instid1(VALU_DEP_3)
	v_dual_sub_f32 v2, v2, v10 :: v_dual_sub_f32 v3, v3, v31
	v_cmp_ngt_f32_e32 vcc_lo, v17, v9
	s_delay_alu instid0(VALU_DEP_2)
	v_sub_f32_e32 v3, v3, v5
	s_cbranch_vccz .LBB157_134
; %bb.133:                              ;   in Loop: Header=BB157_118 Depth=2
	v_div_scale_f32 v0, null, v7, v7, v6
	v_div_scale_f32 v5, vcc_lo, v6, v7, v6
	s_mov_b32 s34, 0
	v_rcp_f32_e32 v1, v0
	v_xor_b32_e32 v0, 0x80000000, v0
	s_delay_alu instid0(TRANS32_DEP_1) | instid1(VALU_DEP_1)
	v_fma_f32 v4, v0, v1, 1.0
	s_delay_alu instid0(VALU_DEP_1) | instskip(NEXT) | instid1(VALU_DEP_1)
	v_fmac_f32_e32 v1, v4, v1
	v_mul_f32_e32 v4, v5, v1
	s_delay_alu instid0(VALU_DEP_1) | instskip(NEXT) | instid1(VALU_DEP_1)
	v_fma_f32 v8, v0, v4, v5
	v_fmac_f32_e32 v4, v8, v1
	s_delay_alu instid0(VALU_DEP_1) | instskip(SKIP_1) | instid1(VALU_DEP_1)
	v_fmac_f32_e32 v5, v0, v4
	s_wait_alu 0xfffd
	v_div_fmas_f32 v0, v5, v1, v4
	s_delay_alu instid0(VALU_DEP_1) | instskip(NEXT) | instid1(VALU_DEP_1)
	v_div_fixup_f32 v0, v0, v7, v6
	v_fma_f32 v1, v6, v0, v7
	s_delay_alu instid0(VALU_DEP_1) | instskip(SKIP_1) | instid1(VALU_DEP_2)
	v_div_scale_f32 v4, null, v1, v1, 1.0
	v_div_scale_f32 v9, vcc_lo, 1.0, v1, 1.0
	v_rcp_f32_e32 v5, v4
	v_xor_b32_e32 v4, 0x80000000, v4
	s_delay_alu instid0(TRANS32_DEP_1) | instid1(VALU_DEP_1)
	v_fma_f32 v8, v4, v5, 1.0
	s_delay_alu instid0(VALU_DEP_1) | instskip(NEXT) | instid1(VALU_DEP_1)
	v_fmac_f32_e32 v5, v8, v5
	v_mul_f32_e32 v8, v9, v5
	s_delay_alu instid0(VALU_DEP_1) | instskip(NEXT) | instid1(VALU_DEP_1)
	v_fma_f32 v10, v4, v8, v9
	v_fmac_f32_e32 v8, v10, v5
	s_delay_alu instid0(VALU_DEP_1) | instskip(SKIP_1) | instid1(VALU_DEP_1)
	v_fmac_f32_e32 v9, v4, v8
	s_wait_alu 0xfffd
	v_div_fmas_f32 v4, v9, v5, v8
	v_fma_f32 v5, v0, v2, v3
	s_delay_alu instid0(VALU_DEP_2) | instskip(SKIP_1) | instid1(VALU_DEP_2)
	v_div_fixup_f32 v1, v4, v1, 1.0
	v_fma_f32 v4, v0, v3, -v2
	v_mul_f32_e32 v0, v5, v1
	s_delay_alu instid0(VALU_DEP_2)
	v_mul_f32_e32 v1, v4, v1
.LBB157_134:                            ;   in Loop: Header=BB157_118 Depth=2
	s_wait_alu 0xfffe
	s_and_not1_b32 vcc_lo, exec_lo, s34
	s_wait_alu 0xfffe
	s_cbranch_vccnz .LBB157_136
; %bb.135:                              ;   in Loop: Header=BB157_118 Depth=2
	v_div_scale_f32 v0, null, v6, v6, v7
	v_div_scale_f32 v5, vcc_lo, v7, v6, v7
	s_delay_alu instid0(VALU_DEP_2)
	v_rcp_f32_e32 v1, v0
	v_xor_b32_e32 v0, 0x80000000, v0
	s_delay_alu instid0(TRANS32_DEP_1) | instid1(VALU_DEP_1)
	v_fma_f32 v4, v0, v1, 1.0
	s_delay_alu instid0(VALU_DEP_1) | instskip(NEXT) | instid1(VALU_DEP_1)
	v_fmac_f32_e32 v1, v4, v1
	v_mul_f32_e32 v4, v5, v1
	s_delay_alu instid0(VALU_DEP_1) | instskip(NEXT) | instid1(VALU_DEP_1)
	v_fma_f32 v8, v0, v4, v5
	v_fmac_f32_e32 v4, v8, v1
	s_delay_alu instid0(VALU_DEP_1) | instskip(SKIP_1) | instid1(VALU_DEP_1)
	v_fmac_f32_e32 v5, v0, v4
	s_wait_alu 0xfffd
	v_div_fmas_f32 v0, v5, v1, v4
	s_delay_alu instid0(VALU_DEP_1) | instskip(NEXT) | instid1(VALU_DEP_1)
	v_div_fixup_f32 v0, v0, v6, v7
	v_fmac_f32_e32 v6, v7, v0
	s_delay_alu instid0(VALU_DEP_1) | instskip(SKIP_1) | instid1(VALU_DEP_2)
	v_div_scale_f32 v1, null, v6, v6, 1.0
	v_div_scale_f32 v7, vcc_lo, 1.0, v6, 1.0
	v_rcp_f32_e32 v4, v1
	v_xor_b32_e32 v1, 0x80000000, v1
	s_delay_alu instid0(TRANS32_DEP_1) | instid1(VALU_DEP_1)
	v_fma_f32 v5, v1, v4, 1.0
	s_delay_alu instid0(VALU_DEP_1) | instskip(NEXT) | instid1(VALU_DEP_1)
	v_fmac_f32_e32 v4, v5, v4
	v_mul_f32_e32 v5, v7, v4
	s_delay_alu instid0(VALU_DEP_1) | instskip(NEXT) | instid1(VALU_DEP_1)
	v_fma_f32 v8, v1, v5, v7
	v_fmac_f32_e32 v5, v8, v4
	s_delay_alu instid0(VALU_DEP_1) | instskip(SKIP_1) | instid1(VALU_DEP_1)
	v_fmac_f32_e32 v7, v1, v5
	s_wait_alu 0xfffd
	v_div_fmas_f32 v1, v7, v4, v5
	v_fma_f32 v4, v0, v3, v2
	v_fma_f32 v2, -v0, v2, v3
	s_delay_alu instid0(VALU_DEP_3) | instskip(NEXT) | instid1(VALU_DEP_1)
	v_div_fixup_f32 v1, v1, v6, 1.0
	v_mul_f32_e32 v0, v4, v1
	s_delay_alu instid0(VALU_DEP_3)
	v_mul_f32_e32 v1, v2, v1
.LBB157_136:                            ;   in Loop: Header=BB157_118 Depth=2
	s_add_co_i32 s34, s21, 4
	s_add_co_i32 s21, s21, 7
	s_addk_co_i32 s20, 0x280
	s_wait_alu 0xfffe
	s_cmp_ge_i32 s21, s24
	ds_store_b64 v19, v[0:1] offset:480
	s_cbranch_scc1 .LBB157_138
; %bb.137:                              ;   in Loop: Header=BB157_118 Depth=2
	s_mov_b32 s21, s34
	s_branch .LBB157_118
.LBB157_138:                            ;   in Loop: Header=BB157_3 Depth=1
	s_cmp_ge_i32 s34, s24
	s_cbranch_scc1 .LBB157_147
; %bb.139:                              ;   in Loop: Header=BB157_3 Depth=1
	s_mul_i32 s20, s34, 0xa0
	s_branch .LBB157_141
.LBB157_140:                            ;   in Loop: Header=BB157_141 Depth=2
	s_add_co_i32 s34, s34, 1
	s_addk_co_i32 s20, 0xa0
	s_wait_alu 0xfffe
	s_cmp_ge_i32 s34, s24
	ds_store_b64 v0, v[5:6]
	s_cbranch_scc1 .LBB157_147
.LBB157_141:                            ;   Parent Loop BB157_3 Depth=1
                                        ; =>  This Loop Header: Depth=2
                                        ;       Child Loop BB157_142 Depth 3
	v_mad_co_u64_u32 v[0:1], null, 0xa0, s34, v[14:15]
	v_mov_b32_e32 v3, v14
	s_cmp_eq_u32 s34, 0
	s_wait_alu 0xfffe
	s_mov_b32 s21, s20
	s_mov_b32 s35, s34
	ds_load_b64 v[1:2], v0
	s_cbranch_scc1 .LBB157_143
.LBB157_142:                            ;   Parent Loop BB157_3 Depth=1
                                        ;     Parent Loop BB157_141 Depth=2
                                        ; =>    This Inner Loop Header: Depth=3
	s_wait_alu 0xfffe
	v_mov_b32_e32 v6, s21
	s_add_co_i32 s35, s35, -1
	s_add_co_i32 s21, s21, 8
	s_wait_alu 0xfffe
	s_cmp_eq_u32 s35, 0
	ds_load_b64 v[4:5], v3
	ds_load_b64 v[6:7], v6
	s_wait_dscnt 0x0
	v_dual_mul_f32 v8, v7, v5 :: v_dual_add_nc_u32 v3, 0xa0, v3
	v_mul_f32_e32 v5, v6, v5
	s_delay_alu instid0(VALU_DEP_2) | instskip(NEXT) | instid1(VALU_DEP_2)
	v_fma_f32 v6, v6, v4, -v8
	v_fmac_f32_e32 v5, v7, v4
	s_delay_alu instid0(VALU_DEP_1)
	v_dual_sub_f32 v1, v1, v6 :: v_dual_sub_f32 v2, v2, v5
	s_cbranch_scc0 .LBB157_142
.LBB157_143:                            ;   in Loop: Header=BB157_141 Depth=2
	s_mul_i32 s21, s34, 0xa8
	s_wait_alu 0xfffe
	v_mov_b32_e32 v3, s21
	s_mov_b32 s21, -1
	ds_load_b64 v[3:4], v3
	s_wait_dscnt 0x0
	v_and_b32_e32 v5, 0x7fffffff, v3
	v_and_b32_e32 v6, 0x7fffffff, v4
	s_delay_alu instid0(VALU_DEP_1)
	v_cmp_ngt_f32_e32 vcc_lo, v5, v6
                                        ; implicit-def: $vgpr5
	s_cbranch_vccz .LBB157_145
; %bb.144:                              ;   in Loop: Header=BB157_141 Depth=2
	v_div_scale_f32 v5, null, v4, v4, v3
	v_div_scale_f32 v8, vcc_lo, v3, v4, v3
	s_mov_b32 s21, 0
	v_rcp_f32_e32 v6, v5
	v_xor_b32_e32 v5, 0x80000000, v5
	s_delay_alu instid0(TRANS32_DEP_1) | instid1(VALU_DEP_1)
	v_fma_f32 v7, v5, v6, 1.0
	s_delay_alu instid0(VALU_DEP_1) | instskip(NEXT) | instid1(VALU_DEP_1)
	v_fmac_f32_e32 v6, v7, v6
	v_mul_f32_e32 v7, v8, v6
	s_delay_alu instid0(VALU_DEP_1) | instskip(NEXT) | instid1(VALU_DEP_1)
	v_fma_f32 v9, v5, v7, v8
	v_fmac_f32_e32 v7, v9, v6
	s_delay_alu instid0(VALU_DEP_1) | instskip(SKIP_1) | instid1(VALU_DEP_1)
	v_fmac_f32_e32 v8, v5, v7
	s_wait_alu 0xfffd
	v_div_fmas_f32 v5, v8, v6, v7
	s_delay_alu instid0(VALU_DEP_1) | instskip(NEXT) | instid1(VALU_DEP_1)
	v_div_fixup_f32 v5, v5, v4, v3
	v_fma_f32 v6, v3, v5, v4
	s_delay_alu instid0(VALU_DEP_1) | instskip(SKIP_1) | instid1(VALU_DEP_2)
	v_div_scale_f32 v7, null, v6, v6, 1.0
	v_div_scale_f32 v10, vcc_lo, 1.0, v6, 1.0
	v_rcp_f32_e32 v8, v7
	v_xor_b32_e32 v7, 0x80000000, v7
	s_delay_alu instid0(TRANS32_DEP_1) | instid1(VALU_DEP_1)
	v_fma_f32 v9, v7, v8, 1.0
	s_delay_alu instid0(VALU_DEP_1) | instskip(NEXT) | instid1(VALU_DEP_1)
	v_fmac_f32_e32 v8, v9, v8
	v_mul_f32_e32 v9, v10, v8
	s_delay_alu instid0(VALU_DEP_1) | instskip(NEXT) | instid1(VALU_DEP_1)
	v_fma_f32 v11, v7, v9, v10
	v_fmac_f32_e32 v9, v11, v8
	s_delay_alu instid0(VALU_DEP_1) | instskip(SKIP_1) | instid1(VALU_DEP_1)
	v_fmac_f32_e32 v10, v7, v9
	s_wait_alu 0xfffd
	v_div_fmas_f32 v7, v10, v8, v9
	v_fma_f32 v8, v1, v5, v2
	s_delay_alu instid0(VALU_DEP_2) | instskip(SKIP_1) | instid1(VALU_DEP_2)
	v_div_fixup_f32 v6, v7, v6, 1.0
	v_fma_f32 v7, v2, v5, -v1
	v_mul_f32_e32 v5, v8, v6
	s_delay_alu instid0(VALU_DEP_2)
	v_mul_f32_e32 v6, v7, v6
.LBB157_145:                            ;   in Loop: Header=BB157_141 Depth=2
	s_wait_alu 0xfffe
	s_and_not1_b32 vcc_lo, exec_lo, s21
	s_wait_alu 0xfffe
	s_cbranch_vccnz .LBB157_140
; %bb.146:                              ;   in Loop: Header=BB157_141 Depth=2
	v_div_scale_f32 v5, null, v3, v3, v4
	v_div_scale_f32 v8, vcc_lo, v4, v3, v4
	s_delay_alu instid0(VALU_DEP_2)
	v_rcp_f32_e32 v6, v5
	v_xor_b32_e32 v5, 0x80000000, v5
	s_delay_alu instid0(TRANS32_DEP_1) | instid1(VALU_DEP_1)
	v_fma_f32 v7, v5, v6, 1.0
	s_delay_alu instid0(VALU_DEP_1) | instskip(NEXT) | instid1(VALU_DEP_1)
	v_fmac_f32_e32 v6, v7, v6
	v_mul_f32_e32 v7, v8, v6
	s_delay_alu instid0(VALU_DEP_1) | instskip(NEXT) | instid1(VALU_DEP_1)
	v_fma_f32 v9, v5, v7, v8
	v_fmac_f32_e32 v7, v9, v6
	s_delay_alu instid0(VALU_DEP_1) | instskip(SKIP_1) | instid1(VALU_DEP_1)
	v_fmac_f32_e32 v8, v5, v7
	s_wait_alu 0xfffd
	v_div_fmas_f32 v5, v8, v6, v7
	s_delay_alu instid0(VALU_DEP_1) | instskip(NEXT) | instid1(VALU_DEP_1)
	v_div_fixup_f32 v5, v5, v3, v4
	v_fmac_f32_e32 v3, v4, v5
	s_delay_alu instid0(VALU_DEP_1) | instskip(SKIP_1) | instid1(VALU_DEP_2)
	v_div_scale_f32 v4, null, v3, v3, 1.0
	v_div_scale_f32 v8, vcc_lo, 1.0, v3, 1.0
	v_rcp_f32_e32 v6, v4
	v_xor_b32_e32 v4, 0x80000000, v4
	s_delay_alu instid0(TRANS32_DEP_1) | instid1(VALU_DEP_1)
	v_fma_f32 v7, v4, v6, 1.0
	s_delay_alu instid0(VALU_DEP_1) | instskip(NEXT) | instid1(VALU_DEP_1)
	v_fmac_f32_e32 v6, v7, v6
	v_mul_f32_e32 v7, v8, v6
	s_delay_alu instid0(VALU_DEP_1) | instskip(NEXT) | instid1(VALU_DEP_1)
	v_fma_f32 v9, v4, v7, v8
	v_fmac_f32_e32 v7, v9, v6
	s_delay_alu instid0(VALU_DEP_1) | instskip(SKIP_1) | instid1(VALU_DEP_1)
	v_fmac_f32_e32 v8, v4, v7
	s_wait_alu 0xfffd
	v_div_fmas_f32 v4, v8, v6, v7
	v_fma_f32 v6, v2, v5, v1
	v_fma_f32 v1, -v1, v5, v2
	s_delay_alu instid0(VALU_DEP_3) | instskip(NEXT) | instid1(VALU_DEP_1)
	v_div_fixup_f32 v3, v4, v3, 1.0
	v_mul_f32_e32 v5, v6, v3
	s_delay_alu instid0(VALU_DEP_3)
	v_mul_f32_e32 v6, v1, v3
	s_branch .LBB157_140
.LBB157_147:                            ;   in Loop: Header=BB157_3 Depth=1
	s_and_saveexec_b32 s20, s23
	s_cbranch_execz .LBB157_2
; %bb.148:                              ;   in Loop: Header=BB157_3 Depth=1
	v_add_co_u32 v0, vcc_lo, v15, s6
	s_wait_alu 0xfffd
	v_add_co_ci_u32_e64 v1, null, s7, v16, vcc_lo
	v_mov_b32_e32 v2, v14
	s_delay_alu instid0(VALU_DEP_3) | instskip(SKIP_1) | instid1(VALU_DEP_3)
	v_add_co_u32 v0, vcc_lo, v0, s12
	s_wait_alu 0xfffd
	v_add_co_ci_u32_e64 v1, null, s13, v1, vcc_lo
	s_mov_b32 s21, s16
	v_add_co_u32 v0, vcc_lo, v0, v29
	s_wait_alu 0xfffd
	v_add_co_ci_u32_e64 v1, null, 0, v1, vcc_lo
.LBB157_149:                            ;   Parent Loop BB157_3 Depth=1
                                        ; =>  This Inner Loop Header: Depth=2
	ds_load_b64 v[3:4], v2
	v_add_nc_u32_e32 v2, 0xa0, v2
	s_wait_alu 0xfffe
	s_add_co_i32 s21, s21, -1
	s_wait_alu 0xfffe
	s_cmp_lg_u32 s21, 0
	s_wait_dscnt 0x0
	flat_store_b64 v[0:1], v[3:4]
	v_add_co_u32 v0, vcc_lo, v0, s14
	s_wait_alu 0xfffd
	v_add_co_ci_u32_e64 v1, null, s15, v1, vcc_lo
	s_cbranch_scc1 .LBB157_149
	s_branch .LBB157_2
.LBB157_150:
	s_endpgm
	.section	.rodata,"a",@progbits
	.p2align	6, 0x0
	.amdhsa_kernel _ZL31rocblas_trsm_small_right_deviceI19rocblas_complex_numIfES1_PKPKS1_PKPS1_Li20EEv13rocblas_fill_18rocblas_operation_17rocblas_diagonal_iiT0_T1_lilT2_lili
		.amdhsa_group_segment_fixed_size 6400
		.amdhsa_private_segment_fixed_size 0
		.amdhsa_kernarg_size 360
		.amdhsa_user_sgpr_count 2
		.amdhsa_user_sgpr_dispatch_ptr 0
		.amdhsa_user_sgpr_queue_ptr 0
		.amdhsa_user_sgpr_kernarg_segment_ptr 1
		.amdhsa_user_sgpr_dispatch_id 0
		.amdhsa_user_sgpr_private_segment_size 0
		.amdhsa_wavefront_size32 1
		.amdhsa_uses_dynamic_stack 0
		.amdhsa_enable_private_segment 0
		.amdhsa_system_sgpr_workgroup_id_x 1
		.amdhsa_system_sgpr_workgroup_id_y 0
		.amdhsa_system_sgpr_workgroup_id_z 1
		.amdhsa_system_sgpr_workgroup_info 0
		.amdhsa_system_vgpr_workitem_id 0
		.amdhsa_next_free_vgpr 241
		.amdhsa_next_free_sgpr 40
		.amdhsa_reserve_vcc 1
		.amdhsa_float_round_mode_32 0
		.amdhsa_float_round_mode_16_64 0
		.amdhsa_float_denorm_mode_32 3
		.amdhsa_float_denorm_mode_16_64 3
		.amdhsa_fp16_overflow 0
		.amdhsa_workgroup_processor_mode 1
		.amdhsa_memory_ordered 1
		.amdhsa_forward_progress 1
		.amdhsa_inst_pref_size 123
		.amdhsa_round_robin_scheduling 0
		.amdhsa_exception_fp_ieee_invalid_op 0
		.amdhsa_exception_fp_denorm_src 0
		.amdhsa_exception_fp_ieee_div_zero 0
		.amdhsa_exception_fp_ieee_overflow 0
		.amdhsa_exception_fp_ieee_underflow 0
		.amdhsa_exception_fp_ieee_inexact 0
		.amdhsa_exception_int_div_zero 0
	.end_amdhsa_kernel
	.section	.text._ZL31rocblas_trsm_small_right_deviceI19rocblas_complex_numIfES1_PKPKS1_PKPS1_Li20EEv13rocblas_fill_18rocblas_operation_17rocblas_diagonal_iiT0_T1_lilT2_lili,"axG",@progbits,_ZL31rocblas_trsm_small_right_deviceI19rocblas_complex_numIfES1_PKPKS1_PKPS1_Li20EEv13rocblas_fill_18rocblas_operation_17rocblas_diagonal_iiT0_T1_lilT2_lili,comdat
.Lfunc_end157:
	.size	_ZL31rocblas_trsm_small_right_deviceI19rocblas_complex_numIfES1_PKPKS1_PKPS1_Li20EEv13rocblas_fill_18rocblas_operation_17rocblas_diagonal_iiT0_T1_lilT2_lili, .Lfunc_end157-_ZL31rocblas_trsm_small_right_deviceI19rocblas_complex_numIfES1_PKPKS1_PKPS1_Li20EEv13rocblas_fill_18rocblas_operation_17rocblas_diagonal_iiT0_T1_lilT2_lili
                                        ; -- End function
	.set _ZL31rocblas_trsm_small_right_deviceI19rocblas_complex_numIfES1_PKPKS1_PKPS1_Li20EEv13rocblas_fill_18rocblas_operation_17rocblas_diagonal_iiT0_T1_lilT2_lili.num_vgpr, 42
	.set _ZL31rocblas_trsm_small_right_deviceI19rocblas_complex_numIfES1_PKPKS1_PKPS1_Li20EEv13rocblas_fill_18rocblas_operation_17rocblas_diagonal_iiT0_T1_lilT2_lili.num_agpr, 0
	.set _ZL31rocblas_trsm_small_right_deviceI19rocblas_complex_numIfES1_PKPKS1_PKPS1_Li20EEv13rocblas_fill_18rocblas_operation_17rocblas_diagonal_iiT0_T1_lilT2_lili.numbered_sgpr, 40
	.set _ZL31rocblas_trsm_small_right_deviceI19rocblas_complex_numIfES1_PKPKS1_PKPS1_Li20EEv13rocblas_fill_18rocblas_operation_17rocblas_diagonal_iiT0_T1_lilT2_lili.num_named_barrier, 0
	.set _ZL31rocblas_trsm_small_right_deviceI19rocblas_complex_numIfES1_PKPKS1_PKPS1_Li20EEv13rocblas_fill_18rocblas_operation_17rocblas_diagonal_iiT0_T1_lilT2_lili.private_seg_size, 0
	.set _ZL31rocblas_trsm_small_right_deviceI19rocblas_complex_numIfES1_PKPKS1_PKPS1_Li20EEv13rocblas_fill_18rocblas_operation_17rocblas_diagonal_iiT0_T1_lilT2_lili.uses_vcc, 1
	.set _ZL31rocblas_trsm_small_right_deviceI19rocblas_complex_numIfES1_PKPKS1_PKPS1_Li20EEv13rocblas_fill_18rocblas_operation_17rocblas_diagonal_iiT0_T1_lilT2_lili.uses_flat_scratch, 0
	.set _ZL31rocblas_trsm_small_right_deviceI19rocblas_complex_numIfES1_PKPKS1_PKPS1_Li20EEv13rocblas_fill_18rocblas_operation_17rocblas_diagonal_iiT0_T1_lilT2_lili.has_dyn_sized_stack, 0
	.set _ZL31rocblas_trsm_small_right_deviceI19rocblas_complex_numIfES1_PKPKS1_PKPS1_Li20EEv13rocblas_fill_18rocblas_operation_17rocblas_diagonal_iiT0_T1_lilT2_lili.has_recursion, 0
	.set _ZL31rocblas_trsm_small_right_deviceI19rocblas_complex_numIfES1_PKPKS1_PKPS1_Li20EEv13rocblas_fill_18rocblas_operation_17rocblas_diagonal_iiT0_T1_lilT2_lili.has_indirect_call, 0
	.section	.AMDGPU.csdata,"",@progbits
; Kernel info:
; codeLenInByte = 15732
; TotalNumSgprs: 42
; NumVgprs: 42
; ScratchSize: 0
; MemoryBound: 0
; FloatMode: 240
; IeeeMode: 1
; LDSByteSize: 6400 bytes/workgroup (compile time only)
; SGPRBlocks: 0
; VGPRBlocks: 30
; NumSGPRsForWavesPerEU: 42
; NumVGPRsForWavesPerEU: 241
; Occupancy: 5
; WaveLimiterHint : 0
; COMPUTE_PGM_RSRC2:SCRATCH_EN: 0
; COMPUTE_PGM_RSRC2:USER_SGPR: 2
; COMPUTE_PGM_RSRC2:TRAP_HANDLER: 0
; COMPUTE_PGM_RSRC2:TGID_X_EN: 1
; COMPUTE_PGM_RSRC2:TGID_Y_EN: 0
; COMPUTE_PGM_RSRC2:TGID_Z_EN: 1
; COMPUTE_PGM_RSRC2:TIDIG_COMP_CNT: 0
	.section	.text._ZL38rocblas_trsm_small_left_device_sharedBILi24ELi24ELb0E19rocblas_complex_numIfES1_PKPKS1_PKPS1_Ev13rocblas_fill_18rocblas_operation_17rocblas_diagonal_iiT3_T4_lilT5_lili,"axG",@progbits,_ZL38rocblas_trsm_small_left_device_sharedBILi24ELi24ELb0E19rocblas_complex_numIfES1_PKPKS1_PKPS1_Ev13rocblas_fill_18rocblas_operation_17rocblas_diagonal_iiT3_T4_lilT5_lili,comdat
	.globl	_ZL38rocblas_trsm_small_left_device_sharedBILi24ELi24ELb0E19rocblas_complex_numIfES1_PKPKS1_PKPS1_Ev13rocblas_fill_18rocblas_operation_17rocblas_diagonal_iiT3_T4_lilT5_lili ; -- Begin function _ZL38rocblas_trsm_small_left_device_sharedBILi24ELi24ELb0E19rocblas_complex_numIfES1_PKPKS1_PKPS1_Ev13rocblas_fill_18rocblas_operation_17rocblas_diagonal_iiT3_T4_lilT5_lili
	.p2align	8
	.type	_ZL38rocblas_trsm_small_left_device_sharedBILi24ELi24ELb0E19rocblas_complex_numIfES1_PKPKS1_PKPS1_Ev13rocblas_fill_18rocblas_operation_17rocblas_diagonal_iiT3_T4_lilT5_lili,@function
_ZL38rocblas_trsm_small_left_device_sharedBILi24ELi24ELb0E19rocblas_complex_numIfES1_PKPKS1_PKPS1_Ev13rocblas_fill_18rocblas_operation_17rocblas_diagonal_iiT3_T4_lilT5_lili: ; @_ZL38rocblas_trsm_small_left_device_sharedBILi24ELi24ELb0E19rocblas_complex_numIfES1_PKPKS1_PKPS1_Ev13rocblas_fill_18rocblas_operation_17rocblas_diagonal_iiT3_T4_lilT5_lili
; %bb.0:
	s_load_b32 s22, s[0:1], 0x60
	s_lshr_b32 s2, ttmp7, 16
	s_wait_kmcnt 0x0
	s_cmp_ge_u32 s2, s22
	s_cbranch_scc1 .LBB158_66
; %bb.1:
	s_clause 0x6
	s_load_b32 s20, s[0:1], 0x30
	s_load_b32 s28, s[0:1], 0x50
	s_load_b128 s[12:15], s[0:1], 0x4
	s_load_b32 s3, s[0:1], 0x68
	s_load_b128 s[4:7], s[0:1], 0x20
	s_load_b128 s[8:11], s[0:1], 0x40
	s_load_b64 s[16:17], s[0:1], 0x14
	s_mul_i32 s0, ttmp9, 0xffffffe8
	s_mul_i32 s30, ttmp9, 24
	v_lshlrev_b32_e32 v12, 3, v0
	v_mul_u32_u24_e32 v2, 0xc0, v0
	s_mov_b32 s19, 0
	s_wait_kmcnt 0x0
	s_ashr_i32 s21, s20, 31
	s_ashr_i32 s29, s28, 31
	s_cmp_lg_u32 s12, 0x71
	v_mad_co_i64_i32 v[4:5], null, s28, v0, 0
	s_cselect_b32 s1, -1, 0
	s_min_i32 s23, s14, 24
	s_add_co_i32 s3, s3, -1
	s_add_co_i32 s0, s15, s0
	s_add_co_i32 s24, s23, -1
	s_cmp_ge_u32 ttmp9, s3
	v_lshlrev_b64_e32 v[4:5], 3, v[4:5]
	s_cselect_b32 s3, s0, 24
	s_ashr_i32 s31, s30, 31
	s_cmp_lg_u32 s13, 0x84
	v_cmp_gt_i32_e64 s0, s23, v0
	s_cselect_b32 s25, -1, 0
	s_cmp_gt_i32 s14, 0
	v_cmp_gt_i32_e32 vcc_lo, s3, v0
	s_cselect_b32 s18, -1, 0
	s_cmp_lg_u32 s12, 0x6f
	s_mul_u64 s[14:15], s[28:29], s[30:31]
	s_cselect_b32 s26, -1, 0
	s_lshl_b64 s[12:13], s[30:31], 3
	s_and_b32 s27, vcc_lo, s18
	v_add_co_u32 v0, s3, s12, v12
	s_wait_alu 0xf1ff
	v_add_co_ci_u32_e64 v3, null, s13, 0, s3
	s_lshl_b64 s[12:13], s[6:7], 3
	s_lshl_b64 s[6:7], s[10:11], 3
	v_mul_lo_u32 v8, v0, s29
	v_mul_lo_u32 v9, v3, s28
	v_mad_co_u64_u32 v[6:7], null, v0, s28, s[6:7]
	v_mov_b32_e32 v3, 0
	s_wait_alu 0xfffe
	v_add_co_u32 v10, s3, s12, v12
	v_or_b32_e32 v1, 0x1200, v12
	s_wait_alu 0xf1ff
	v_add_co_ci_u32_e64 v0, null, s13, 0, s3
	s_delay_alu instid0(VALU_DEP_3)
	v_or_b32_e32 v13, 4, v10
	v_add3_u32 v14, v9, v7, v8
	v_or_b32_e32 v15, 4, v6
	v_add_nc_u32_e32 v16, v12, v2
	v_mov_b32_e32 v2, 1.0
	s_mul_i32 s3, s23, 0xc0
	s_or_b32 s28, 0, 4
	s_lshl_b64 s[10:11], s[20:21], 3
	s_wait_alu 0xfffe
	s_add_co_i32 s20, s3, 0xffffff40
	s_lshl_b64 s[12:13], s[14:15], 3
	s_branch .LBB158_3
.LBB158_2:                              ;   in Loop: Header=BB158_3 Depth=1
	s_wait_alu 0xfffe
	s_or_b32 exec_lo, exec_lo, s3
	s_add_co_i32 s2, s2, 0x10000
	s_wait_alu 0xfffe
	s_cmp_lt_u32 s2, s22
	s_cbranch_scc0 .LBB158_66
.LBB158_3:                              ; =>This Loop Header: Depth=1
                                        ;     Child Loop BB158_6 Depth 2
                                        ;     Child Loop BB158_20 Depth 2
	;; [unrolled: 1-line block ×3, first 2 shown]
                                        ;       Child Loop BB158_27 Depth 3
                                        ;         Child Loop BB158_28 Depth 4
                                        ;         Child Loop BB158_31 Depth 4
                                        ;           Child Loop BB158_32 Depth 5
                                        ;         Child Loop BB158_36 Depth 4
                                        ;           Child Loop BB158_38 Depth 5
                                        ;     Child Loop BB158_46 Depth 2
                                        ;       Child Loop BB158_49 Depth 3
                                        ;         Child Loop BB158_50 Depth 4
                                        ;         Child Loop BB158_52 Depth 4
                                        ;           Child Loop BB158_53 Depth 5
                                        ;         Child Loop BB158_57 Depth 4
                                        ;           Child Loop BB158_59 Depth 5
                                        ;     Child Loop BB158_65 Depth 2
	s_mov_b32 s3, s19
	s_wait_alu 0xfffe
	s_lshl_b64 s[14:15], s[2:3], 3
	s_delay_alu instid0(SALU_CYCLE_1)
	s_add_nc_u64 s[30:31], s[8:9], s[14:15]
	global_load_b64 v[6:7], v3, s[30:31]
	s_and_saveexec_b32 s3, s0
	s_cbranch_execz .LBB158_18
; %bb.4:                                ;   in Loop: Header=BB158_3 Depth=1
	s_add_nc_u64 s[14:15], s[4:5], s[14:15]
	v_mov_b32_e32 v17, v12
	global_load_b64 v[8:9], v3, s[14:15]
	s_mov_b32 s14, s23
	s_wait_loadcnt 0x0
	v_add_co_u32 v8, vcc_lo, v8, v13
	s_wait_alu 0xfffd
	v_add_co_ci_u32_e64 v9, null, v9, v0, vcc_lo
	s_branch .LBB158_6
.LBB158_5:                              ;   in Loop: Header=BB158_6 Depth=2
	flat_load_b32 v10, v[8:9] offset:-4
	v_add_co_u32 v8, vcc_lo, v8, s10
	s_wait_alu 0xfffd
	v_add_co_ci_u32_e64 v9, null, s11, v9, vcc_lo
	s_add_co_i32 s14, s14, -1
	s_delay_alu instid0(SALU_CYCLE_1)
	s_cmp_eq_u32 s14, 0
	s_wait_loadcnt_dscnt 0x0
	ds_store_b64 v17, v[10:11]
	v_add_nc_u32_e32 v17, 0xc0, v17
	s_cbranch_scc1 .LBB158_10
.LBB158_6:                              ;   Parent Loop BB158_3 Depth=1
                                        ; =>  This Inner Loop Header: Depth=2
	s_and_b32 vcc_lo, exec_lo, s1
	s_mov_b32 s15, -1
                                        ; implicit-def: $vgpr11
	s_wait_alu 0xfffe
	s_cbranch_vccz .LBB158_8
; %bb.7:                                ;   in Loop: Header=BB158_6 Depth=2
	flat_load_b32 v11, v[8:9]
	s_mov_b32 s15, 0
.LBB158_8:                              ;   in Loop: Header=BB158_6 Depth=2
	s_delay_alu instid0(SALU_CYCLE_1)
	s_and_not1_b32 vcc_lo, exec_lo, s15
	s_wait_alu 0xfffe
	s_cbranch_vccnz .LBB158_5
; %bb.9:                                ;   in Loop: Header=BB158_6 Depth=2
	flat_load_b32 v10, v[8:9]
	s_wait_loadcnt_dscnt 0x0
	v_xor_b32_e32 v11, 0x80000000, v10
	s_branch .LBB158_5
.LBB158_10:                             ;   in Loop: Header=BB158_3 Depth=1
	s_and_b32 vcc_lo, exec_lo, s25
	s_mov_b32 s14, -1
	s_wait_alu 0xfffe
	s_cbranch_vccz .LBB158_16
; %bb.11:                               ;   in Loop: Header=BB158_3 Depth=1
	ds_load_b64 v[8:9], v16
                                        ; implicit-def: $vgpr10
	s_wait_dscnt 0x0
	v_cmp_ngt_f32_e64 s14, |v8|, |v9|
	s_and_saveexec_b32 s15, s14
	s_delay_alu instid0(SALU_CYCLE_1)
	s_xor_b32 s14, exec_lo, s15
	s_cbranch_execz .LBB158_13
; %bb.12:                               ;   in Loop: Header=BB158_3 Depth=1
	v_div_scale_f32 v10, null, v9, v9, v8
	v_div_scale_f32 v18, vcc_lo, v8, v9, v8
	s_delay_alu instid0(VALU_DEP_2) | instskip(NEXT) | instid1(TRANS32_DEP_1)
	v_rcp_f32_e32 v11, v10
	v_fma_f32 v17, -v10, v11, 1.0
	s_delay_alu instid0(VALU_DEP_1) | instskip(NEXT) | instid1(VALU_DEP_1)
	v_fmac_f32_e32 v11, v17, v11
	v_mul_f32_e32 v17, v18, v11
	s_delay_alu instid0(VALU_DEP_1) | instskip(NEXT) | instid1(VALU_DEP_1)
	v_fma_f32 v19, -v10, v17, v18
	v_fmac_f32_e32 v17, v19, v11
	s_delay_alu instid0(VALU_DEP_1) | instskip(SKIP_1) | instid1(VALU_DEP_1)
	v_fma_f32 v10, -v10, v17, v18
	s_wait_alu 0xfffd
	v_div_fmas_f32 v10, v10, v11, v17
	s_delay_alu instid0(VALU_DEP_1) | instskip(NEXT) | instid1(VALU_DEP_1)
	v_div_fixup_f32 v10, v10, v9, v8
	v_fmac_f32_e32 v9, v8, v10
	s_delay_alu instid0(VALU_DEP_1) | instskip(SKIP_1) | instid1(VALU_DEP_2)
	v_div_scale_f32 v8, null, v9, v9, 1.0
	v_div_scale_f32 v18, vcc_lo, 1.0, v9, 1.0
	v_rcp_f32_e32 v11, v8
	s_delay_alu instid0(TRANS32_DEP_1) | instskip(NEXT) | instid1(VALU_DEP_1)
	v_fma_f32 v17, -v8, v11, 1.0
	v_fmac_f32_e32 v11, v17, v11
	s_delay_alu instid0(VALU_DEP_1) | instskip(NEXT) | instid1(VALU_DEP_1)
	v_mul_f32_e32 v17, v18, v11
	v_fma_f32 v19, -v8, v17, v18
	s_delay_alu instid0(VALU_DEP_1) | instskip(NEXT) | instid1(VALU_DEP_1)
	v_fmac_f32_e32 v17, v19, v11
	v_fma_f32 v8, -v8, v17, v18
	s_wait_alu 0xfffd
	s_delay_alu instid0(VALU_DEP_1) | instskip(SKIP_1) | instid1(VALU_DEP_2)
	v_div_fmas_f32 v8, v8, v11, v17
	v_add_f32_e32 v11, 0, v10
	v_div_fixup_f32 v8, v8, v9, 1.0
	v_fma_f32 v9, v10, 0, -1.0
	s_delay_alu instid0(VALU_DEP_2) | instskip(NEXT) | instid1(VALU_DEP_2)
	v_mul_f32_e32 v10, v11, v8
	v_mul_f32_e32 v11, v9, v8
                                        ; implicit-def: $vgpr8_vgpr9
.LBB158_13:                             ;   in Loop: Header=BB158_3 Depth=1
	s_and_not1_saveexec_b32 s14, s14
	s_cbranch_execz .LBB158_15
; %bb.14:                               ;   in Loop: Header=BB158_3 Depth=1
	v_div_scale_f32 v10, null, v8, v8, v9
	v_div_scale_f32 v18, vcc_lo, v9, v8, v9
	s_delay_alu instid0(VALU_DEP_2) | instskip(NEXT) | instid1(TRANS32_DEP_1)
	v_rcp_f32_e32 v11, v10
	v_fma_f32 v17, -v10, v11, 1.0
	s_delay_alu instid0(VALU_DEP_1) | instskip(NEXT) | instid1(VALU_DEP_1)
	v_fmac_f32_e32 v11, v17, v11
	v_mul_f32_e32 v17, v18, v11
	s_delay_alu instid0(VALU_DEP_1) | instskip(NEXT) | instid1(VALU_DEP_1)
	v_fma_f32 v19, -v10, v17, v18
	v_fmac_f32_e32 v17, v19, v11
	s_delay_alu instid0(VALU_DEP_1) | instskip(SKIP_1) | instid1(VALU_DEP_1)
	v_fma_f32 v10, -v10, v17, v18
	s_wait_alu 0xfffd
	v_div_fmas_f32 v10, v10, v11, v17
	s_delay_alu instid0(VALU_DEP_1) | instskip(NEXT) | instid1(VALU_DEP_1)
	v_div_fixup_f32 v11, v10, v8, v9
	v_fmac_f32_e32 v8, v9, v11
	s_delay_alu instid0(VALU_DEP_1) | instskip(SKIP_1) | instid1(VALU_DEP_2)
	v_div_scale_f32 v9, null, v8, v8, 1.0
	v_div_scale_f32 v18, vcc_lo, 1.0, v8, 1.0
	v_rcp_f32_e32 v10, v9
	s_delay_alu instid0(TRANS32_DEP_1) | instskip(NEXT) | instid1(VALU_DEP_1)
	v_fma_f32 v17, -v9, v10, 1.0
	v_fmac_f32_e32 v10, v17, v10
	s_delay_alu instid0(VALU_DEP_1) | instskip(NEXT) | instid1(VALU_DEP_1)
	v_mul_f32_e32 v17, v18, v10
	v_fma_f32 v19, -v9, v17, v18
	s_delay_alu instid0(VALU_DEP_1) | instskip(NEXT) | instid1(VALU_DEP_1)
	v_fmac_f32_e32 v17, v19, v10
	v_fma_f32 v9, -v9, v17, v18
	s_wait_alu 0xfffd
	s_delay_alu instid0(VALU_DEP_1) | instskip(SKIP_1) | instid1(VALU_DEP_2)
	v_div_fmas_f32 v9, v9, v10, v17
	v_fma_f32 v10, v11, 0, 1.0
	v_div_fixup_f32 v8, v9, v8, 1.0
	s_delay_alu instid0(VALU_DEP_1)
	v_mul_f32_e32 v10, v10, v8
	v_mul_f32_e64 v11, -v11, v8
.LBB158_15:                             ;   in Loop: Header=BB158_3 Depth=1
	s_or_b32 exec_lo, exec_lo, s14
	s_mov_b32 s14, 0
	ds_store_b64 v16, v[10:11]
.LBB158_16:                             ;   in Loop: Header=BB158_3 Depth=1
	s_and_b32 vcc_lo, exec_lo, s14
	s_wait_alu 0xfffe
	s_cbranch_vccz .LBB158_18
; %bb.17:                               ;   in Loop: Header=BB158_3 Depth=1
	ds_store_b64 v16, v[2:3]
.LBB158_18:                             ;   in Loop: Header=BB158_3 Depth=1
	s_wait_alu 0xfffe
	s_or_b32 exec_lo, exec_lo, s3
	s_and_saveexec_b32 s3, s27
	s_cbranch_execz .LBB158_21
; %bb.19:                               ;   in Loop: Header=BB158_3 Depth=1
	s_wait_loadcnt 0x0
	v_add_co_u32 v8, vcc_lo, v6, v15
	s_wait_alu 0xfffd
	v_add_co_ci_u32_e64 v9, null, v7, v14, vcc_lo
	v_mov_b32_e32 v10, v1
	s_mov_b32 s14, s23
.LBB158_20:                             ;   Parent Loop BB158_3 Depth=1
                                        ; =>  This Inner Loop Header: Depth=2
	flat_load_b64 v[17:18], v[8:9] offset:-4
	v_add_co_u32 v8, vcc_lo, v8, 8
	s_wait_alu 0xfffd
	v_add_co_ci_u32_e64 v9, null, 0, v9, vcc_lo
	s_add_co_i32 s14, s14, -1
	s_delay_alu instid0(SALU_CYCLE_1) | instskip(SKIP_3) | instid1(VALU_DEP_2)
	s_cmp_lg_u32 s14, 0
	s_wait_loadcnt_dscnt 0x0
	v_mul_f32_e32 v11, s17, v18
	v_mul_f32_e32 v19, s16, v18
	v_fma_f32 v18, s16, v17, -v11
	s_delay_alu instid0(VALU_DEP_2)
	v_fmac_f32_e32 v19, s17, v17
	ds_store_b64 v10, v[18:19]
	v_add_nc_u32_e32 v10, 0xc0, v10
	s_cbranch_scc1 .LBB158_20
.LBB158_21:                             ;   in Loop: Header=BB158_3 Depth=1
	s_wait_alu 0xfffe
	s_or_b32 exec_lo, exec_lo, s3
	s_delay_alu instid0(SALU_CYCLE_1)
	s_and_not1_b32 vcc_lo, exec_lo, s26
	s_mov_b32 s3, -1
	; wave barrier
	s_wait_loadcnt_dscnt 0x0
	global_inv scope:SCOPE_SE
	s_wait_alu 0xfffe
	s_cbranch_vccnz .LBB158_43
; %bb.22:                               ;   in Loop: Header=BB158_3 Depth=1
	s_mov_b32 s18, 0
	s_delay_alu instid0(SALU_CYCLE_1)
	s_mov_b32 s3, s18
	s_branch .LBB158_24
.LBB158_23:                             ;   in Loop: Header=BB158_24 Depth=2
	s_cmp_lt_i32 s3, s23
	s_cselect_b32 s14, -1, 0
	s_add_co_i32 s15, s18, 1
	s_cmp_lt_u32 s18, 2
	s_cselect_b32 s18, -1, 0
	s_delay_alu instid0(SALU_CYCLE_1)
	s_and_b32 s14, s14, s18
	s_mov_b32 s18, s15
	s_and_b32 vcc_lo, exec_lo, s14
	s_wait_alu 0xfffe
	s_cbranch_vccz .LBB158_42
.LBB158_24:                             ;   Parent Loop BB158_3 Depth=1
                                        ; =>  This Loop Header: Depth=2
                                        ;       Child Loop BB158_27 Depth 3
                                        ;         Child Loop BB158_28 Depth 4
                                        ;         Child Loop BB158_31 Depth 4
                                        ;           Child Loop BB158_32 Depth 5
                                        ;         Child Loop BB158_36 Depth 4
                                        ;           Child Loop BB158_38 Depth 5
	s_getpc_b64 s[14:15]
	s_sext_i32_i16 s15, s15
	s_add_co_u32 s14, s14, __const._ZL38rocblas_trsm_small_left_device_sharedBILi24ELi24ELb0E19rocblas_complex_numIfES1_PKPKS1_PKPS1_Ev13rocblas_fill_18rocblas_operation_17rocblas_diagonal_iiT3_T4_lilT5_lili.step_sizes@rel32@lo+8
	s_add_co_ci_u32 s15, s15, __const._ZL38rocblas_trsm_small_left_device_sharedBILi24ELi24ELb0E19rocblas_complex_numIfES1_PKPKS1_PKPS1_Ev13rocblas_fill_18rocblas_operation_17rocblas_diagonal_iiT3_T4_lilT5_lili.step_sizes@rel32@hi+16
	s_lshl_b64 s[30:31], s[18:19], 2
	s_wait_alu 0xfffe
	s_add_nc_u64 s[14:15], s[14:15], s[30:31]
	s_load_b32 s14, s[14:15], 0x0
	s_wait_kmcnt 0x0
	s_add_co_i32 s15, s14, -1
	s_delay_alu instid0(SALU_CYCLE_1)
	s_add_co_i32 s21, s15, s3
	s_wait_alu 0xfffe
	s_cmp_ge_i32 s21, s23
	s_cbranch_scc1 .LBB158_23
; %bb.25:                               ;   in Loop: Header=BB158_24 Depth=2
	s_mul_i32 s21, s3, 0xc0
	s_max_i32 s29, s14, 1
	s_wait_alu 0xfffe
	v_add_nc_u32_e32 v10, s21, v1
	s_mul_i32 s30, s14, 0xc0
	s_mul_i32 s31, s3, 0xc8
	;; [unrolled: 1-line block ×3, first 2 shown]
	s_branch .LBB158_27
.LBB158_26:                             ;   in Loop: Header=BB158_27 Depth=3
	s_add_co_i32 s3, s3, s14
	v_add_nc_u32_e32 v10, s30, v10
	s_wait_alu 0xfffe
	s_add_co_i32 s34, s15, s3
	s_add_co_i32 s21, s21, s30
	;; [unrolled: 1-line block ×3, first 2 shown]
	s_wait_alu 0xfffe
	s_cmp_ge_i32 s34, s23
	s_cbranch_scc1 .LBB158_23
.LBB158_27:                             ;   Parent Loop BB158_3 Depth=1
                                        ;     Parent Loop BB158_24 Depth=2
                                        ; =>    This Loop Header: Depth=3
                                        ;         Child Loop BB158_28 Depth 4
                                        ;         Child Loop BB158_31 Depth 4
                                        ;           Child Loop BB158_32 Depth 5
                                        ;         Child Loop BB158_36 Depth 4
                                        ;           Child Loop BB158_38 Depth 5
	v_mov_b32_e32 v8, v10
	s_mov_b32 s34, 0
	s_wait_alu 0xfffe
	s_mov_b32 s35, s29
.LBB158_28:                             ;   Parent Loop BB158_3 Depth=1
                                        ;     Parent Loop BB158_24 Depth=2
                                        ;       Parent Loop BB158_27 Depth=3
                                        ; =>      This Inner Loop Header: Depth=4
	ds_load_b64 v[17:18], v8
	v_add_nc_u32_e32 v8, 0xc0, v8
	s_wait_alu 0xfffe
	s_add_co_i32 s35, s35, -1
	s_wait_dscnt 0x0
	scratch_store_b64 off, v[17:18], s34
	s_add_co_i32 s34, s34, 8
	s_wait_alu 0xfffe
	s_cmp_eq_u32 s35, 0
	s_cbranch_scc0 .LBB158_28
; %bb.29:                               ;   in Loop: Header=BB158_27 Depth=3
	s_cmp_lt_i32 s3, 1
	s_cbranch_scc1 .LBB158_34
; %bb.30:                               ;   in Loop: Header=BB158_27 Depth=3
	s_mov_b32 s34, 0
	s_mov_b32 s35, s21
.LBB158_31:                             ;   Parent Loop BB158_3 Depth=1
                                        ;     Parent Loop BB158_24 Depth=2
                                        ;       Parent Loop BB158_27 Depth=3
                                        ; =>      This Loop Header: Depth=4
                                        ;           Child Loop BB158_32 Depth 5
	s_wait_alu 0xfffe
	v_mad_co_u64_u32 v[8:9], null, 0xc0, s34, v[1:2]
	s_mov_b32 s36, s28
	s_mov_b32 s37, s35
	;; [unrolled: 1-line block ×3, first 2 shown]
	ds_load_b64 v[8:9], v8
.LBB158_32:                             ;   Parent Loop BB158_3 Depth=1
                                        ;     Parent Loop BB158_24 Depth=2
                                        ;       Parent Loop BB158_27 Depth=3
                                        ;         Parent Loop BB158_31 Depth=4
                                        ; =>        This Inner Loop Header: Depth=5
	scratch_load_b64 v[17:18], off, s36 offset:-4
	s_wait_alu 0xfffe
	v_mov_b32_e32 v11, s37
	s_add_co_i32 s38, s38, -1
	s_addk_co_i32 s37, 0xc0
	ds_load_b64 v[19:20], v11
	s_wait_dscnt 0x0
	v_mul_f32_e32 v11, v20, v9
	v_mul_f32_e32 v20, v20, v8
	s_delay_alu instid0(VALU_DEP_1) | instskip(SKIP_1) | instid1(VALU_DEP_1)
	v_fmac_f32_e32 v20, v19, v9
	s_wait_loadcnt 0x0
	v_sub_f32_e32 v18, v18, v20
	v_fma_f32 v11, v19, v8, -v11
	s_delay_alu instid0(VALU_DEP_1)
	v_sub_f32_e32 v17, v17, v11
	scratch_store_b64 off, v[17:18], s36 offset:-4
	s_add_co_i32 s36, s36, 8
	s_wait_alu 0xfffe
	s_cmp_eq_u32 s38, 0
	s_cbranch_scc0 .LBB158_32
; %bb.33:                               ;   in Loop: Header=BB158_31 Depth=4
	s_add_co_i32 s34, s34, 1
	s_add_co_i32 s35, s35, 8
	s_wait_alu 0xfffe
	s_cmp_eq_u32 s34, s3
	s_cbranch_scc0 .LBB158_31
.LBB158_34:                             ;   in Loop: Header=BB158_27 Depth=3
	s_mul_i32 s34, s3, 0xc0
	s_mov_b32 s35, 0
	s_mov_b32 s36, s31
	s_branch .LBB158_36
.LBB158_35:                             ;   in Loop: Header=BB158_36 Depth=4
	s_wait_alu 0xfffe
	s_mulk_i32 s38, 0xc8
	s_addk_co_i32 s36, 0xc0
	s_wait_alu 0xfffe
	v_mov_b32_e32 v11, s38
	s_lshl_b32 s38, s35, 3
	s_add_co_i32 s35, s35, 1
	s_wait_alu 0xfffe
	s_cmp_eq_u32 s35, s29
	ds_load_b64 v[17:18], v11
	s_wait_loadcnt_dscnt 0x0
	v_mul_f32_e32 v11, v18, v9
	v_mul_f32_e32 v20, v17, v9
	v_add_nc_u32_e32 v9, s37, v1
	s_delay_alu instid0(VALU_DEP_3) | instskip(NEXT) | instid1(VALU_DEP_3)
	v_fma_f32 v19, v17, v8, -v11
	v_fmac_f32_e32 v20, v18, v8
	scratch_store_b64 off, v[19:20], s38
	ds_store_b64 v9, v[19:20]
	s_cbranch_scc1 .LBB158_26
.LBB158_36:                             ;   Parent Loop BB158_3 Depth=1
                                        ;     Parent Loop BB158_24 Depth=2
                                        ;       Parent Loop BB158_27 Depth=3
                                        ; =>      This Loop Header: Depth=4
                                        ;           Child Loop BB158_38 Depth 5
	s_wait_alu 0xfffe
	s_cmp_lg_u32 s35, 0
	s_cbranch_scc0 .LBB158_40
; %bb.37:                               ;   in Loop: Header=BB158_36 Depth=4
	s_lshl_b32 s39, s35, 3
	s_add_co_i32 s38, s35, s3
	scratch_load_b64 v[8:9], off, s39
	s_wait_alu 0xfffe
	s_mul_i32 s37, s38, 0xc0
	s_mov_b32 s40, 0
	s_mov_b32 s41, s36
	;; [unrolled: 1-line block ×3, first 2 shown]
.LBB158_38:                             ;   Parent Loop BB158_3 Depth=1
                                        ;     Parent Loop BB158_24 Depth=2
                                        ;       Parent Loop BB158_27 Depth=3
                                        ;         Parent Loop BB158_36 Depth=4
                                        ; =>        This Inner Loop Header: Depth=5
	scratch_load_b64 v[17:18], off, s40
	s_wait_alu 0xfffe
	v_mov_b32_e32 v11, s41
	s_add_co_i32 s42, s42, -1
	s_add_co_i32 s40, s40, 8
	s_add_co_i32 s41, s41, 8
	s_cmp_eq_u32 s42, 0
	ds_load_b64 v[19:20], v11
	s_wait_loadcnt_dscnt 0x0
	v_mul_f32_e32 v11, v20, v18
	v_mul_f32_e32 v18, v19, v18
	s_delay_alu instid0(VALU_DEP_2) | instskip(NEXT) | instid1(VALU_DEP_2)
	v_fma_f32 v11, v19, v17, -v11
	v_fmac_f32_e32 v18, v20, v17
	s_delay_alu instid0(VALU_DEP_1)
	v_dual_sub_f32 v8, v8, v11 :: v_dual_sub_f32 v9, v9, v18
	scratch_store_b64 off, v[8:9], s39
	s_cbranch_scc0 .LBB158_38
; %bb.39:                               ;   in Loop: Header=BB158_36 Depth=4
	s_branch .LBB158_35
.LBB158_40:                             ;   in Loop: Header=BB158_36 Depth=4
                                        ; implicit-def: $vgpr8
                                        ; implicit-def: $sgpr38
                                        ; implicit-def: $sgpr37
	s_cbranch_execz .LBB158_35
; %bb.41:                               ;   in Loop: Header=BB158_36 Depth=4
	scratch_load_b64 v[8:9], off, off
	s_mov_b32 s37, s34
	s_mov_b32 s38, s3
	s_branch .LBB158_35
.LBB158_42:                             ;   in Loop: Header=BB158_3 Depth=1
	s_mov_b32 s3, 0
.LBB158_43:                             ;   in Loop: Header=BB158_3 Depth=1
	s_wait_alu 0xfffe
	s_and_b32 vcc_lo, exec_lo, s3
	s_wait_alu 0xfffe
	s_cbranch_vccz .LBB158_63
; %bb.44:                               ;   in Loop: Header=BB158_3 Depth=1
	s_mov_b32 s18, 0
	s_mov_b32 s3, s24
	s_branch .LBB158_46
.LBB158_45:                             ;   in Loop: Header=BB158_46 Depth=2
	s_cmp_gt_i32 s3, -1
	s_cselect_b32 s14, -1, 0
	s_add_co_i32 s15, s18, 1
	s_cmp_lt_u32 s18, 2
	s_cselect_b32 s18, -1, 0
	s_delay_alu instid0(SALU_CYCLE_1)
	s_and_b32 s14, s14, s18
	s_mov_b32 s18, s15
	s_and_not1_b32 vcc_lo, exec_lo, s14
	s_wait_alu 0xfffe
	s_cbranch_vccnz .LBB158_63
.LBB158_46:                             ;   Parent Loop BB158_3 Depth=1
                                        ; =>  This Loop Header: Depth=2
                                        ;       Child Loop BB158_49 Depth 3
                                        ;         Child Loop BB158_50 Depth 4
                                        ;         Child Loop BB158_52 Depth 4
                                        ;           Child Loop BB158_53 Depth 5
                                        ;         Child Loop BB158_57 Depth 4
                                        ;           Child Loop BB158_59 Depth 5
	s_getpc_b64 s[14:15]
	s_sext_i32_i16 s15, s15
	s_add_co_u32 s14, s14, __const._ZL38rocblas_trsm_small_left_device_sharedBILi24ELi24ELb0E19rocblas_complex_numIfES1_PKPKS1_PKPS1_Ev13rocblas_fill_18rocblas_operation_17rocblas_diagonal_iiT3_T4_lilT5_lili.step_sizes@rel32@lo+8
	s_add_co_ci_u32 s15, s15, __const._ZL38rocblas_trsm_small_left_device_sharedBILi24ELi24ELb0E19rocblas_complex_numIfES1_PKPKS1_PKPS1_Ev13rocblas_fill_18rocblas_operation_17rocblas_diagonal_iiT3_T4_lilT5_lili.step_sizes@rel32@hi+16
	s_lshl_b64 s[30:31], s[18:19], 2
	s_wait_alu 0xfffe
	s_add_nc_u64 s[14:15], s[14:15], s[30:31]
	s_load_b32 s14, s[14:15], 0x0
	s_wait_kmcnt 0x0
	s_add_co_i32 s15, s14, -1
	s_delay_alu instid0(SALU_CYCLE_1)
	s_cmp_lt_i32 s3, s15
	s_cbranch_scc1 .LBB158_45
; %bb.47:                               ;   in Loop: Header=BB158_46 Depth=2
	v_mad_co_u64_u32 v[8:9], null, 0xc0, s3, v[1:2]
	s_lshl_b32 s30, s3, 3
	s_lshl_b32 s31, s14, 3
	s_max_i32 s21, s14, 1
	s_mul_i32 s29, s14, 0xffffff40
	s_wait_alu 0xfffe
	s_add_co_i32 s30, s20, s30
	s_sub_co_i32 s31, 0, s31
	s_mul_i32 s33, s3, 0xc8
	s_mul_i32 s34, s14, 0xffffff38
	s_branch .LBB158_49
.LBB158_48:                             ;   in Loop: Header=BB158_49 Depth=3
	v_add_nc_u32_e32 v8, s29, v8
	s_sub_co_i32 s3, s3, s14
	s_add_co_i32 s30, s30, s31
	s_add_co_i32 s33, s33, s34
	s_wait_alu 0xfffe
	s_cmp_lt_i32 s3, s15
	s_cbranch_scc1 .LBB158_45
.LBB158_49:                             ;   Parent Loop BB158_3 Depth=1
                                        ;     Parent Loop BB158_46 Depth=2
                                        ; =>    This Loop Header: Depth=3
                                        ;         Child Loop BB158_50 Depth 4
                                        ;         Child Loop BB158_52 Depth 4
                                        ;           Child Loop BB158_53 Depth 5
                                        ;         Child Loop BB158_57 Depth 4
                                        ;           Child Loop BB158_59 Depth 5
	v_mov_b32_e32 v9, v8
	s_mov_b32 s35, 0
	s_mov_b32 s36, s21
.LBB158_50:                             ;   Parent Loop BB158_3 Depth=1
                                        ;     Parent Loop BB158_46 Depth=2
                                        ;       Parent Loop BB158_49 Depth=3
                                        ; =>      This Inner Loop Header: Depth=4
	ds_load_b64 v[10:11], v9
	v_add_nc_u32_e32 v9, 0xffffff40, v9
	s_wait_alu 0xfffe
	s_add_co_i32 s36, s36, -1
	s_wait_dscnt 0x0
	scratch_store_b64 off, v[10:11], s35
	s_add_co_i32 s35, s35, 8
	s_wait_alu 0xfffe
	s_cmp_eq_u32 s36, 0
	s_cbranch_scc0 .LBB158_50
; %bb.51:                               ;   in Loop: Header=BB158_49 Depth=3
	s_cmp_le_i32 s24, s3
	s_mov_b32 s35, s30
	s_mov_b32 s36, s24
	s_cbranch_scc1 .LBB158_55
.LBB158_52:                             ;   Parent Loop BB158_3 Depth=1
                                        ;     Parent Loop BB158_46 Depth=2
                                        ;       Parent Loop BB158_49 Depth=3
                                        ; =>      This Loop Header: Depth=4
                                        ;           Child Loop BB158_53 Depth 5
	s_wait_alu 0xfffe
	v_mad_co_u64_u32 v[9:10], null, 0xc0, s36, v[1:2]
	s_mov_b32 s37, s28
	s_mov_b32 s38, s35
	;; [unrolled: 1-line block ×3, first 2 shown]
	ds_load_b64 v[9:10], v9
.LBB158_53:                             ;   Parent Loop BB158_3 Depth=1
                                        ;     Parent Loop BB158_46 Depth=2
                                        ;       Parent Loop BB158_49 Depth=3
                                        ;         Parent Loop BB158_52 Depth=4
                                        ; =>        This Inner Loop Header: Depth=5
	scratch_load_b64 v[17:18], off, s37 offset:-4
	s_wait_alu 0xfffe
	v_mov_b32_e32 v11, s38
	s_add_co_i32 s39, s39, -1
	s_add_co_i32 s38, s38, -8
	ds_load_b64 v[19:20], v11
	s_wait_dscnt 0x0
	v_mul_f32_e32 v11, v20, v10
	v_mul_f32_e32 v20, v20, v9
	s_delay_alu instid0(VALU_DEP_1) | instskip(SKIP_1) | instid1(VALU_DEP_1)
	v_fmac_f32_e32 v20, v19, v10
	s_wait_loadcnt 0x0
	v_sub_f32_e32 v18, v18, v20
	v_fma_f32 v11, v19, v9, -v11
	s_delay_alu instid0(VALU_DEP_1)
	v_sub_f32_e32 v17, v17, v11
	scratch_store_b64 off, v[17:18], s37 offset:-4
	s_add_co_i32 s37, s37, 8
	s_wait_alu 0xfffe
	s_cmp_eq_u32 s39, 0
	s_cbranch_scc0 .LBB158_53
; %bb.54:                               ;   in Loop: Header=BB158_52 Depth=4
	s_add_co_i32 s36, s36, -1
	s_addk_co_i32 s35, 0xff40
	s_wait_alu 0xfffe
	s_cmp_le_i32 s36, s3
	s_cbranch_scc0 .LBB158_52
.LBB158_55:                             ;   in Loop: Header=BB158_49 Depth=3
	s_mov_b32 s35, 0
	s_mov_b32 s36, s33
	s_branch .LBB158_57
.LBB158_56:                             ;   in Loop: Header=BB158_57 Depth=4
	s_wait_alu 0xfffe
	s_mul_i32 s38, s37, 0xc8
	v_mad_co_u64_u32 v[19:20], null, 0xc0, s37, v[1:2]
	s_wait_alu 0xfffe
	v_mov_b32_e32 v11, s38
	s_lshl_b32 s38, s35, 3
	s_add_co_i32 s35, s35, 1
	s_add_co_i32 s36, s36, -8
	s_wait_alu 0xfffe
	s_cmp_eq_u32 s35, s21
	ds_load_b64 v[17:18], v11
	s_wait_loadcnt_dscnt 0x0
	v_mul_f32_e32 v21, v18, v10
	v_mul_f32_e32 v11, v17, v10
	s_delay_alu instid0(VALU_DEP_2) | instskip(NEXT) | instid1(VALU_DEP_2)
	v_fma_f32 v10, v17, v9, -v21
	v_fmac_f32_e32 v11, v18, v9
	scratch_store_b64 off, v[10:11], s38
	ds_store_b64 v19, v[10:11]
	s_cbranch_scc1 .LBB158_48
.LBB158_57:                             ;   Parent Loop BB158_3 Depth=1
                                        ;     Parent Loop BB158_46 Depth=2
                                        ;       Parent Loop BB158_49 Depth=3
                                        ; =>      This Loop Header: Depth=4
                                        ;           Child Loop BB158_59 Depth 5
	s_wait_alu 0xfffe
	s_cmp_lg_u32 s35, 0
	s_cbranch_scc0 .LBB158_61
; %bb.58:                               ;   in Loop: Header=BB158_57 Depth=4
	s_lshl_b32 s38, s35, 3
	s_sub_co_i32 s37, s3, s35
	scratch_load_b64 v[9:10], off, s38
	s_mov_b32 s39, 0
	s_mov_b32 s40, s36
	;; [unrolled: 1-line block ×3, first 2 shown]
.LBB158_59:                             ;   Parent Loop BB158_3 Depth=1
                                        ;     Parent Loop BB158_46 Depth=2
                                        ;       Parent Loop BB158_49 Depth=3
                                        ;         Parent Loop BB158_57 Depth=4
                                        ; =>        This Inner Loop Header: Depth=5
	scratch_load_b64 v[17:18], off, s39
	s_wait_alu 0xfffe
	v_mov_b32_e32 v11, s40
	s_add_co_i32 s41, s41, -1
	s_addk_co_i32 s40, 0xff40
	s_add_co_i32 s39, s39, 8
	s_wait_alu 0xfffe
	s_cmp_eq_u32 s41, 0
	ds_load_b64 v[19:20], v11
	s_wait_loadcnt_dscnt 0x0
	v_mul_f32_e32 v11, v20, v18
	v_mul_f32_e32 v18, v19, v18
	s_delay_alu instid0(VALU_DEP_2) | instskip(NEXT) | instid1(VALU_DEP_1)
	v_fma_f32 v11, v19, v17, -v11
	v_dual_fmac_f32 v18, v20, v17 :: v_dual_sub_f32 v9, v9, v11
	s_delay_alu instid0(VALU_DEP_1)
	v_sub_f32_e32 v10, v10, v18
	scratch_store_b64 off, v[9:10], s38
	s_cbranch_scc0 .LBB158_59
; %bb.60:                               ;   in Loop: Header=BB158_57 Depth=4
	s_branch .LBB158_56
.LBB158_61:                             ;   in Loop: Header=BB158_57 Depth=4
                                        ; implicit-def: $vgpr9
                                        ; implicit-def: $sgpr37
	s_cbranch_execz .LBB158_56
; %bb.62:                               ;   in Loop: Header=BB158_57 Depth=4
	scratch_load_b64 v[9:10], off, off
	s_mov_b32 s37, s3
	s_branch .LBB158_56
.LBB158_63:                             ;   in Loop: Header=BB158_3 Depth=1
	s_wait_storecnt 0x0
	; wave barrier
	s_wait_loadcnt_dscnt 0x0
	global_inv scope:SCOPE_SE
	s_and_saveexec_b32 s3, s27
	s_cbranch_execz .LBB158_2
; %bb.64:                               ;   in Loop: Header=BB158_3 Depth=1
	v_add_co_u32 v6, vcc_lo, v6, s6
	s_wait_alu 0xfffd
	v_add_co_ci_u32_e64 v7, null, s7, v7, vcc_lo
	v_mov_b32_e32 v8, v1
	s_delay_alu instid0(VALU_DEP_3) | instskip(SKIP_1) | instid1(VALU_DEP_3)
	v_add_co_u32 v6, vcc_lo, v6, s12
	s_wait_alu 0xfffd
	v_add_co_ci_u32_e64 v7, null, s13, v7, vcc_lo
	s_mov_b32 s14, s23
	v_add_co_u32 v6, vcc_lo, v6, v4
	s_wait_alu 0xfffd
	v_add_co_ci_u32_e64 v7, null, v7, v5, vcc_lo
.LBB158_65:                             ;   Parent Loop BB158_3 Depth=1
                                        ; =>  This Inner Loop Header: Depth=2
	ds_load_b64 v[9:10], v8
	v_add_nc_u32_e32 v8, 0xc0, v8
	s_add_co_i32 s14, s14, -1
	s_delay_alu instid0(SALU_CYCLE_1)
	s_cmp_lg_u32 s14, 0
	s_wait_dscnt 0x0
	flat_store_b64 v[6:7], v[9:10]
	v_add_co_u32 v6, vcc_lo, v6, 8
	s_wait_alu 0xfffd
	v_add_co_ci_u32_e64 v7, null, 0, v7, vcc_lo
	s_cbranch_scc1 .LBB158_65
	s_branch .LBB158_2
.LBB158_66:
	s_endpgm
	.section	.rodata,"a",@progbits
	.p2align	6, 0x0
	.amdhsa_kernel _ZL38rocblas_trsm_small_left_device_sharedBILi24ELi24ELb0E19rocblas_complex_numIfES1_PKPKS1_PKPS1_Ev13rocblas_fill_18rocblas_operation_17rocblas_diagonal_iiT3_T4_lilT5_lili
		.amdhsa_group_segment_fixed_size 9216
		.amdhsa_private_segment_fixed_size 208
		.amdhsa_kernarg_size 360
		.amdhsa_user_sgpr_count 2
		.amdhsa_user_sgpr_dispatch_ptr 0
		.amdhsa_user_sgpr_queue_ptr 0
		.amdhsa_user_sgpr_kernarg_segment_ptr 1
		.amdhsa_user_sgpr_dispatch_id 0
		.amdhsa_user_sgpr_private_segment_size 0
		.amdhsa_wavefront_size32 1
		.amdhsa_uses_dynamic_stack 0
		.amdhsa_enable_private_segment 1
		.amdhsa_system_sgpr_workgroup_id_x 1
		.amdhsa_system_sgpr_workgroup_id_y 0
		.amdhsa_system_sgpr_workgroup_id_z 1
		.amdhsa_system_sgpr_workgroup_info 0
		.amdhsa_system_vgpr_workitem_id 0
		.amdhsa_next_free_vgpr 241
		.amdhsa_next_free_sgpr 43
		.amdhsa_reserve_vcc 1
		.amdhsa_float_round_mode_32 0
		.amdhsa_float_round_mode_16_64 0
		.amdhsa_float_denorm_mode_32 3
		.amdhsa_float_denorm_mode_16_64 3
		.amdhsa_fp16_overflow 0
		.amdhsa_workgroup_processor_mode 1
		.amdhsa_memory_ordered 1
		.amdhsa_forward_progress 1
		.amdhsa_inst_pref_size 25
		.amdhsa_round_robin_scheduling 0
		.amdhsa_exception_fp_ieee_invalid_op 0
		.amdhsa_exception_fp_denorm_src 0
		.amdhsa_exception_fp_ieee_div_zero 0
		.amdhsa_exception_fp_ieee_overflow 0
		.amdhsa_exception_fp_ieee_underflow 0
		.amdhsa_exception_fp_ieee_inexact 0
		.amdhsa_exception_int_div_zero 0
	.end_amdhsa_kernel
	.section	.text._ZL38rocblas_trsm_small_left_device_sharedBILi24ELi24ELb0E19rocblas_complex_numIfES1_PKPKS1_PKPS1_Ev13rocblas_fill_18rocblas_operation_17rocblas_diagonal_iiT3_T4_lilT5_lili,"axG",@progbits,_ZL38rocblas_trsm_small_left_device_sharedBILi24ELi24ELb0E19rocblas_complex_numIfES1_PKPKS1_PKPS1_Ev13rocblas_fill_18rocblas_operation_17rocblas_diagonal_iiT3_T4_lilT5_lili,comdat
.Lfunc_end158:
	.size	_ZL38rocblas_trsm_small_left_device_sharedBILi24ELi24ELb0E19rocblas_complex_numIfES1_PKPKS1_PKPS1_Ev13rocblas_fill_18rocblas_operation_17rocblas_diagonal_iiT3_T4_lilT5_lili, .Lfunc_end158-_ZL38rocblas_trsm_small_left_device_sharedBILi24ELi24ELb0E19rocblas_complex_numIfES1_PKPKS1_PKPS1_Ev13rocblas_fill_18rocblas_operation_17rocblas_diagonal_iiT3_T4_lilT5_lili
                                        ; -- End function
	.set _ZL38rocblas_trsm_small_left_device_sharedBILi24ELi24ELb0E19rocblas_complex_numIfES1_PKPKS1_PKPS1_Ev13rocblas_fill_18rocblas_operation_17rocblas_diagonal_iiT3_T4_lilT5_lili.num_vgpr, 22
	.set _ZL38rocblas_trsm_small_left_device_sharedBILi24ELi24ELb0E19rocblas_complex_numIfES1_PKPKS1_PKPS1_Ev13rocblas_fill_18rocblas_operation_17rocblas_diagonal_iiT3_T4_lilT5_lili.num_agpr, 0
	.set _ZL38rocblas_trsm_small_left_device_sharedBILi24ELi24ELb0E19rocblas_complex_numIfES1_PKPKS1_PKPS1_Ev13rocblas_fill_18rocblas_operation_17rocblas_diagonal_iiT3_T4_lilT5_lili.numbered_sgpr, 43
	.set _ZL38rocblas_trsm_small_left_device_sharedBILi24ELi24ELb0E19rocblas_complex_numIfES1_PKPKS1_PKPS1_Ev13rocblas_fill_18rocblas_operation_17rocblas_diagonal_iiT3_T4_lilT5_lili.num_named_barrier, 0
	.set _ZL38rocblas_trsm_small_left_device_sharedBILi24ELi24ELb0E19rocblas_complex_numIfES1_PKPKS1_PKPS1_Ev13rocblas_fill_18rocblas_operation_17rocblas_diagonal_iiT3_T4_lilT5_lili.private_seg_size, 208
	.set _ZL38rocblas_trsm_small_left_device_sharedBILi24ELi24ELb0E19rocblas_complex_numIfES1_PKPKS1_PKPS1_Ev13rocblas_fill_18rocblas_operation_17rocblas_diagonal_iiT3_T4_lilT5_lili.uses_vcc, 1
	.set _ZL38rocblas_trsm_small_left_device_sharedBILi24ELi24ELb0E19rocblas_complex_numIfES1_PKPKS1_PKPS1_Ev13rocblas_fill_18rocblas_operation_17rocblas_diagonal_iiT3_T4_lilT5_lili.uses_flat_scratch, 0
	.set _ZL38rocblas_trsm_small_left_device_sharedBILi24ELi24ELb0E19rocblas_complex_numIfES1_PKPKS1_PKPS1_Ev13rocblas_fill_18rocblas_operation_17rocblas_diagonal_iiT3_T4_lilT5_lili.has_dyn_sized_stack, 0
	.set _ZL38rocblas_trsm_small_left_device_sharedBILi24ELi24ELb0E19rocblas_complex_numIfES1_PKPKS1_PKPS1_Ev13rocblas_fill_18rocblas_operation_17rocblas_diagonal_iiT3_T4_lilT5_lili.has_recursion, 0
	.set _ZL38rocblas_trsm_small_left_device_sharedBILi24ELi24ELb0E19rocblas_complex_numIfES1_PKPKS1_PKPS1_Ev13rocblas_fill_18rocblas_operation_17rocblas_diagonal_iiT3_T4_lilT5_lili.has_indirect_call, 0
	.section	.AMDGPU.csdata,"",@progbits
; Kernel info:
; codeLenInByte = 3100
; TotalNumSgprs: 45
; NumVgprs: 22
; ScratchSize: 208
; MemoryBound: 0
; FloatMode: 240
; IeeeMode: 1
; LDSByteSize: 9216 bytes/workgroup (compile time only)
; SGPRBlocks: 0
; VGPRBlocks: 30
; NumSGPRsForWavesPerEU: 45
; NumVGPRsForWavesPerEU: 241
; Occupancy: 4
; WaveLimiterHint : 0
; COMPUTE_PGM_RSRC2:SCRATCH_EN: 1
; COMPUTE_PGM_RSRC2:USER_SGPR: 2
; COMPUTE_PGM_RSRC2:TRAP_HANDLER: 0
; COMPUTE_PGM_RSRC2:TGID_X_EN: 1
; COMPUTE_PGM_RSRC2:TGID_Y_EN: 0
; COMPUTE_PGM_RSRC2:TGID_Z_EN: 1
; COMPUTE_PGM_RSRC2:TIDIG_COMP_CNT: 0
	.section	.text._ZL30rocblas_trsm_small_left_deviceILi24ELi24ELb0E19rocblas_complex_numIfES1_PKPKS1_PKPS1_Ev13rocblas_fill_18rocblas_operation_17rocblas_diagonal_iiT3_T4_lilT5_lili,"axG",@progbits,_ZL30rocblas_trsm_small_left_deviceILi24ELi24ELb0E19rocblas_complex_numIfES1_PKPKS1_PKPS1_Ev13rocblas_fill_18rocblas_operation_17rocblas_diagonal_iiT3_T4_lilT5_lili,comdat
	.globl	_ZL30rocblas_trsm_small_left_deviceILi24ELi24ELb0E19rocblas_complex_numIfES1_PKPKS1_PKPS1_Ev13rocblas_fill_18rocblas_operation_17rocblas_diagonal_iiT3_T4_lilT5_lili ; -- Begin function _ZL30rocblas_trsm_small_left_deviceILi24ELi24ELb0E19rocblas_complex_numIfES1_PKPKS1_PKPS1_Ev13rocblas_fill_18rocblas_operation_17rocblas_diagonal_iiT3_T4_lilT5_lili
	.p2align	8
	.type	_ZL30rocblas_trsm_small_left_deviceILi24ELi24ELb0E19rocblas_complex_numIfES1_PKPKS1_PKPS1_Ev13rocblas_fill_18rocblas_operation_17rocblas_diagonal_iiT3_T4_lilT5_lili,@function
_ZL30rocblas_trsm_small_left_deviceILi24ELi24ELb0E19rocblas_complex_numIfES1_PKPKS1_PKPS1_Ev13rocblas_fill_18rocblas_operation_17rocblas_diagonal_iiT3_T4_lilT5_lili: ; @_ZL30rocblas_trsm_small_left_deviceILi24ELi24ELb0E19rocblas_complex_numIfES1_PKPKS1_PKPS1_Ev13rocblas_fill_18rocblas_operation_17rocblas_diagonal_iiT3_T4_lilT5_lili
; %bb.0:
	s_load_b32 s26, s[0:1], 0x60
	s_lshr_b32 s2, ttmp7, 16
	s_wait_kmcnt 0x0
	s_cmp_ge_u32 s2, s26
	s_cbranch_scc1 .LBB159_63
; %bb.1:
	s_clause 0x6
	s_load_b32 s18, s[0:1], 0x30
	s_load_b128 s[12:15], s[0:1], 0x4
	s_load_b32 s3, s[0:1], 0x50
	s_load_b32 s20, s[0:1], 0x68
	s_load_b128 s[4:7], s[0:1], 0x20
	s_load_b128 s[8:11], s[0:1], 0x40
	s_load_b64 s[16:17], s[0:1], 0x14
	v_mad_co_u64_u32 v[2:3], null, ttmp9, 24, v[0:1]
	s_mul_i32 s0, ttmp9, 0xffffffe8
	v_dual_mov_b32 v1, 0 :: v_dual_lshlrev_b32 v10, 3, v0
	v_mul_u32_u24_e32 v4, 0xc0, v0
	s_mov_b32 s35, 0
                                        ; implicit-def: $sgpr36
                                        ; implicit-def: $sgpr37
	s_delay_alu instid0(VALU_DEP_1)
	v_add_nc_u32_e32 v15, v10, v4
	s_wait_kmcnt 0x0
	s_ashr_i32 s19, s18, 31
	s_cmp_lg_u32 s12, 0x71
	v_mad_co_i64_i32 v[2:3], null, s3, v2, 0
	s_cselect_b32 s27, -1, 0
	s_min_i32 s28, s14, 24
	s_add_co_i32 s20, s20, -1
	s_wait_alu 0xfffe
	s_add_co_i32 s1, s15, s0
	s_add_co_i32 s29, s28, -1
	s_cmp_ge_u32 ttmp9, s20
	v_lshlrev_b64_e32 v[2:3], 3, v[2:3]
	s_wait_alu 0xfffe
	s_cselect_b32 s1, s1, 24
	s_cmp_lg_u32 s13, 0x84
	v_cmp_gt_i32_e64 s0, s28, v0
	s_cselect_b32 s30, -1, 0
	s_cmp_lg_u32 s12, 0x6f
	s_wait_alu 0xfffe
	v_cmp_gt_i32_e64 s1, s1, v0
	s_cselect_b32 s31, -1, 0
	s_lshl_b64 s[6:7], s[6:7], 3
	s_mul_i32 s34, s28, 0xc0
	v_add_co_u32 v0, s3, s6, v10
	s_wait_alu 0xf1ff
	v_add_co_ci_u32_e64 v11, null, s7, 0, s3
	s_lshl_b64 s[6:7], s[10:11], 3
	v_or_b32_e32 v12, 4, v0
	s_wait_alu 0xfffe
	v_add_co_u32 v5, vcc_lo, v2, s6
	s_delay_alu instid0(VALU_DEP_1) | instskip(SKIP_1) | instid1(VALU_DEP_3)
	v_add_co_ci_u32_e64 v13, null, s7, v3, vcc_lo
	v_mov_b32_e32 v0, 1.0
	v_or_b32_e32 v14, 4, v5
	s_or_b32 s33, 0, 4
	s_lshl_b64 s[10:11], s[18:19], 3
	s_addk_co_i32 s34, 0xff40
	s_mov_b32 s13, 0
	s_branch .LBB159_4
.LBB159_2:                              ;   in Loop: Header=BB159_4 Depth=1
	s_add_co_i32 s2, s2, 0x10000
	s_wait_alu 0xfffe
	s_cmp_ge_u32 s2, s26
	s_cselect_b32 s12, -1, 0
	s_and_not1_b32 s37, s37, exec_lo
	s_or_not1_b32 s12, s12, exec_lo
.LBB159_3:                              ;   in Loop: Header=BB159_4 Depth=1
	s_wait_alu 0xfffe
	s_or_b32 exec_lo, exec_lo, s3
	s_delay_alu instid0(SALU_CYCLE_1)
	s_and_b32 s3, exec_lo, s12
	s_wait_alu 0xfffe
	s_or_b32 s35, s3, s35
	s_and_not1_b32 s3, s36, exec_lo
	s_and_b32 s12, s37, exec_lo
	s_wait_alu 0xfffe
	s_or_b32 s36, s3, s12
	s_and_not1_b32 exec_lo, exec_lo, s35
	s_cbranch_execz .LBB159_62
.LBB159_4:                              ; =>This Loop Header: Depth=1
                                        ;     Child Loop BB159_7 Depth 2
                                        ;     Child Loop BB159_23 Depth 2
                                        ;       Child Loop BB159_26 Depth 3
                                        ;         Child Loop BB159_27 Depth 4
                                        ;         Child Loop BB159_30 Depth 4
                                        ;           Child Loop BB159_31 Depth 5
                                        ;         Child Loop BB159_35 Depth 4
                                        ;           Child Loop BB159_37 Depth 5
                                        ;     Child Loop BB159_45 Depth 2
                                        ;       Child Loop BB159_48 Depth 3
                                        ;         Child Loop BB159_49 Depth 4
                                        ;         Child Loop BB159_51 Depth 4
                                        ;           Child Loop BB159_52 Depth 5
                                        ;         Child Loop BB159_56 Depth 4
                                        ;           Child Loop BB159_58 Depth 5
	s_mov_b32 s3, s13
	s_wait_alu 0xfffe
	s_lshl_b64 s[14:15], s[2:3], 3
	s_delay_alu instid0(SALU_CYCLE_1)
	s_add_nc_u64 s[18:19], s[8:9], s[14:15]
	global_load_b64 v[4:5], v1, s[18:19]
	s_and_saveexec_b32 s3, s0
	s_cbranch_execz .LBB159_19
; %bb.5:                                ;   in Loop: Header=BB159_4 Depth=1
	s_add_nc_u64 s[14:15], s[4:5], s[14:15]
	v_mov_b32_e32 v16, v10
	global_load_b64 v[6:7], v1, s[14:15]
	s_mov_b32 s12, s28
	s_wait_loadcnt 0x0
	v_add_co_u32 v6, vcc_lo, v6, v12
	s_wait_alu 0xfffd
	v_add_co_ci_u32_e64 v7, null, v7, v11, vcc_lo
	s_branch .LBB159_7
.LBB159_6:                              ;   in Loop: Header=BB159_7 Depth=2
	flat_load_b32 v8, v[6:7] offset:-4
	v_add_co_u32 v6, vcc_lo, v6, s10
	s_wait_alu 0xfffd
	v_add_co_ci_u32_e64 v7, null, s11, v7, vcc_lo
	s_add_co_i32 s12, s12, -1
	s_delay_alu instid0(SALU_CYCLE_1)
	s_cmp_eq_u32 s12, 0
	s_wait_loadcnt_dscnt 0x0
	ds_store_b64 v16, v[8:9]
	v_add_nc_u32_e32 v16, 0xc0, v16
	s_cbranch_scc1 .LBB159_11
.LBB159_7:                              ;   Parent Loop BB159_4 Depth=1
                                        ; =>  This Inner Loop Header: Depth=2
	s_and_b32 vcc_lo, exec_lo, s27
	s_mov_b32 s14, -1
                                        ; implicit-def: $vgpr9
	s_wait_alu 0xfffe
	s_cbranch_vccz .LBB159_9
; %bb.8:                                ;   in Loop: Header=BB159_7 Depth=2
	flat_load_b32 v9, v[6:7]
	s_mov_b32 s14, 0
.LBB159_9:                              ;   in Loop: Header=BB159_7 Depth=2
	s_delay_alu instid0(SALU_CYCLE_1)
	s_and_not1_b32 vcc_lo, exec_lo, s14
	s_wait_alu 0xfffe
	s_cbranch_vccnz .LBB159_6
; %bb.10:                               ;   in Loop: Header=BB159_7 Depth=2
	flat_load_b32 v8, v[6:7]
	s_wait_loadcnt_dscnt 0x0
	v_xor_b32_e32 v9, 0x80000000, v8
	s_branch .LBB159_6
.LBB159_11:                             ;   in Loop: Header=BB159_4 Depth=1
	s_and_b32 vcc_lo, exec_lo, s30
	s_mov_b32 s12, -1
	s_wait_alu 0xfffe
	s_cbranch_vccz .LBB159_17
; %bb.12:                               ;   in Loop: Header=BB159_4 Depth=1
	ds_load_b64 v[6:7], v15
                                        ; implicit-def: $vgpr8
	s_wait_dscnt 0x0
	v_cmp_ngt_f32_e64 s12, |v6|, |v7|
	s_and_saveexec_b32 s14, s12
	s_delay_alu instid0(SALU_CYCLE_1)
	s_xor_b32 s12, exec_lo, s14
	s_cbranch_execz .LBB159_14
; %bb.13:                               ;   in Loop: Header=BB159_4 Depth=1
	v_div_scale_f32 v8, null, v7, v7, v6
	v_div_scale_f32 v17, vcc_lo, v6, v7, v6
	s_delay_alu instid0(VALU_DEP_2) | instskip(NEXT) | instid1(TRANS32_DEP_1)
	v_rcp_f32_e32 v9, v8
	v_fma_f32 v16, -v8, v9, 1.0
	s_delay_alu instid0(VALU_DEP_1) | instskip(NEXT) | instid1(VALU_DEP_1)
	v_fmac_f32_e32 v9, v16, v9
	v_mul_f32_e32 v16, v17, v9
	s_delay_alu instid0(VALU_DEP_1) | instskip(NEXT) | instid1(VALU_DEP_1)
	v_fma_f32 v18, -v8, v16, v17
	v_fmac_f32_e32 v16, v18, v9
	s_delay_alu instid0(VALU_DEP_1) | instskip(SKIP_1) | instid1(VALU_DEP_1)
	v_fma_f32 v8, -v8, v16, v17
	s_wait_alu 0xfffd
	v_div_fmas_f32 v8, v8, v9, v16
	s_delay_alu instid0(VALU_DEP_1) | instskip(NEXT) | instid1(VALU_DEP_1)
	v_div_fixup_f32 v8, v8, v7, v6
	v_fmac_f32_e32 v7, v6, v8
	s_delay_alu instid0(VALU_DEP_1) | instskip(SKIP_1) | instid1(VALU_DEP_2)
	v_div_scale_f32 v6, null, v7, v7, 1.0
	v_div_scale_f32 v17, vcc_lo, 1.0, v7, 1.0
	v_rcp_f32_e32 v9, v6
	s_delay_alu instid0(TRANS32_DEP_1) | instskip(NEXT) | instid1(VALU_DEP_1)
	v_fma_f32 v16, -v6, v9, 1.0
	v_fmac_f32_e32 v9, v16, v9
	s_delay_alu instid0(VALU_DEP_1) | instskip(NEXT) | instid1(VALU_DEP_1)
	v_mul_f32_e32 v16, v17, v9
	v_fma_f32 v18, -v6, v16, v17
	s_delay_alu instid0(VALU_DEP_1) | instskip(NEXT) | instid1(VALU_DEP_1)
	v_fmac_f32_e32 v16, v18, v9
	v_fma_f32 v6, -v6, v16, v17
	s_wait_alu 0xfffd
	s_delay_alu instid0(VALU_DEP_1) | instskip(SKIP_1) | instid1(VALU_DEP_2)
	v_div_fmas_f32 v6, v6, v9, v16
	v_add_f32_e32 v9, 0, v8
	v_div_fixup_f32 v6, v6, v7, 1.0
	v_fma_f32 v7, v8, 0, -1.0
	s_delay_alu instid0(VALU_DEP_2) | instskip(NEXT) | instid1(VALU_DEP_2)
	v_mul_f32_e32 v8, v9, v6
	v_mul_f32_e32 v9, v7, v6
                                        ; implicit-def: $vgpr6_vgpr7
.LBB159_14:                             ;   in Loop: Header=BB159_4 Depth=1
	s_and_not1_saveexec_b32 s12, s12
	s_cbranch_execz .LBB159_16
; %bb.15:                               ;   in Loop: Header=BB159_4 Depth=1
	v_div_scale_f32 v8, null, v6, v6, v7
	v_div_scale_f32 v17, vcc_lo, v7, v6, v7
	s_delay_alu instid0(VALU_DEP_2) | instskip(NEXT) | instid1(TRANS32_DEP_1)
	v_rcp_f32_e32 v9, v8
	v_fma_f32 v16, -v8, v9, 1.0
	s_delay_alu instid0(VALU_DEP_1) | instskip(NEXT) | instid1(VALU_DEP_1)
	v_fmac_f32_e32 v9, v16, v9
	v_mul_f32_e32 v16, v17, v9
	s_delay_alu instid0(VALU_DEP_1) | instskip(NEXT) | instid1(VALU_DEP_1)
	v_fma_f32 v18, -v8, v16, v17
	v_fmac_f32_e32 v16, v18, v9
	s_delay_alu instid0(VALU_DEP_1) | instskip(SKIP_1) | instid1(VALU_DEP_1)
	v_fma_f32 v8, -v8, v16, v17
	s_wait_alu 0xfffd
	v_div_fmas_f32 v8, v8, v9, v16
	s_delay_alu instid0(VALU_DEP_1) | instskip(NEXT) | instid1(VALU_DEP_1)
	v_div_fixup_f32 v9, v8, v6, v7
	v_fmac_f32_e32 v6, v7, v9
	s_delay_alu instid0(VALU_DEP_1) | instskip(SKIP_1) | instid1(VALU_DEP_2)
	v_div_scale_f32 v7, null, v6, v6, 1.0
	v_div_scale_f32 v17, vcc_lo, 1.0, v6, 1.0
	v_rcp_f32_e32 v8, v7
	s_delay_alu instid0(TRANS32_DEP_1) | instskip(NEXT) | instid1(VALU_DEP_1)
	v_fma_f32 v16, -v7, v8, 1.0
	v_fmac_f32_e32 v8, v16, v8
	s_delay_alu instid0(VALU_DEP_1) | instskip(NEXT) | instid1(VALU_DEP_1)
	v_mul_f32_e32 v16, v17, v8
	v_fma_f32 v18, -v7, v16, v17
	s_delay_alu instid0(VALU_DEP_1) | instskip(NEXT) | instid1(VALU_DEP_1)
	v_fmac_f32_e32 v16, v18, v8
	v_fma_f32 v7, -v7, v16, v17
	s_wait_alu 0xfffd
	s_delay_alu instid0(VALU_DEP_1) | instskip(SKIP_1) | instid1(VALU_DEP_2)
	v_div_fmas_f32 v7, v7, v8, v16
	v_fma_f32 v8, v9, 0, 1.0
	v_div_fixup_f32 v6, v7, v6, 1.0
	s_delay_alu instid0(VALU_DEP_1)
	v_mul_f32_e32 v8, v8, v6
	v_mul_f32_e64 v9, -v9, v6
.LBB159_16:                             ;   in Loop: Header=BB159_4 Depth=1
	s_or_b32 exec_lo, exec_lo, s12
	s_mov_b32 s12, 0
	ds_store_b64 v15, v[8:9]
.LBB159_17:                             ;   in Loop: Header=BB159_4 Depth=1
	s_and_b32 vcc_lo, exec_lo, s12
	s_wait_alu 0xfffe
	s_cbranch_vccz .LBB159_19
; %bb.18:                               ;   in Loop: Header=BB159_4 Depth=1
	ds_store_b64 v15, v[0:1]
.LBB159_19:                             ;   in Loop: Header=BB159_4 Depth=1
	s_wait_alu 0xfffe
	s_or_b32 exec_lo, exec_lo, s3
	s_mov_b32 s12, -1
	s_or_b32 s37, s37, exec_lo
	; wave barrier
	s_wait_loadcnt_dscnt 0x0
	global_inv scope:SCOPE_SE
	s_and_saveexec_b32 s3, s1
	s_cbranch_execz .LBB159_3
; %bb.20:                               ;   in Loop: Header=BB159_4 Depth=1
	v_add_co_u32 v6, vcc_lo, v4, s6
	s_wait_alu 0xfffd
	v_add_co_ci_u32_e64 v7, null, s7, v5, vcc_lo
	s_delay_alu instid0(VALU_DEP_2) | instskip(SKIP_1) | instid1(VALU_DEP_2)
	v_add_co_u32 v16, vcc_lo, v6, v2
	s_wait_alu 0xfffd
	v_add_co_ci_u32_e64 v17, null, v7, v3, vcc_lo
	s_and_not1_b32 vcc_lo, exec_lo, s31
	s_wait_alu 0xfffe
	s_cbranch_vccnz .LBB159_42
; %bb.21:                               ;   in Loop: Header=BB159_4 Depth=1
	v_add_co_u32 v18, vcc_lo, v4, v14
	s_wait_alu 0xfffd
	v_add_co_ci_u32_e64 v19, null, v5, v13, vcc_lo
	s_mov_b32 s18, 0
	s_mov_b32 s14, 0
	s_branch .LBB159_23
.LBB159_22:                             ;   in Loop: Header=BB159_23 Depth=2
	s_cmp_lt_i32 s14, s28
	s_cselect_b32 s12, -1, 0
	s_add_co_i32 s15, s18, 1
	s_cmp_lt_u32 s18, 2
	s_cselect_b32 s18, -1, 0
	s_wait_alu 0xfffe
	s_and_b32 s12, s12, s18
	s_mov_b32 s18, s15
	s_and_b32 vcc_lo, exec_lo, s12
	s_wait_alu 0xfffe
	s_cbranch_vccz .LBB159_41
.LBB159_23:                             ;   Parent Loop BB159_4 Depth=1
                                        ; =>  This Loop Header: Depth=2
                                        ;       Child Loop BB159_26 Depth 3
                                        ;         Child Loop BB159_27 Depth 4
                                        ;         Child Loop BB159_30 Depth 4
                                        ;           Child Loop BB159_31 Depth 5
                                        ;         Child Loop BB159_35 Depth 4
                                        ;           Child Loop BB159_37 Depth 5
	s_mov_b32 s19, s13
	s_getpc_b64 s[20:21]
	s_wait_alu 0xfffe
	s_sext_i32_i16 s21, s21
	s_add_co_u32 s20, s20, __const._ZL30rocblas_trsm_small_left_deviceILi24ELi24ELb0E19rocblas_complex_numIfES1_PKPKS1_PKPS1_Ev13rocblas_fill_18rocblas_operation_17rocblas_diagonal_iiT3_T4_lilT5_lili.step_sizes@rel32@lo+12
	s_wait_alu 0xfffe
	s_add_co_ci_u32 s21, s21, __const._ZL30rocblas_trsm_small_left_deviceILi24ELi24ELb0E19rocblas_complex_numIfES1_PKPKS1_PKPS1_Ev13rocblas_fill_18rocblas_operation_17rocblas_diagonal_iiT3_T4_lilT5_lili.step_sizes@rel32@hi+24
	s_lshl_b64 s[22:23], s[18:19], 2
	s_wait_alu 0xfffe
	s_add_nc_u64 s[20:21], s[20:21], s[22:23]
	s_load_b32 s20, s[20:21], 0x0
	s_wait_kmcnt 0x0
	s_add_co_i32 s19, s20, -1
	s_wait_alu 0xfffe
	s_add_co_i32 s12, s19, s14
	s_delay_alu instid0(SALU_CYCLE_1)
	s_cmp_ge_i32 s12, s28
	s_cbranch_scc1 .LBB159_22
; %bb.24:                               ;   in Loop: Header=BB159_23 Depth=2
	s_ashr_i32 s15, s14, 31
	s_ashr_i32 s21, s20, 31
	s_lshl_b64 s[22:23], s[14:15], 3
	s_max_i32 s38, s20, 1
	s_wait_alu 0xfffe
	v_add_co_u32 v6, vcc_lo, v18, s22
	s_wait_alu 0xfffd
	v_add_co_ci_u32_e64 v7, null, s23, v19, vcc_lo
	s_lshl_b64 s[22:23], s[20:21], 3
	s_mul_i32 s15, s14, 0xc0
	s_mul_i32 s21, s20, 0xc0
	;; [unrolled: 1-line block ×4, first 2 shown]
	s_branch .LBB159_26
.LBB159_25:                             ;   in Loop: Header=BB159_26 Depth=3
	v_add_co_u32 v6, vcc_lo, v6, s22
	s_add_co_i32 s14, s14, s20
	s_wait_alu 0xfffd
	v_add_co_ci_u32_e64 v7, null, s23, v7, vcc_lo
	s_add_co_i32 s12, s19, s14
	s_add_co_i32 s15, s15, s21
	s_add_co_i32 s39, s39, s40
	s_cmp_ge_i32 s12, s28
	s_cbranch_scc1 .LBB159_22
.LBB159_26:                             ;   Parent Loop BB159_4 Depth=1
                                        ;     Parent Loop BB159_23 Depth=2
                                        ; =>    This Loop Header: Depth=3
                                        ;         Child Loop BB159_27 Depth 4
                                        ;         Child Loop BB159_30 Depth 4
                                        ;           Child Loop BB159_31 Depth 5
                                        ;         Child Loop BB159_35 Depth 4
                                        ;           Child Loop BB159_37 Depth 5
	v_dual_mov_b32 v9, v7 :: v_dual_mov_b32 v8, v6
	s_mov_b32 s12, 4
	s_mov_b32 s24, s38
.LBB159_27:                             ;   Parent Loop BB159_4 Depth=1
                                        ;     Parent Loop BB159_23 Depth=2
                                        ;       Parent Loop BB159_26 Depth=3
                                        ; =>      This Inner Loop Header: Depth=4
	flat_load_b64 v[20:21], v[8:9] offset:-4
	v_add_co_u32 v8, vcc_lo, v8, 8
	s_wait_alu 0xfffd
	v_add_co_ci_u32_e64 v9, null, 0, v9, vcc_lo
	s_wait_alu 0xfffe
	s_add_co_i32 s24, s24, -1
	s_mov_b32 s25, s12
	s_add_co_i32 s12, s12, 8
	s_wait_alu 0xfffe
	s_cmp_eq_u32 s24, 0
	s_wait_loadcnt_dscnt 0x0
	v_mul_f32_e32 v22, s16, v21
	s_delay_alu instid0(VALU_DEP_1) | instskip(NEXT) | instid1(VALU_DEP_1)
	v_dual_mul_f32 v23, s17, v21 :: v_dual_fmac_f32 v22, s17, v20
	v_fma_f32 v21, v20, s16, -v23
	scratch_store_b64 off, v[21:22], s25 offset:-4
	s_cbranch_scc0 .LBB159_27
; %bb.28:                               ;   in Loop: Header=BB159_26 Depth=3
	s_cmp_lt_i32 s14, 1
	s_cbranch_scc1 .LBB159_33
; %bb.29:                               ;   in Loop: Header=BB159_26 Depth=3
	s_mov_b32 s12, 0
	s_mov_b32 s24, s15
.LBB159_30:                             ;   Parent Loop BB159_4 Depth=1
                                        ;     Parent Loop BB159_23 Depth=2
                                        ;       Parent Loop BB159_26 Depth=3
                                        ; =>      This Loop Header: Depth=4
                                        ;           Child Loop BB159_31 Depth 5
	s_lshl_b64 s[42:43], s[12:13], 3
	s_mov_b32 s25, s33
	s_wait_alu 0xfffe
	v_add_co_u32 v8, vcc_lo, v16, s42
	s_wait_alu 0xfffd
	v_add_co_ci_u32_e64 v9, null, s43, v17, vcc_lo
	s_mov_b32 s41, s24
	s_mov_b32 s42, s38
	flat_load_b64 v[8:9], v[8:9]
.LBB159_31:                             ;   Parent Loop BB159_4 Depth=1
                                        ;     Parent Loop BB159_23 Depth=2
                                        ;       Parent Loop BB159_26 Depth=3
                                        ;         Parent Loop BB159_30 Depth=4
                                        ; =>        This Inner Loop Header: Depth=5
	scratch_load_b64 v[20:21], off, s25 offset:-4
	s_wait_alu 0xfffe
	v_mov_b32_e32 v22, s41
	s_add_co_i32 s42, s42, -1
	s_addk_co_i32 s41, 0xc0
	ds_load_b64 v[22:23], v22
	s_wait_loadcnt_dscnt 0x100
	v_mul_f32_e32 v24, v23, v9
	v_mul_f32_e32 v23, v23, v8
	s_delay_alu instid0(VALU_DEP_1) | instskip(SKIP_1) | instid1(VALU_DEP_1)
	v_fmac_f32_e32 v23, v22, v9
	s_wait_loadcnt 0x0
	v_sub_f32_e32 v21, v21, v23
	v_fma_f32 v24, v22, v8, -v24
	s_delay_alu instid0(VALU_DEP_1)
	v_sub_f32_e32 v20, v20, v24
	scratch_store_b64 off, v[20:21], s25 offset:-4
	s_add_co_i32 s25, s25, 8
	s_wait_alu 0xfffe
	s_cmp_eq_u32 s42, 0
	s_cbranch_scc0 .LBB159_31
; %bb.32:                               ;   in Loop: Header=BB159_30 Depth=4
	s_add_co_i32 s12, s12, 1
	s_add_co_i32 s24, s24, 8
	s_cmp_eq_u32 s12, s14
	s_cbranch_scc0 .LBB159_30
.LBB159_33:                             ;   in Loop: Header=BB159_26 Depth=3
	s_mov_b32 s12, 0
	s_mov_b32 s41, s39
	s_branch .LBB159_35
.LBB159_34:                             ;   in Loop: Header=BB159_35 Depth=4
	s_wait_alu 0xfffe
	s_mul_i32 s25, s24, 0xc8
	s_lshl_b32 s42, s12, 3
	s_wait_alu 0xfffe
	v_mov_b32_e32 v20, s25
	s_ashr_i32 s25, s24, 31
	s_add_co_i32 s12, s12, 1
	s_wait_alu 0xfffe
	s_lshl_b64 s[24:25], s[24:25], 3
	s_addk_co_i32 s41, 0xc0
	ds_load_b64 v[20:21], v20
	s_cmp_eq_u32 s12, s38
	s_wait_loadcnt_dscnt 0x0
	v_mul_f32_e32 v22, v21, v9
	v_mul_f32_e32 v23, v20, v9
	s_delay_alu instid0(VALU_DEP_2) | instskip(NEXT) | instid1(VALU_DEP_2)
	v_fma_f32 v22, v20, v8, -v22
	v_fmac_f32_e32 v23, v21, v8
	s_wait_alu 0xfffe
	v_add_co_u32 v8, vcc_lo, v16, s24
	s_wait_alu 0xfffd
	v_add_co_ci_u32_e64 v9, null, s25, v17, vcc_lo
	scratch_store_b64 off, v[22:23], s42
	flat_store_b64 v[8:9], v[22:23]
	s_cbranch_scc1 .LBB159_25
.LBB159_35:                             ;   Parent Loop BB159_4 Depth=1
                                        ;     Parent Loop BB159_23 Depth=2
                                        ;       Parent Loop BB159_26 Depth=3
                                        ; =>      This Loop Header: Depth=4
                                        ;           Child Loop BB159_37 Depth 5
	s_cmp_lg_u32 s12, 0
	s_cbranch_scc0 .LBB159_39
; %bb.36:                               ;   in Loop: Header=BB159_35 Depth=4
	s_lshl_b32 s25, s12, 3
	s_add_co_i32 s24, s12, s14
	scratch_load_b64 v[8:9], off, s25
	s_mov_b32 s42, 0
	s_wait_alu 0xfffe
	s_mov_b32 s43, s41
	s_mov_b32 s44, s12
.LBB159_37:                             ;   Parent Loop BB159_4 Depth=1
                                        ;     Parent Loop BB159_23 Depth=2
                                        ;       Parent Loop BB159_26 Depth=3
                                        ;         Parent Loop BB159_35 Depth=4
                                        ; =>        This Inner Loop Header: Depth=5
	scratch_load_b64 v[20:21], off, s42
	s_wait_alu 0xfffe
	v_mov_b32_e32 v22, s43
	s_add_co_i32 s44, s44, -1
	s_add_co_i32 s42, s42, 8
	s_add_co_i32 s43, s43, 8
	s_cmp_eq_u32 s44, 0
	ds_load_b64 v[22:23], v22
	s_wait_loadcnt_dscnt 0x0
	v_mul_f32_e32 v24, v23, v21
	v_mul_f32_e32 v21, v22, v21
	s_delay_alu instid0(VALU_DEP_2) | instskip(NEXT) | instid1(VALU_DEP_1)
	v_fma_f32 v22, v22, v20, -v24
	v_dual_sub_f32 v8, v8, v22 :: v_dual_fmac_f32 v21, v23, v20
	s_delay_alu instid0(VALU_DEP_1)
	v_sub_f32_e32 v9, v9, v21
	scratch_store_b64 off, v[8:9], s25
	s_cbranch_scc0 .LBB159_37
; %bb.38:                               ;   in Loop: Header=BB159_35 Depth=4
	s_branch .LBB159_34
.LBB159_39:                             ;   in Loop: Header=BB159_35 Depth=4
                                        ; implicit-def: $vgpr8
                                        ; implicit-def: $sgpr24
	s_cbranch_execz .LBB159_34
; %bb.40:                               ;   in Loop: Header=BB159_35 Depth=4
	scratch_load_b64 v[8:9], off, off
	s_mov_b32 s24, s14
	s_branch .LBB159_34
.LBB159_41:                             ;   in Loop: Header=BB159_4 Depth=1
	s_mov_b32 s12, 0
.LBB159_42:                             ;   in Loop: Header=BB159_4 Depth=1
	s_delay_alu instid0(SALU_CYCLE_1)
	s_and_b32 vcc_lo, exec_lo, s12
	s_wait_alu 0xfffe
	s_cbranch_vccz .LBB159_2
; %bb.43:                               ;   in Loop: Header=BB159_4 Depth=1
	v_add_co_u32 v6, vcc_lo, v4, v14
	s_wait_alu 0xfffd
	v_add_co_ci_u32_e64 v7, null, v5, v13, vcc_lo
	s_mov_b32 s12, 0
	s_mov_b32 s14, s29
	s_branch .LBB159_45
.LBB159_44:                             ;   in Loop: Header=BB159_45 Depth=2
	s_cmp_gt_i32 s14, -1
	s_cselect_b32 s15, -1, 0
	s_add_co_i32 s18, s12, 1
	s_cmp_lt_u32 s12, 2
	s_cselect_b32 s12, -1, 0
	s_delay_alu instid0(SALU_CYCLE_1) | instskip(NEXT) | instid1(SALU_CYCLE_1)
	s_and_b32 s12, s15, s12
	s_and_not1_b32 vcc_lo, exec_lo, s12
	s_wait_alu 0xfffe
	s_mov_b32 s12, s18
	s_cbranch_vccnz .LBB159_2
.LBB159_45:                             ;   Parent Loop BB159_4 Depth=1
                                        ; =>  This Loop Header: Depth=2
                                        ;       Child Loop BB159_48 Depth 3
                                        ;         Child Loop BB159_49 Depth 4
                                        ;         Child Loop BB159_51 Depth 4
                                        ;           Child Loop BB159_52 Depth 5
                                        ;         Child Loop BB159_56 Depth 4
                                        ;           Child Loop BB159_58 Depth 5
	s_getpc_b64 s[18:19]
	s_wait_alu 0xfffe
	s_sext_i32_i16 s19, s19
	s_add_co_u32 s18, s18, __const._ZL30rocblas_trsm_small_left_deviceILi24ELi24ELb0E19rocblas_complex_numIfES1_PKPKS1_PKPS1_Ev13rocblas_fill_18rocblas_operation_17rocblas_diagonal_iiT3_T4_lilT5_lili.step_sizes@rel32@lo+12
	s_wait_alu 0xfffe
	s_add_co_ci_u32 s19, s19, __const._ZL30rocblas_trsm_small_left_deviceILi24ELi24ELb0E19rocblas_complex_numIfES1_PKPKS1_PKPS1_Ev13rocblas_fill_18rocblas_operation_17rocblas_diagonal_iiT3_T4_lilT5_lili.step_sizes@rel32@hi+24
	s_lshl_b64 s[20:21], s[12:13], 2
	s_wait_alu 0xfffe
	s_add_nc_u64 s[18:19], s[18:19], s[20:21]
	s_load_b32 s22, s[18:19], 0x0
	s_wait_kmcnt 0x0
	s_add_co_i32 s23, s22, -1
	s_wait_alu 0xfffe
	s_cmp_lt_i32 s14, s23
	s_cbranch_scc1 .LBB159_44
; %bb.46:                               ;   in Loop: Header=BB159_45 Depth=2
	s_lshl_b32 s15, s14, 3
	s_lshl_b32 s18, s22, 3
	s_max_i32 s24, s22, 1
	s_add_co_i32 s25, s34, s15
	s_wait_alu 0xfffe
	s_sub_co_i32 s38, 0, s18
	s_mul_i32 s39, s14, 0xc8
	s_mul_i32 s40, s22, 0xffffff38
	s_branch .LBB159_48
.LBB159_47:                             ;   in Loop: Header=BB159_48 Depth=3
	s_sub_co_i32 s14, s14, s22
	s_add_co_i32 s25, s25, s38
	s_add_co_i32 s39, s39, s40
	s_cmp_lt_i32 s14, s23
	s_cbranch_scc1 .LBB159_44
.LBB159_48:                             ;   Parent Loop BB159_4 Depth=1
                                        ;     Parent Loop BB159_45 Depth=2
                                        ; =>    This Loop Header: Depth=3
                                        ;         Child Loop BB159_49 Depth 4
                                        ;         Child Loop BB159_51 Depth 4
                                        ;           Child Loop BB159_52 Depth 5
                                        ;         Child Loop BB159_56 Depth 4
                                        ;           Child Loop BB159_58 Depth 5
	s_ashr_i32 s15, s14, 31
	s_delay_alu instid0(SALU_CYCLE_1)
	s_lshl_b64 s[18:19], s[14:15], 3
	s_wait_alu 0xfffe
	v_add_co_u32 v4, vcc_lo, v6, s18
	s_wait_alu 0xfffd
	v_add_co_ci_u32_e64 v5, null, s19, v7, vcc_lo
	s_mov_b32 s18, 4
	s_mov_b32 s19, s24
.LBB159_49:                             ;   Parent Loop BB159_4 Depth=1
                                        ;     Parent Loop BB159_45 Depth=2
                                        ;       Parent Loop BB159_48 Depth=3
                                        ; =>      This Inner Loop Header: Depth=4
	flat_load_b64 v[8:9], v[4:5] offset:-4
	v_add_co_u32 v4, vcc_lo, v4, -8
	s_wait_alu 0xfffd
	v_add_co_ci_u32_e64 v5, null, -1, v5, vcc_lo
	s_wait_alu 0xfffe
	s_add_co_i32 s19, s19, -1
	s_mov_b32 s20, s18
	s_add_co_i32 s18, s18, 8
	s_wait_alu 0xfffe
	s_cmp_eq_u32 s19, 0
	s_wait_loadcnt_dscnt 0x0
	v_mul_f32_e32 v19, s16, v9
	s_delay_alu instid0(VALU_DEP_1) | instskip(NEXT) | instid1(VALU_DEP_1)
	v_dual_mul_f32 v18, s17, v9 :: v_dual_fmac_f32 v19, s17, v8
	v_fma_f32 v18, v8, s16, -v18
	scratch_store_b64 off, v[18:19], s20 offset:-4
	s_cbranch_scc0 .LBB159_49
; %bb.50:                               ;   in Loop: Header=BB159_48 Depth=3
	s_cmp_le_i32 s29, s14
	s_mov_b32 s20, s25
	s_mov_b32 s18, s29
	s_cbranch_scc1 .LBB159_54
.LBB159_51:                             ;   Parent Loop BB159_4 Depth=1
                                        ;     Parent Loop BB159_45 Depth=2
                                        ;       Parent Loop BB159_48 Depth=3
                                        ; =>      This Loop Header: Depth=4
                                        ;           Child Loop BB159_52 Depth 5
	s_wait_alu 0xfffe
	s_ashr_i32 s19, s18, 31
	s_mov_b32 s21, s20
	s_wait_alu 0xfffe
	s_lshl_b64 s[42:43], s[18:19], 3
	s_mov_b32 s19, s33
	s_wait_alu 0xfffe
	v_add_co_u32 v4, vcc_lo, v16, s42
	s_wait_alu 0xfffd
	v_add_co_ci_u32_e64 v5, null, s43, v17, vcc_lo
	s_mov_b32 s41, s24
	flat_load_b64 v[4:5], v[4:5]
.LBB159_52:                             ;   Parent Loop BB159_4 Depth=1
                                        ;     Parent Loop BB159_45 Depth=2
                                        ;       Parent Loop BB159_48 Depth=3
                                        ;         Parent Loop BB159_51 Depth=4
                                        ; =>        This Inner Loop Header: Depth=5
	scratch_load_b64 v[8:9], off, s19 offset:-4
	v_mov_b32_e32 v18, s21
	s_wait_alu 0xfffe
	s_add_co_i32 s41, s41, -1
	s_add_co_i32 s21, s21, -8
	ds_load_b64 v[18:19], v18
	s_wait_loadcnt_dscnt 0x100
	v_mul_f32_e32 v20, v19, v5
	v_mul_f32_e32 v19, v19, v4
	s_delay_alu instid0(VALU_DEP_1) | instskip(SKIP_1) | instid1(VALU_DEP_1)
	v_fmac_f32_e32 v19, v18, v5
	s_wait_loadcnt 0x0
	v_sub_f32_e32 v9, v9, v19
	v_fma_f32 v20, v18, v4, -v20
	s_delay_alu instid0(VALU_DEP_1)
	v_sub_f32_e32 v8, v8, v20
	scratch_store_b64 off, v[8:9], s19 offset:-4
	s_add_co_i32 s19, s19, 8
	s_wait_alu 0xfffe
	s_cmp_eq_u32 s41, 0
	s_cbranch_scc0 .LBB159_52
; %bb.53:                               ;   in Loop: Header=BB159_51 Depth=4
	s_add_co_i32 s18, s18, -1
	s_addk_co_i32 s20, 0xff40
	s_wait_alu 0xfffe
	s_cmp_le_i32 s18, s14
	s_cbranch_scc0 .LBB159_51
.LBB159_54:                             ;   in Loop: Header=BB159_48 Depth=3
	s_mov_b32 s41, 0
	s_mov_b32 s42, s39
	s_branch .LBB159_56
.LBB159_55:                             ;   in Loop: Header=BB159_56 Depth=4
	s_wait_alu 0xfffe
	s_mulk_i32 s20, 0xc8
	s_lshl_b64 s[18:19], s[18:19], 3
	s_wait_alu 0xfffe
	v_mov_b32_e32 v8, s20
	s_lshl_b32 s20, s41, 3
	s_add_co_i32 s41, s41, 1
	s_add_co_i32 s42, s42, -8
	s_wait_alu 0xfffe
	s_cmp_eq_u32 s41, s24
	ds_load_b64 v[8:9], v8
	s_wait_loadcnt_dscnt 0x0
	v_mul_f32_e32 v18, v9, v5
	v_mul_f32_e32 v19, v8, v5
	s_delay_alu instid0(VALU_DEP_2) | instskip(NEXT) | instid1(VALU_DEP_2)
	v_fma_f32 v18, v8, v4, -v18
	v_fmac_f32_e32 v19, v9, v4
	v_add_co_u32 v4, vcc_lo, v16, s18
	s_wait_alu 0xfffd
	v_add_co_ci_u32_e64 v5, null, s19, v17, vcc_lo
	scratch_store_b64 off, v[18:19], s20
	flat_store_b64 v[4:5], v[18:19]
	s_cbranch_scc1 .LBB159_47
.LBB159_56:                             ;   Parent Loop BB159_4 Depth=1
                                        ;     Parent Loop BB159_45 Depth=2
                                        ;       Parent Loop BB159_48 Depth=3
                                        ; =>      This Loop Header: Depth=4
                                        ;           Child Loop BB159_58 Depth 5
	s_wait_alu 0xfffe
	s_cmp_lg_u32 s41, 0
	s_cbranch_scc0 .LBB159_60
; %bb.57:                               ;   in Loop: Header=BB159_56 Depth=4
	s_lshl_b32 s18, s41, 3
	s_mov_b32 s19, 0
	scratch_load_b64 v[4:5], off, s18
	s_mov_b32 s20, s42
	s_mov_b32 s21, s41
.LBB159_58:                             ;   Parent Loop BB159_4 Depth=1
                                        ;     Parent Loop BB159_45 Depth=2
                                        ;       Parent Loop BB159_48 Depth=3
                                        ;         Parent Loop BB159_56 Depth=4
                                        ; =>        This Inner Loop Header: Depth=5
	scratch_load_b64 v[8:9], off, s19
	s_wait_alu 0xfffe
	v_mov_b32_e32 v18, s20
	s_add_co_i32 s21, s21, -1
	s_addk_co_i32 s20, 0xff40
	s_add_co_i32 s19, s19, 8
	s_wait_alu 0xfffe
	s_cmp_eq_u32 s21, 0
	ds_load_b64 v[18:19], v18
	s_wait_loadcnt_dscnt 0x0
	v_mul_f32_e32 v20, v19, v9
	v_mul_f32_e32 v9, v18, v9
	s_delay_alu instid0(VALU_DEP_2) | instskip(NEXT) | instid1(VALU_DEP_1)
	v_fma_f32 v18, v18, v8, -v20
	v_dual_sub_f32 v4, v4, v18 :: v_dual_fmac_f32 v9, v19, v8
	s_delay_alu instid0(VALU_DEP_1)
	v_sub_f32_e32 v5, v5, v9
	scratch_store_b64 off, v[4:5], s18
	s_cbranch_scc0 .LBB159_58
; %bb.59:                               ;   in Loop: Header=BB159_56 Depth=4
	s_sub_co_i32 s20, s14, s41
	s_wait_alu 0xfffe
	s_ashr_i32 s21, s20, 31
	s_wait_alu 0xfffe
	s_mov_b64 s[18:19], s[20:21]
	s_branch .LBB159_55
.LBB159_60:                             ;   in Loop: Header=BB159_56 Depth=4
                                        ; implicit-def: $vgpr4
                                        ; implicit-def: $sgpr20
                                        ; implicit-def: $sgpr18_sgpr19
	s_cbranch_execz .LBB159_55
; %bb.61:                               ;   in Loop: Header=BB159_56 Depth=4
	scratch_load_b64 v[4:5], off, off
	s_mov_b64 s[18:19], s[14:15]
	s_mov_b32 s20, s14
	s_branch .LBB159_55
.LBB159_62:
	s_or_b32 exec_lo, exec_lo, s35
	s_and_saveexec_b32 s0, s36
	s_wait_alu 0xfffe
	s_xor_b32 s0, exec_lo, s0
.LBB159_63:
	s_endpgm
	.section	.rodata,"a",@progbits
	.p2align	6, 0x0
	.amdhsa_kernel _ZL30rocblas_trsm_small_left_deviceILi24ELi24ELb0E19rocblas_complex_numIfES1_PKPKS1_PKPS1_Ev13rocblas_fill_18rocblas_operation_17rocblas_diagonal_iiT3_T4_lilT5_lili
		.amdhsa_group_segment_fixed_size 4608
		.amdhsa_private_segment_fixed_size 208
		.amdhsa_kernarg_size 360
		.amdhsa_user_sgpr_count 2
		.amdhsa_user_sgpr_dispatch_ptr 0
		.amdhsa_user_sgpr_queue_ptr 0
		.amdhsa_user_sgpr_kernarg_segment_ptr 1
		.amdhsa_user_sgpr_dispatch_id 0
		.amdhsa_user_sgpr_private_segment_size 0
		.amdhsa_wavefront_size32 1
		.amdhsa_uses_dynamic_stack 0
		.amdhsa_enable_private_segment 1
		.amdhsa_system_sgpr_workgroup_id_x 1
		.amdhsa_system_sgpr_workgroup_id_y 0
		.amdhsa_system_sgpr_workgroup_id_z 1
		.amdhsa_system_sgpr_workgroup_info 0
		.amdhsa_system_vgpr_workitem_id 0
		.amdhsa_next_free_vgpr 193
		.amdhsa_next_free_sgpr 45
		.amdhsa_reserve_vcc 1
		.amdhsa_float_round_mode_32 0
		.amdhsa_float_round_mode_16_64 0
		.amdhsa_float_denorm_mode_32 3
		.amdhsa_float_denorm_mode_16_64 3
		.amdhsa_fp16_overflow 0
		.amdhsa_workgroup_processor_mode 1
		.amdhsa_memory_ordered 1
		.amdhsa_forward_progress 1
		.amdhsa_inst_pref_size 25
		.amdhsa_round_robin_scheduling 0
		.amdhsa_exception_fp_ieee_invalid_op 0
		.amdhsa_exception_fp_denorm_src 0
		.amdhsa_exception_fp_ieee_div_zero 0
		.amdhsa_exception_fp_ieee_overflow 0
		.amdhsa_exception_fp_ieee_underflow 0
		.amdhsa_exception_fp_ieee_inexact 0
		.amdhsa_exception_int_div_zero 0
	.end_amdhsa_kernel
	.section	.text._ZL30rocblas_trsm_small_left_deviceILi24ELi24ELb0E19rocblas_complex_numIfES1_PKPKS1_PKPS1_Ev13rocblas_fill_18rocblas_operation_17rocblas_diagonal_iiT3_T4_lilT5_lili,"axG",@progbits,_ZL30rocblas_trsm_small_left_deviceILi24ELi24ELb0E19rocblas_complex_numIfES1_PKPKS1_PKPS1_Ev13rocblas_fill_18rocblas_operation_17rocblas_diagonal_iiT3_T4_lilT5_lili,comdat
.Lfunc_end159:
	.size	_ZL30rocblas_trsm_small_left_deviceILi24ELi24ELb0E19rocblas_complex_numIfES1_PKPKS1_PKPS1_Ev13rocblas_fill_18rocblas_operation_17rocblas_diagonal_iiT3_T4_lilT5_lili, .Lfunc_end159-_ZL30rocblas_trsm_small_left_deviceILi24ELi24ELb0E19rocblas_complex_numIfES1_PKPKS1_PKPS1_Ev13rocblas_fill_18rocblas_operation_17rocblas_diagonal_iiT3_T4_lilT5_lili
                                        ; -- End function
	.set _ZL30rocblas_trsm_small_left_deviceILi24ELi24ELb0E19rocblas_complex_numIfES1_PKPKS1_PKPS1_Ev13rocblas_fill_18rocblas_operation_17rocblas_diagonal_iiT3_T4_lilT5_lili.num_vgpr, 25
	.set _ZL30rocblas_trsm_small_left_deviceILi24ELi24ELb0E19rocblas_complex_numIfES1_PKPKS1_PKPS1_Ev13rocblas_fill_18rocblas_operation_17rocblas_diagonal_iiT3_T4_lilT5_lili.num_agpr, 0
	.set _ZL30rocblas_trsm_small_left_deviceILi24ELi24ELb0E19rocblas_complex_numIfES1_PKPKS1_PKPS1_Ev13rocblas_fill_18rocblas_operation_17rocblas_diagonal_iiT3_T4_lilT5_lili.numbered_sgpr, 45
	.set _ZL30rocblas_trsm_small_left_deviceILi24ELi24ELb0E19rocblas_complex_numIfES1_PKPKS1_PKPS1_Ev13rocblas_fill_18rocblas_operation_17rocblas_diagonal_iiT3_T4_lilT5_lili.num_named_barrier, 0
	.set _ZL30rocblas_trsm_small_left_deviceILi24ELi24ELb0E19rocblas_complex_numIfES1_PKPKS1_PKPS1_Ev13rocblas_fill_18rocblas_operation_17rocblas_diagonal_iiT3_T4_lilT5_lili.private_seg_size, 208
	.set _ZL30rocblas_trsm_small_left_deviceILi24ELi24ELb0E19rocblas_complex_numIfES1_PKPKS1_PKPS1_Ev13rocblas_fill_18rocblas_operation_17rocblas_diagonal_iiT3_T4_lilT5_lili.uses_vcc, 1
	.set _ZL30rocblas_trsm_small_left_deviceILi24ELi24ELb0E19rocblas_complex_numIfES1_PKPKS1_PKPS1_Ev13rocblas_fill_18rocblas_operation_17rocblas_diagonal_iiT3_T4_lilT5_lili.uses_flat_scratch, 0
	.set _ZL30rocblas_trsm_small_left_deviceILi24ELi24ELb0E19rocblas_complex_numIfES1_PKPKS1_PKPS1_Ev13rocblas_fill_18rocblas_operation_17rocblas_diagonal_iiT3_T4_lilT5_lili.has_dyn_sized_stack, 0
	.set _ZL30rocblas_trsm_small_left_deviceILi24ELi24ELb0E19rocblas_complex_numIfES1_PKPKS1_PKPS1_Ev13rocblas_fill_18rocblas_operation_17rocblas_diagonal_iiT3_T4_lilT5_lili.has_recursion, 0
	.set _ZL30rocblas_trsm_small_left_deviceILi24ELi24ELb0E19rocblas_complex_numIfES1_PKPKS1_PKPS1_Ev13rocblas_fill_18rocblas_operation_17rocblas_diagonal_iiT3_T4_lilT5_lili.has_indirect_call, 0
	.section	.AMDGPU.csdata,"",@progbits
; Kernel info:
; codeLenInByte = 3120
; TotalNumSgprs: 47
; NumVgprs: 25
; ScratchSize: 208
; MemoryBound: 0
; FloatMode: 240
; IeeeMode: 1
; LDSByteSize: 4608 bytes/workgroup (compile time only)
; SGPRBlocks: 0
; VGPRBlocks: 24
; NumSGPRsForWavesPerEU: 47
; NumVGPRsForWavesPerEU: 193
; Occupancy: 7
; WaveLimiterHint : 1
; COMPUTE_PGM_RSRC2:SCRATCH_EN: 1
; COMPUTE_PGM_RSRC2:USER_SGPR: 2
; COMPUTE_PGM_RSRC2:TRAP_HANDLER: 0
; COMPUTE_PGM_RSRC2:TGID_X_EN: 1
; COMPUTE_PGM_RSRC2:TGID_Y_EN: 0
; COMPUTE_PGM_RSRC2:TGID_Z_EN: 1
; COMPUTE_PGM_RSRC2:TIDIG_COMP_CNT: 0
	.section	.text._ZL38rocblas_trsm_small_left_device_sharedBILi24ELi24ELb1E19rocblas_complex_numIfES1_PKPKS1_PKPS1_Ev13rocblas_fill_18rocblas_operation_17rocblas_diagonal_iiT3_T4_lilT5_lili,"axG",@progbits,_ZL38rocblas_trsm_small_left_device_sharedBILi24ELi24ELb1E19rocblas_complex_numIfES1_PKPKS1_PKPS1_Ev13rocblas_fill_18rocblas_operation_17rocblas_diagonal_iiT3_T4_lilT5_lili,comdat
	.globl	_ZL38rocblas_trsm_small_left_device_sharedBILi24ELi24ELb1E19rocblas_complex_numIfES1_PKPKS1_PKPS1_Ev13rocblas_fill_18rocblas_operation_17rocblas_diagonal_iiT3_T4_lilT5_lili ; -- Begin function _ZL38rocblas_trsm_small_left_device_sharedBILi24ELi24ELb1E19rocblas_complex_numIfES1_PKPKS1_PKPS1_Ev13rocblas_fill_18rocblas_operation_17rocblas_diagonal_iiT3_T4_lilT5_lili
	.p2align	8
	.type	_ZL38rocblas_trsm_small_left_device_sharedBILi24ELi24ELb1E19rocblas_complex_numIfES1_PKPKS1_PKPS1_Ev13rocblas_fill_18rocblas_operation_17rocblas_diagonal_iiT3_T4_lilT5_lili,@function
_ZL38rocblas_trsm_small_left_device_sharedBILi24ELi24ELb1E19rocblas_complex_numIfES1_PKPKS1_PKPS1_Ev13rocblas_fill_18rocblas_operation_17rocblas_diagonal_iiT3_T4_lilT5_lili: ; @_ZL38rocblas_trsm_small_left_device_sharedBILi24ELi24ELb1E19rocblas_complex_numIfES1_PKPKS1_PKPS1_Ev13rocblas_fill_18rocblas_operation_17rocblas_diagonal_iiT3_T4_lilT5_lili
; %bb.0:
	s_load_b32 s22, s[0:1], 0x60
	s_lshr_b32 s2, ttmp7, 16
	s_wait_kmcnt 0x0
	s_cmp_ge_u32 s2, s22
	s_cbranch_scc1 .LBB160_66
; %bb.1:
	s_clause 0x6
	s_load_b32 s20, s[0:1], 0x30
	s_load_b32 s28, s[0:1], 0x50
	s_load_b128 s[12:15], s[0:1], 0x4
	s_load_b32 s3, s[0:1], 0x68
	s_load_b128 s[4:7], s[0:1], 0x20
	s_load_b128 s[8:11], s[0:1], 0x40
	s_load_b64 s[16:17], s[0:1], 0x14
	s_mul_i32 s0, ttmp9, 0xffffffe8
	s_mul_i32 s30, ttmp9, 24
	v_lshlrev_b32_e32 v12, 3, v0
	v_mul_u32_u24_e32 v2, 0xc0, v0
	s_mov_b32 s19, 0
	s_wait_kmcnt 0x0
	s_ashr_i32 s21, s20, 31
	s_ashr_i32 s29, s28, 31
	s_cmp_lg_u32 s12, 0x71
	v_mad_co_i64_i32 v[4:5], null, s28, v0, 0
	s_cselect_b32 s1, -1, 0
	s_min_i32 s23, s14, 24
	s_add_co_i32 s3, s3, -1
	s_add_co_i32 s0, s15, s0
	s_add_co_i32 s24, s23, -1
	s_cmp_ge_u32 ttmp9, s3
	v_lshlrev_b64_e32 v[4:5], 3, v[4:5]
	s_cselect_b32 s3, s0, 24
	s_ashr_i32 s31, s30, 31
	s_cmp_lg_u32 s13, 0x84
	v_cmp_gt_i32_e64 s0, s23, v0
	s_cselect_b32 s25, -1, 0
	s_cmp_gt_i32 s14, 0
	v_cmp_gt_i32_e32 vcc_lo, s3, v0
	s_cselect_b32 s18, -1, 0
	s_cmp_lg_u32 s12, 0x6f
	s_mul_u64 s[14:15], s[28:29], s[30:31]
	s_cselect_b32 s26, -1, 0
	s_lshl_b64 s[12:13], s[30:31], 3
	s_and_b32 s27, vcc_lo, s18
	v_add_co_u32 v0, s3, s12, v12
	s_wait_alu 0xf1ff
	v_add_co_ci_u32_e64 v3, null, s13, 0, s3
	s_lshl_b64 s[12:13], s[6:7], 3
	s_lshl_b64 s[6:7], s[10:11], 3
	v_mul_lo_u32 v8, v0, s29
	v_mul_lo_u32 v9, v3, s28
	v_mad_co_u64_u32 v[6:7], null, v0, s28, s[6:7]
	v_mov_b32_e32 v3, 0
	s_wait_alu 0xfffe
	v_add_co_u32 v10, s3, s12, v12
	v_or_b32_e32 v1, 0x1200, v12
	s_wait_alu 0xf1ff
	v_add_co_ci_u32_e64 v0, null, s13, 0, s3
	s_delay_alu instid0(VALU_DEP_3)
	v_or_b32_e32 v13, 4, v10
	v_add3_u32 v14, v9, v7, v8
	v_or_b32_e32 v15, 4, v6
	v_add_nc_u32_e32 v16, v12, v2
	v_mov_b32_e32 v2, 1.0
	s_lshl_b32 s3, s23, 3
	s_or_b32 s28, 0, 4
	s_lshl_b64 s[10:11], s[20:21], 3
	s_wait_alu 0xfffe
	s_add_co_i32 s20, s3, -8
	s_lshl_b64 s[12:13], s[14:15], 3
	s_branch .LBB160_3
.LBB160_2:                              ;   in Loop: Header=BB160_3 Depth=1
	s_wait_alu 0xfffe
	s_or_b32 exec_lo, exec_lo, s3
	s_add_co_i32 s2, s2, 0x10000
	s_wait_alu 0xfffe
	s_cmp_lt_u32 s2, s22
	s_cbranch_scc0 .LBB160_66
.LBB160_3:                              ; =>This Loop Header: Depth=1
                                        ;     Child Loop BB160_6 Depth 2
                                        ;     Child Loop BB160_20 Depth 2
	;; [unrolled: 1-line block ×3, first 2 shown]
                                        ;       Child Loop BB160_27 Depth 3
                                        ;         Child Loop BB160_28 Depth 4
                                        ;         Child Loop BB160_30 Depth 4
                                        ;           Child Loop BB160_31 Depth 5
                                        ;         Child Loop BB160_35 Depth 4
                                        ;           Child Loop BB160_37 Depth 5
                                        ;     Child Loop BB160_45 Depth 2
                                        ;       Child Loop BB160_48 Depth 3
                                        ;         Child Loop BB160_49 Depth 4
                                        ;         Child Loop BB160_52 Depth 4
                                        ;           Child Loop BB160_53 Depth 5
                                        ;         Child Loop BB160_57 Depth 4
                                        ;           Child Loop BB160_59 Depth 5
                                        ;     Child Loop BB160_65 Depth 2
	s_mov_b32 s3, s19
	s_wait_alu 0xfffe
	s_lshl_b64 s[14:15], s[2:3], 3
	s_delay_alu instid0(SALU_CYCLE_1)
	s_add_nc_u64 s[30:31], s[8:9], s[14:15]
	global_load_b64 v[6:7], v3, s[30:31]
	s_and_saveexec_b32 s3, s0
	s_cbranch_execz .LBB160_18
; %bb.4:                                ;   in Loop: Header=BB160_3 Depth=1
	s_add_nc_u64 s[14:15], s[4:5], s[14:15]
	v_mov_b32_e32 v17, v12
	global_load_b64 v[8:9], v3, s[14:15]
	s_mov_b32 s14, s23
	s_wait_loadcnt 0x0
	v_add_co_u32 v8, vcc_lo, v8, v13
	s_wait_alu 0xfffd
	v_add_co_ci_u32_e64 v9, null, v9, v0, vcc_lo
	s_branch .LBB160_6
.LBB160_5:                              ;   in Loop: Header=BB160_6 Depth=2
	flat_load_b32 v10, v[8:9] offset:-4
	v_add_co_u32 v8, vcc_lo, v8, s10
	s_wait_alu 0xfffd
	v_add_co_ci_u32_e64 v9, null, s11, v9, vcc_lo
	s_add_co_i32 s14, s14, -1
	s_delay_alu instid0(SALU_CYCLE_1)
	s_cmp_eq_u32 s14, 0
	s_wait_loadcnt_dscnt 0x0
	ds_store_b64 v17, v[10:11]
	v_add_nc_u32_e32 v17, 0xc0, v17
	s_cbranch_scc1 .LBB160_10
.LBB160_6:                              ;   Parent Loop BB160_3 Depth=1
                                        ; =>  This Inner Loop Header: Depth=2
	s_and_b32 vcc_lo, exec_lo, s1
	s_mov_b32 s15, -1
                                        ; implicit-def: $vgpr11
	s_wait_alu 0xfffe
	s_cbranch_vccz .LBB160_8
; %bb.7:                                ;   in Loop: Header=BB160_6 Depth=2
	flat_load_b32 v11, v[8:9]
	s_mov_b32 s15, 0
.LBB160_8:                              ;   in Loop: Header=BB160_6 Depth=2
	s_delay_alu instid0(SALU_CYCLE_1)
	s_and_not1_b32 vcc_lo, exec_lo, s15
	s_wait_alu 0xfffe
	s_cbranch_vccnz .LBB160_5
; %bb.9:                                ;   in Loop: Header=BB160_6 Depth=2
	flat_load_b32 v10, v[8:9]
	s_wait_loadcnt_dscnt 0x0
	v_xor_b32_e32 v11, 0x80000000, v10
	s_branch .LBB160_5
.LBB160_10:                             ;   in Loop: Header=BB160_3 Depth=1
	s_and_b32 vcc_lo, exec_lo, s25
	s_mov_b32 s14, -1
	s_wait_alu 0xfffe
	s_cbranch_vccz .LBB160_16
; %bb.11:                               ;   in Loop: Header=BB160_3 Depth=1
	ds_load_b64 v[8:9], v16
                                        ; implicit-def: $vgpr10
	s_wait_dscnt 0x0
	v_cmp_ngt_f32_e64 s14, |v8|, |v9|
	s_and_saveexec_b32 s15, s14
	s_delay_alu instid0(SALU_CYCLE_1)
	s_xor_b32 s14, exec_lo, s15
	s_cbranch_execz .LBB160_13
; %bb.12:                               ;   in Loop: Header=BB160_3 Depth=1
	v_div_scale_f32 v10, null, v9, v9, v8
	v_div_scale_f32 v18, vcc_lo, v8, v9, v8
	s_delay_alu instid0(VALU_DEP_2) | instskip(NEXT) | instid1(TRANS32_DEP_1)
	v_rcp_f32_e32 v11, v10
	v_fma_f32 v17, -v10, v11, 1.0
	s_delay_alu instid0(VALU_DEP_1) | instskip(NEXT) | instid1(VALU_DEP_1)
	v_fmac_f32_e32 v11, v17, v11
	v_mul_f32_e32 v17, v18, v11
	s_delay_alu instid0(VALU_DEP_1) | instskip(NEXT) | instid1(VALU_DEP_1)
	v_fma_f32 v19, -v10, v17, v18
	v_fmac_f32_e32 v17, v19, v11
	s_delay_alu instid0(VALU_DEP_1) | instskip(SKIP_1) | instid1(VALU_DEP_1)
	v_fma_f32 v10, -v10, v17, v18
	s_wait_alu 0xfffd
	v_div_fmas_f32 v10, v10, v11, v17
	s_delay_alu instid0(VALU_DEP_1) | instskip(NEXT) | instid1(VALU_DEP_1)
	v_div_fixup_f32 v10, v10, v9, v8
	v_fmac_f32_e32 v9, v8, v10
	s_delay_alu instid0(VALU_DEP_1) | instskip(SKIP_1) | instid1(VALU_DEP_2)
	v_div_scale_f32 v8, null, v9, v9, 1.0
	v_div_scale_f32 v18, vcc_lo, 1.0, v9, 1.0
	v_rcp_f32_e32 v11, v8
	s_delay_alu instid0(TRANS32_DEP_1) | instskip(NEXT) | instid1(VALU_DEP_1)
	v_fma_f32 v17, -v8, v11, 1.0
	v_fmac_f32_e32 v11, v17, v11
	s_delay_alu instid0(VALU_DEP_1) | instskip(NEXT) | instid1(VALU_DEP_1)
	v_mul_f32_e32 v17, v18, v11
	v_fma_f32 v19, -v8, v17, v18
	s_delay_alu instid0(VALU_DEP_1) | instskip(NEXT) | instid1(VALU_DEP_1)
	v_fmac_f32_e32 v17, v19, v11
	v_fma_f32 v8, -v8, v17, v18
	s_wait_alu 0xfffd
	s_delay_alu instid0(VALU_DEP_1) | instskip(SKIP_1) | instid1(VALU_DEP_2)
	v_div_fmas_f32 v8, v8, v11, v17
	v_add_f32_e32 v11, 0, v10
	v_div_fixup_f32 v8, v8, v9, 1.0
	v_fma_f32 v9, v10, 0, -1.0
	s_delay_alu instid0(VALU_DEP_2) | instskip(NEXT) | instid1(VALU_DEP_2)
	v_mul_f32_e32 v10, v11, v8
	v_mul_f32_e32 v11, v9, v8
                                        ; implicit-def: $vgpr8_vgpr9
.LBB160_13:                             ;   in Loop: Header=BB160_3 Depth=1
	s_and_not1_saveexec_b32 s14, s14
	s_cbranch_execz .LBB160_15
; %bb.14:                               ;   in Loop: Header=BB160_3 Depth=1
	v_div_scale_f32 v10, null, v8, v8, v9
	v_div_scale_f32 v18, vcc_lo, v9, v8, v9
	s_delay_alu instid0(VALU_DEP_2) | instskip(NEXT) | instid1(TRANS32_DEP_1)
	v_rcp_f32_e32 v11, v10
	v_fma_f32 v17, -v10, v11, 1.0
	s_delay_alu instid0(VALU_DEP_1) | instskip(NEXT) | instid1(VALU_DEP_1)
	v_fmac_f32_e32 v11, v17, v11
	v_mul_f32_e32 v17, v18, v11
	s_delay_alu instid0(VALU_DEP_1) | instskip(NEXT) | instid1(VALU_DEP_1)
	v_fma_f32 v19, -v10, v17, v18
	v_fmac_f32_e32 v17, v19, v11
	s_delay_alu instid0(VALU_DEP_1) | instskip(SKIP_1) | instid1(VALU_DEP_1)
	v_fma_f32 v10, -v10, v17, v18
	s_wait_alu 0xfffd
	v_div_fmas_f32 v10, v10, v11, v17
	s_delay_alu instid0(VALU_DEP_1) | instskip(NEXT) | instid1(VALU_DEP_1)
	v_div_fixup_f32 v11, v10, v8, v9
	v_fmac_f32_e32 v8, v9, v11
	s_delay_alu instid0(VALU_DEP_1) | instskip(SKIP_1) | instid1(VALU_DEP_2)
	v_div_scale_f32 v9, null, v8, v8, 1.0
	v_div_scale_f32 v18, vcc_lo, 1.0, v8, 1.0
	v_rcp_f32_e32 v10, v9
	s_delay_alu instid0(TRANS32_DEP_1) | instskip(NEXT) | instid1(VALU_DEP_1)
	v_fma_f32 v17, -v9, v10, 1.0
	v_fmac_f32_e32 v10, v17, v10
	s_delay_alu instid0(VALU_DEP_1) | instskip(NEXT) | instid1(VALU_DEP_1)
	v_mul_f32_e32 v17, v18, v10
	v_fma_f32 v19, -v9, v17, v18
	s_delay_alu instid0(VALU_DEP_1) | instskip(NEXT) | instid1(VALU_DEP_1)
	v_fmac_f32_e32 v17, v19, v10
	v_fma_f32 v9, -v9, v17, v18
	s_wait_alu 0xfffd
	s_delay_alu instid0(VALU_DEP_1) | instskip(SKIP_1) | instid1(VALU_DEP_2)
	v_div_fmas_f32 v9, v9, v10, v17
	v_fma_f32 v10, v11, 0, 1.0
	v_div_fixup_f32 v8, v9, v8, 1.0
	s_delay_alu instid0(VALU_DEP_1)
	v_mul_f32_e32 v10, v10, v8
	v_mul_f32_e64 v11, -v11, v8
.LBB160_15:                             ;   in Loop: Header=BB160_3 Depth=1
	s_or_b32 exec_lo, exec_lo, s14
	s_mov_b32 s14, 0
	ds_store_b64 v16, v[10:11]
.LBB160_16:                             ;   in Loop: Header=BB160_3 Depth=1
	s_and_b32 vcc_lo, exec_lo, s14
	s_wait_alu 0xfffe
	s_cbranch_vccz .LBB160_18
; %bb.17:                               ;   in Loop: Header=BB160_3 Depth=1
	ds_store_b64 v16, v[2:3]
.LBB160_18:                             ;   in Loop: Header=BB160_3 Depth=1
	s_wait_alu 0xfffe
	s_or_b32 exec_lo, exec_lo, s3
	s_and_saveexec_b32 s3, s27
	s_cbranch_execz .LBB160_21
; %bb.19:                               ;   in Loop: Header=BB160_3 Depth=1
	s_wait_loadcnt 0x0
	v_add_co_u32 v8, vcc_lo, v6, v15
	s_wait_alu 0xfffd
	v_add_co_ci_u32_e64 v9, null, v7, v14, vcc_lo
	v_mov_b32_e32 v10, v1
	s_mov_b32 s14, s23
.LBB160_20:                             ;   Parent Loop BB160_3 Depth=1
                                        ; =>  This Inner Loop Header: Depth=2
	flat_load_b64 v[17:18], v[8:9] offset:-4
	v_add_co_u32 v8, vcc_lo, v8, 8
	s_wait_alu 0xfffd
	v_add_co_ci_u32_e64 v9, null, 0, v9, vcc_lo
	s_add_co_i32 s14, s14, -1
	s_delay_alu instid0(SALU_CYCLE_1) | instskip(SKIP_3) | instid1(VALU_DEP_2)
	s_cmp_lg_u32 s14, 0
	s_wait_loadcnt_dscnt 0x0
	v_mul_f32_e32 v11, s17, v18
	v_mul_f32_e32 v19, s16, v18
	v_fma_f32 v18, s16, v17, -v11
	s_delay_alu instid0(VALU_DEP_2)
	v_fmac_f32_e32 v19, s17, v17
	ds_store_b64 v10, v[18:19]
	v_add_nc_u32_e32 v10, 0xc0, v10
	s_cbranch_scc1 .LBB160_20
.LBB160_21:                             ;   in Loop: Header=BB160_3 Depth=1
	s_wait_alu 0xfffe
	s_or_b32 exec_lo, exec_lo, s3
	s_delay_alu instid0(SALU_CYCLE_1)
	s_and_not1_b32 vcc_lo, exec_lo, s26
	s_mov_b32 s3, -1
	; wave barrier
	s_wait_loadcnt_dscnt 0x0
	global_inv scope:SCOPE_SE
	s_wait_alu 0xfffe
	s_cbranch_vccnz .LBB160_42
; %bb.22:                               ;   in Loop: Header=BB160_3 Depth=1
	s_mov_b32 s18, 0
	s_mov_b32 s3, s24
	s_branch .LBB160_24
.LBB160_23:                             ;   in Loop: Header=BB160_24 Depth=2
	s_cmp_gt_i32 s3, -1
	s_cselect_b32 s14, -1, 0
	s_add_co_i32 s15, s18, 1
	s_cmp_lt_u32 s18, 2
	s_cselect_b32 s18, -1, 0
	s_delay_alu instid0(SALU_CYCLE_1)
	s_and_b32 s14, s14, s18
	s_mov_b32 s18, s15
	s_and_b32 vcc_lo, exec_lo, s14
	s_wait_alu 0xfffe
	s_cbranch_vccz .LBB160_41
.LBB160_24:                             ;   Parent Loop BB160_3 Depth=1
                                        ; =>  This Loop Header: Depth=2
                                        ;       Child Loop BB160_27 Depth 3
                                        ;         Child Loop BB160_28 Depth 4
                                        ;         Child Loop BB160_30 Depth 4
                                        ;           Child Loop BB160_31 Depth 5
                                        ;         Child Loop BB160_35 Depth 4
                                        ;           Child Loop BB160_37 Depth 5
	s_getpc_b64 s[14:15]
	s_sext_i32_i16 s15, s15
	s_add_co_u32 s14, s14, __const._ZL38rocblas_trsm_small_left_device_sharedBILi24ELi24ELb1E19rocblas_complex_numIfES1_PKPKS1_PKPS1_Ev13rocblas_fill_18rocblas_operation_17rocblas_diagonal_iiT3_T4_lilT5_lili.step_sizes@rel32@lo+8
	s_add_co_ci_u32 s15, s15, __const._ZL38rocblas_trsm_small_left_device_sharedBILi24ELi24ELb1E19rocblas_complex_numIfES1_PKPKS1_PKPS1_Ev13rocblas_fill_18rocblas_operation_17rocblas_diagonal_iiT3_T4_lilT5_lili.step_sizes@rel32@hi+16
	s_lshl_b64 s[30:31], s[18:19], 2
	s_wait_alu 0xfffe
	s_add_nc_u64 s[14:15], s[14:15], s[30:31]
	s_load_b32 s14, s[14:15], 0x0
	s_wait_kmcnt 0x0
	s_add_co_i32 s15, s14, -1
	s_delay_alu instid0(SALU_CYCLE_1)
	s_cmp_lt_i32 s3, s15
	s_cbranch_scc1 .LBB160_23
; %bb.25:                               ;   in Loop: Header=BB160_24 Depth=2
	s_mul_i32 s30, s3, 0xc0
	s_max_i32 s21, s14, 1
	s_wait_alu 0xfffe
	v_add_nc_u32_e32 v10, s30, v1
	s_mul_i32 s29, s14, 0xffffff40
	s_add_co_i32 s30, s20, s30
	s_mul_i32 s31, s3, 0xc8
	s_mul_i32 s33, s14, 0xffffff38
	s_branch .LBB160_27
.LBB160_26:                             ;   in Loop: Header=BB160_27 Depth=3
	v_add_nc_u32_e32 v10, s29, v10
	s_sub_co_i32 s3, s3, s14
	s_add_co_i32 s30, s30, s29
	s_add_co_i32 s31, s31, s33
	s_wait_alu 0xfffe
	s_cmp_lt_i32 s3, s15
	s_cbranch_scc1 .LBB160_23
.LBB160_27:                             ;   Parent Loop BB160_3 Depth=1
                                        ;     Parent Loop BB160_24 Depth=2
                                        ; =>    This Loop Header: Depth=3
                                        ;         Child Loop BB160_28 Depth 4
                                        ;         Child Loop BB160_30 Depth 4
                                        ;           Child Loop BB160_31 Depth 5
                                        ;         Child Loop BB160_35 Depth 4
                                        ;           Child Loop BB160_37 Depth 5
	v_mov_b32_e32 v8, v10
	s_mov_b32 s34, 0
	s_mov_b32 s35, s21
.LBB160_28:                             ;   Parent Loop BB160_3 Depth=1
                                        ;     Parent Loop BB160_24 Depth=2
                                        ;       Parent Loop BB160_27 Depth=3
                                        ; =>      This Inner Loop Header: Depth=4
	ds_load_b64 v[17:18], v8
	v_add_nc_u32_e32 v8, 0xffffff40, v8
	s_wait_alu 0xfffe
	s_add_co_i32 s35, s35, -1
	s_wait_dscnt 0x0
	scratch_store_b64 off, v[17:18], s34
	s_add_co_i32 s34, s34, 8
	s_wait_alu 0xfffe
	s_cmp_eq_u32 s35, 0
	s_cbranch_scc0 .LBB160_28
; %bb.29:                               ;   in Loop: Header=BB160_27 Depth=3
	s_cmp_le_i32 s24, s3
	s_mov_b32 s34, s30
	s_mov_b32 s35, s24
	s_cbranch_scc1 .LBB160_33
.LBB160_30:                             ;   Parent Loop BB160_3 Depth=1
                                        ;     Parent Loop BB160_24 Depth=2
                                        ;       Parent Loop BB160_27 Depth=3
                                        ; =>      This Loop Header: Depth=4
                                        ;           Child Loop BB160_31 Depth 5
	s_wait_alu 0xfffe
	v_mad_co_u64_u32 v[8:9], null, 0xc0, s35, v[1:2]
	s_mov_b32 s36, s28
	s_mov_b32 s37, s34
	;; [unrolled: 1-line block ×3, first 2 shown]
	ds_load_b64 v[8:9], v8
.LBB160_31:                             ;   Parent Loop BB160_3 Depth=1
                                        ;     Parent Loop BB160_24 Depth=2
                                        ;       Parent Loop BB160_27 Depth=3
                                        ;         Parent Loop BB160_30 Depth=4
                                        ; =>        This Inner Loop Header: Depth=5
	scratch_load_b64 v[17:18], off, s36 offset:-4
	s_wait_alu 0xfffe
	v_mov_b32_e32 v11, s37
	s_add_co_i32 s38, s38, -1
	s_addk_co_i32 s37, 0xff40
	ds_load_b64 v[19:20], v11
	s_wait_dscnt 0x0
	v_mul_f32_e32 v11, v20, v9
	v_mul_f32_e32 v20, v20, v8
	s_delay_alu instid0(VALU_DEP_1) | instskip(SKIP_1) | instid1(VALU_DEP_1)
	v_fmac_f32_e32 v20, v19, v9
	s_wait_loadcnt 0x0
	v_sub_f32_e32 v18, v18, v20
	v_fma_f32 v11, v19, v8, -v11
	s_delay_alu instid0(VALU_DEP_1)
	v_sub_f32_e32 v17, v17, v11
	scratch_store_b64 off, v[17:18], s36 offset:-4
	s_add_co_i32 s36, s36, 8
	s_wait_alu 0xfffe
	s_cmp_eq_u32 s38, 0
	s_cbranch_scc0 .LBB160_31
; %bb.32:                               ;   in Loop: Header=BB160_30 Depth=4
	s_add_co_i32 s35, s35, -1
	s_add_co_i32 s34, s34, -8
	s_wait_alu 0xfffe
	s_cmp_le_i32 s35, s3
	s_cbranch_scc0 .LBB160_30
.LBB160_33:                             ;   in Loop: Header=BB160_27 Depth=3
	s_mul_i32 s34, s3, 0xc0
	s_mov_b32 s35, 0
	s_mov_b32 s36, s31
	s_branch .LBB160_35
.LBB160_34:                             ;   in Loop: Header=BB160_35 Depth=4
	s_wait_alu 0xfffe
	s_mulk_i32 s38, 0xc8
	s_addk_co_i32 s36, 0xff40
	s_wait_alu 0xfffe
	v_mov_b32_e32 v11, s38
	s_lshl_b32 s38, s35, 3
	s_add_co_i32 s35, s35, 1
	s_wait_alu 0xfffe
	s_cmp_eq_u32 s35, s21
	ds_load_b64 v[17:18], v11
	s_wait_loadcnt_dscnt 0x0
	v_mul_f32_e32 v11, v18, v9
	v_mul_f32_e32 v20, v17, v9
	v_add_nc_u32_e32 v9, s37, v1
	s_delay_alu instid0(VALU_DEP_3) | instskip(NEXT) | instid1(VALU_DEP_3)
	v_fma_f32 v19, v17, v8, -v11
	v_fmac_f32_e32 v20, v18, v8
	scratch_store_b64 off, v[19:20], s38
	ds_store_b64 v9, v[19:20]
	s_cbranch_scc1 .LBB160_26
.LBB160_35:                             ;   Parent Loop BB160_3 Depth=1
                                        ;     Parent Loop BB160_24 Depth=2
                                        ;       Parent Loop BB160_27 Depth=3
                                        ; =>      This Loop Header: Depth=4
                                        ;           Child Loop BB160_37 Depth 5
	s_wait_alu 0xfffe
	s_cmp_lg_u32 s35, 0
	s_cbranch_scc0 .LBB160_39
; %bb.36:                               ;   in Loop: Header=BB160_35 Depth=4
	s_lshl_b32 s39, s35, 3
	s_sub_co_i32 s38, s3, s35
	scratch_load_b64 v[8:9], off, s39
	s_wait_alu 0xfffe
	s_mul_i32 s37, s38, 0xc0
	s_mov_b32 s40, 0
	s_mov_b32 s41, s36
	;; [unrolled: 1-line block ×3, first 2 shown]
.LBB160_37:                             ;   Parent Loop BB160_3 Depth=1
                                        ;     Parent Loop BB160_24 Depth=2
                                        ;       Parent Loop BB160_27 Depth=3
                                        ;         Parent Loop BB160_35 Depth=4
                                        ; =>        This Inner Loop Header: Depth=5
	scratch_load_b64 v[17:18], off, s40
	s_wait_alu 0xfffe
	v_mov_b32_e32 v11, s41
	s_add_co_i32 s42, s42, -1
	s_add_co_i32 s41, s41, -8
	s_add_co_i32 s40, s40, 8
	s_cmp_eq_u32 s42, 0
	ds_load_b64 v[19:20], v11
	s_wait_loadcnt_dscnt 0x0
	v_mul_f32_e32 v11, v20, v18
	v_mul_f32_e32 v18, v19, v18
	s_delay_alu instid0(VALU_DEP_2) | instskip(NEXT) | instid1(VALU_DEP_2)
	v_fma_f32 v11, v19, v17, -v11
	v_fmac_f32_e32 v18, v20, v17
	s_delay_alu instid0(VALU_DEP_1)
	v_dual_sub_f32 v8, v8, v11 :: v_dual_sub_f32 v9, v9, v18
	scratch_store_b64 off, v[8:9], s39
	s_cbranch_scc0 .LBB160_37
; %bb.38:                               ;   in Loop: Header=BB160_35 Depth=4
	s_branch .LBB160_34
.LBB160_39:                             ;   in Loop: Header=BB160_35 Depth=4
                                        ; implicit-def: $vgpr8
                                        ; implicit-def: $sgpr38
                                        ; implicit-def: $sgpr37
	s_cbranch_execz .LBB160_34
; %bb.40:                               ;   in Loop: Header=BB160_35 Depth=4
	scratch_load_b64 v[8:9], off, off
	s_mov_b32 s37, s34
	s_mov_b32 s38, s3
	s_branch .LBB160_34
.LBB160_41:                             ;   in Loop: Header=BB160_3 Depth=1
	s_mov_b32 s3, 0
.LBB160_42:                             ;   in Loop: Header=BB160_3 Depth=1
	s_wait_alu 0xfffe
	s_and_b32 vcc_lo, exec_lo, s3
	s_wait_alu 0xfffe
	s_cbranch_vccz .LBB160_63
; %bb.43:                               ;   in Loop: Header=BB160_3 Depth=1
	s_mov_b32 s18, 0
	s_delay_alu instid0(SALU_CYCLE_1)
	s_mov_b32 s3, s18
	s_branch .LBB160_45
.LBB160_44:                             ;   in Loop: Header=BB160_45 Depth=2
	s_cmp_lt_i32 s3, s23
	s_cselect_b32 s14, -1, 0
	s_add_co_i32 s15, s18, 1
	s_cmp_lt_u32 s18, 2
	s_cselect_b32 s18, -1, 0
	s_delay_alu instid0(SALU_CYCLE_1)
	s_and_b32 s14, s14, s18
	s_mov_b32 s18, s15
	s_and_not1_b32 vcc_lo, exec_lo, s14
	s_wait_alu 0xfffe
	s_cbranch_vccnz .LBB160_63
.LBB160_45:                             ;   Parent Loop BB160_3 Depth=1
                                        ; =>  This Loop Header: Depth=2
                                        ;       Child Loop BB160_48 Depth 3
                                        ;         Child Loop BB160_49 Depth 4
                                        ;         Child Loop BB160_52 Depth 4
                                        ;           Child Loop BB160_53 Depth 5
                                        ;         Child Loop BB160_57 Depth 4
                                        ;           Child Loop BB160_59 Depth 5
	s_getpc_b64 s[14:15]
	s_sext_i32_i16 s15, s15
	s_add_co_u32 s14, s14, __const._ZL38rocblas_trsm_small_left_device_sharedBILi24ELi24ELb1E19rocblas_complex_numIfES1_PKPKS1_PKPS1_Ev13rocblas_fill_18rocblas_operation_17rocblas_diagonal_iiT3_T4_lilT5_lili.step_sizes@rel32@lo+8
	s_add_co_ci_u32 s15, s15, __const._ZL38rocblas_trsm_small_left_device_sharedBILi24ELi24ELb1E19rocblas_complex_numIfES1_PKPKS1_PKPS1_Ev13rocblas_fill_18rocblas_operation_17rocblas_diagonal_iiT3_T4_lilT5_lili.step_sizes@rel32@hi+16
	s_lshl_b64 s[30:31], s[18:19], 2
	s_wait_alu 0xfffe
	s_add_nc_u64 s[14:15], s[14:15], s[30:31]
	s_load_b32 s14, s[14:15], 0x0
	s_wait_kmcnt 0x0
	s_add_co_i32 s15, s14, -1
	s_delay_alu instid0(SALU_CYCLE_1) | instskip(NEXT) | instid1(SALU_CYCLE_1)
	s_add_co_i32 s21, s15, s3
	s_cmp_ge_i32 s21, s23
	s_cbranch_scc1 .LBB160_44
; %bb.46:                               ;   in Loop: Header=BB160_45 Depth=2
	v_mad_co_u64_u32 v[8:9], null, 0xc0, s3, v[1:2]
	s_max_i32 s21, s14, 1
	s_mul_i32 s29, s14, 0xc0
	s_lshl_b32 s30, s3, 3
	s_lshl_b32 s31, s14, 3
	s_mul_i32 s33, s3, 0xc8
	s_mul_i32 s34, s14, 0xc8
	s_branch .LBB160_48
.LBB160_47:                             ;   in Loop: Header=BB160_48 Depth=3
	s_add_co_i32 s3, s3, s14
	v_add_nc_u32_e32 v8, s29, v8
	s_wait_alu 0xfffe
	s_add_co_i32 s35, s15, s3
	s_add_co_i32 s30, s30, s31
	;; [unrolled: 1-line block ×3, first 2 shown]
	s_wait_alu 0xfffe
	s_cmp_ge_i32 s35, s23
	s_cbranch_scc1 .LBB160_44
.LBB160_48:                             ;   Parent Loop BB160_3 Depth=1
                                        ;     Parent Loop BB160_45 Depth=2
                                        ; =>    This Loop Header: Depth=3
                                        ;         Child Loop BB160_49 Depth 4
                                        ;         Child Loop BB160_52 Depth 4
                                        ;           Child Loop BB160_53 Depth 5
                                        ;         Child Loop BB160_57 Depth 4
                                        ;           Child Loop BB160_59 Depth 5
	v_mov_b32_e32 v9, v8
	s_mov_b32 s35, 0
	s_mov_b32 s36, s21
.LBB160_49:                             ;   Parent Loop BB160_3 Depth=1
                                        ;     Parent Loop BB160_45 Depth=2
                                        ;       Parent Loop BB160_48 Depth=3
                                        ; =>      This Inner Loop Header: Depth=4
	ds_load_b64 v[10:11], v9
	v_add_nc_u32_e32 v9, 0xc0, v9
	s_wait_alu 0xfffe
	s_add_co_i32 s36, s36, -1
	s_wait_dscnt 0x0
	scratch_store_b64 off, v[10:11], s35
	s_add_co_i32 s35, s35, 8
	s_wait_alu 0xfffe
	s_cmp_eq_u32 s36, 0
	s_cbranch_scc0 .LBB160_49
; %bb.50:                               ;   in Loop: Header=BB160_48 Depth=3
	s_cmp_lt_i32 s3, 1
	s_cbranch_scc1 .LBB160_55
; %bb.51:                               ;   in Loop: Header=BB160_48 Depth=3
	s_mov_b32 s35, 0
	s_mov_b32 s36, s30
.LBB160_52:                             ;   Parent Loop BB160_3 Depth=1
                                        ;     Parent Loop BB160_45 Depth=2
                                        ;       Parent Loop BB160_48 Depth=3
                                        ; =>      This Loop Header: Depth=4
                                        ;           Child Loop BB160_53 Depth 5
	s_wait_alu 0xfffe
	v_mad_co_u64_u32 v[9:10], null, 0xc0, s35, v[1:2]
	s_mov_b32 s37, s28
	s_mov_b32 s38, s36
	;; [unrolled: 1-line block ×3, first 2 shown]
	ds_load_b64 v[9:10], v9
.LBB160_53:                             ;   Parent Loop BB160_3 Depth=1
                                        ;     Parent Loop BB160_45 Depth=2
                                        ;       Parent Loop BB160_48 Depth=3
                                        ;         Parent Loop BB160_52 Depth=4
                                        ; =>        This Inner Loop Header: Depth=5
	scratch_load_b64 v[17:18], off, s37 offset:-4
	s_wait_alu 0xfffe
	v_mov_b32_e32 v11, s38
	s_add_co_i32 s39, s39, -1
	s_add_co_i32 s38, s38, 8
	ds_load_b64 v[19:20], v11
	s_wait_dscnt 0x0
	v_mul_f32_e32 v11, v20, v10
	v_mul_f32_e32 v20, v20, v9
	s_delay_alu instid0(VALU_DEP_1) | instskip(SKIP_1) | instid1(VALU_DEP_1)
	v_fmac_f32_e32 v20, v19, v10
	s_wait_loadcnt 0x0
	v_sub_f32_e32 v18, v18, v20
	v_fma_f32 v11, v19, v9, -v11
	s_delay_alu instid0(VALU_DEP_1)
	v_sub_f32_e32 v17, v17, v11
	scratch_store_b64 off, v[17:18], s37 offset:-4
	s_add_co_i32 s37, s37, 8
	s_wait_alu 0xfffe
	s_cmp_eq_u32 s39, 0
	s_cbranch_scc0 .LBB160_53
; %bb.54:                               ;   in Loop: Header=BB160_52 Depth=4
	s_add_co_i32 s35, s35, 1
	s_addk_co_i32 s36, 0xc0
	s_wait_alu 0xfffe
	s_cmp_eq_u32 s35, s3
	s_cbranch_scc0 .LBB160_52
.LBB160_55:                             ;   in Loop: Header=BB160_48 Depth=3
	s_mov_b32 s35, 0
	s_mov_b32 s36, s33
	s_branch .LBB160_57
.LBB160_56:                             ;   in Loop: Header=BB160_57 Depth=4
	s_add_co_i32 s37, s35, s3
	s_add_co_i32 s36, s36, 8
	s_wait_alu 0xfffe
	s_mul_i32 s38, s37, 0xc8
	v_mad_co_u64_u32 v[19:20], null, 0xc0, s37, v[1:2]
	s_wait_alu 0xfffe
	v_mov_b32_e32 v11, s38
	s_lshl_b32 s38, s35, 3
	s_add_co_i32 s35, s35, 1
	s_wait_alu 0xfffe
	s_cmp_eq_u32 s35, s21
	ds_load_b64 v[17:18], v11
	s_wait_loadcnt_dscnt 0x0
	v_mul_f32_e32 v21, v18, v10
	v_mul_f32_e32 v11, v17, v10
	s_delay_alu instid0(VALU_DEP_2) | instskip(NEXT) | instid1(VALU_DEP_2)
	v_fma_f32 v10, v17, v9, -v21
	v_fmac_f32_e32 v11, v18, v9
	scratch_store_b64 off, v[10:11], s38
	ds_store_b64 v19, v[10:11]
	s_cbranch_scc1 .LBB160_47
.LBB160_57:                             ;   Parent Loop BB160_3 Depth=1
                                        ;     Parent Loop BB160_45 Depth=2
                                        ;       Parent Loop BB160_48 Depth=3
                                        ; =>      This Loop Header: Depth=4
                                        ;           Child Loop BB160_59 Depth 5
	s_wait_alu 0xfffe
	s_cmp_lg_u32 s35, 0
	s_cbranch_scc0 .LBB160_61
; %bb.58:                               ;   in Loop: Header=BB160_57 Depth=4
	s_lshl_b32 s37, s35, 3
	s_mov_b32 s38, 0
	scratch_load_b64 v[9:10], off, s37
	s_mov_b32 s39, s36
	s_mov_b32 s40, s35
.LBB160_59:                             ;   Parent Loop BB160_3 Depth=1
                                        ;     Parent Loop BB160_45 Depth=2
                                        ;       Parent Loop BB160_48 Depth=3
                                        ;         Parent Loop BB160_57 Depth=4
                                        ; =>        This Inner Loop Header: Depth=5
	scratch_load_b64 v[17:18], off, s38
	s_wait_alu 0xfffe
	v_mov_b32_e32 v11, s39
	s_add_co_i32 s40, s40, -1
	s_addk_co_i32 s39, 0xc0
	s_add_co_i32 s38, s38, 8
	s_wait_alu 0xfffe
	s_cmp_eq_u32 s40, 0
	ds_load_b64 v[19:20], v11
	s_wait_loadcnt_dscnt 0x0
	v_mul_f32_e32 v11, v20, v18
	v_mul_f32_e32 v18, v19, v18
	s_delay_alu instid0(VALU_DEP_2) | instskip(NEXT) | instid1(VALU_DEP_1)
	v_fma_f32 v11, v19, v17, -v11
	v_dual_fmac_f32 v18, v20, v17 :: v_dual_sub_f32 v9, v9, v11
	s_delay_alu instid0(VALU_DEP_1)
	v_sub_f32_e32 v10, v10, v18
	scratch_store_b64 off, v[9:10], s37
	s_cbranch_scc0 .LBB160_59
; %bb.60:                               ;   in Loop: Header=BB160_57 Depth=4
	s_branch .LBB160_56
.LBB160_61:                             ;   in Loop: Header=BB160_57 Depth=4
                                        ; implicit-def: $vgpr9
	s_cbranch_execz .LBB160_56
; %bb.62:                               ;   in Loop: Header=BB160_57 Depth=4
	scratch_load_b64 v[9:10], off, off
	s_branch .LBB160_56
.LBB160_63:                             ;   in Loop: Header=BB160_3 Depth=1
	s_wait_storecnt 0x0
	; wave barrier
	s_wait_loadcnt_dscnt 0x0
	global_inv scope:SCOPE_SE
	s_and_saveexec_b32 s3, s27
	s_cbranch_execz .LBB160_2
; %bb.64:                               ;   in Loop: Header=BB160_3 Depth=1
	v_add_co_u32 v6, vcc_lo, v6, s6
	s_wait_alu 0xfffd
	v_add_co_ci_u32_e64 v7, null, s7, v7, vcc_lo
	v_mov_b32_e32 v8, v1
	s_delay_alu instid0(VALU_DEP_3) | instskip(SKIP_1) | instid1(VALU_DEP_3)
	v_add_co_u32 v6, vcc_lo, v6, s12
	s_wait_alu 0xfffd
	v_add_co_ci_u32_e64 v7, null, s13, v7, vcc_lo
	s_mov_b32 s14, s23
	v_add_co_u32 v6, vcc_lo, v6, v4
	s_wait_alu 0xfffd
	v_add_co_ci_u32_e64 v7, null, v7, v5, vcc_lo
.LBB160_65:                             ;   Parent Loop BB160_3 Depth=1
                                        ; =>  This Inner Loop Header: Depth=2
	ds_load_b64 v[9:10], v8
	v_add_nc_u32_e32 v8, 0xc0, v8
	s_add_co_i32 s14, s14, -1
	s_delay_alu instid0(SALU_CYCLE_1)
	s_cmp_lg_u32 s14, 0
	s_wait_dscnt 0x0
	flat_store_b64 v[6:7], v[9:10]
	v_add_co_u32 v6, vcc_lo, v6, 8
	s_wait_alu 0xfffd
	v_add_co_ci_u32_e64 v7, null, 0, v7, vcc_lo
	s_cbranch_scc1 .LBB160_65
	s_branch .LBB160_2
.LBB160_66:
	s_endpgm
	.section	.rodata,"a",@progbits
	.p2align	6, 0x0
	.amdhsa_kernel _ZL38rocblas_trsm_small_left_device_sharedBILi24ELi24ELb1E19rocblas_complex_numIfES1_PKPKS1_PKPS1_Ev13rocblas_fill_18rocblas_operation_17rocblas_diagonal_iiT3_T4_lilT5_lili
		.amdhsa_group_segment_fixed_size 9216
		.amdhsa_private_segment_fixed_size 208
		.amdhsa_kernarg_size 360
		.amdhsa_user_sgpr_count 2
		.amdhsa_user_sgpr_dispatch_ptr 0
		.amdhsa_user_sgpr_queue_ptr 0
		.amdhsa_user_sgpr_kernarg_segment_ptr 1
		.amdhsa_user_sgpr_dispatch_id 0
		.amdhsa_user_sgpr_private_segment_size 0
		.amdhsa_wavefront_size32 1
		.amdhsa_uses_dynamic_stack 0
		.amdhsa_enable_private_segment 1
		.amdhsa_system_sgpr_workgroup_id_x 1
		.amdhsa_system_sgpr_workgroup_id_y 0
		.amdhsa_system_sgpr_workgroup_id_z 1
		.amdhsa_system_sgpr_workgroup_info 0
		.amdhsa_system_vgpr_workitem_id 0
		.amdhsa_next_free_vgpr 241
		.amdhsa_next_free_sgpr 43
		.amdhsa_reserve_vcc 1
		.amdhsa_float_round_mode_32 0
		.amdhsa_float_round_mode_16_64 0
		.amdhsa_float_denorm_mode_32 3
		.amdhsa_float_denorm_mode_16_64 3
		.amdhsa_fp16_overflow 0
		.amdhsa_workgroup_processor_mode 1
		.amdhsa_memory_ordered 1
		.amdhsa_forward_progress 1
		.amdhsa_inst_pref_size 24
		.amdhsa_round_robin_scheduling 0
		.amdhsa_exception_fp_ieee_invalid_op 0
		.amdhsa_exception_fp_denorm_src 0
		.amdhsa_exception_fp_ieee_div_zero 0
		.amdhsa_exception_fp_ieee_overflow 0
		.amdhsa_exception_fp_ieee_underflow 0
		.amdhsa_exception_fp_ieee_inexact 0
		.amdhsa_exception_int_div_zero 0
	.end_amdhsa_kernel
	.section	.text._ZL38rocblas_trsm_small_left_device_sharedBILi24ELi24ELb1E19rocblas_complex_numIfES1_PKPKS1_PKPS1_Ev13rocblas_fill_18rocblas_operation_17rocblas_diagonal_iiT3_T4_lilT5_lili,"axG",@progbits,_ZL38rocblas_trsm_small_left_device_sharedBILi24ELi24ELb1E19rocblas_complex_numIfES1_PKPKS1_PKPS1_Ev13rocblas_fill_18rocblas_operation_17rocblas_diagonal_iiT3_T4_lilT5_lili,comdat
.Lfunc_end160:
	.size	_ZL38rocblas_trsm_small_left_device_sharedBILi24ELi24ELb1E19rocblas_complex_numIfES1_PKPKS1_PKPS1_Ev13rocblas_fill_18rocblas_operation_17rocblas_diagonal_iiT3_T4_lilT5_lili, .Lfunc_end160-_ZL38rocblas_trsm_small_left_device_sharedBILi24ELi24ELb1E19rocblas_complex_numIfES1_PKPKS1_PKPS1_Ev13rocblas_fill_18rocblas_operation_17rocblas_diagonal_iiT3_T4_lilT5_lili
                                        ; -- End function
	.set _ZL38rocblas_trsm_small_left_device_sharedBILi24ELi24ELb1E19rocblas_complex_numIfES1_PKPKS1_PKPS1_Ev13rocblas_fill_18rocblas_operation_17rocblas_diagonal_iiT3_T4_lilT5_lili.num_vgpr, 22
	.set _ZL38rocblas_trsm_small_left_device_sharedBILi24ELi24ELb1E19rocblas_complex_numIfES1_PKPKS1_PKPS1_Ev13rocblas_fill_18rocblas_operation_17rocblas_diagonal_iiT3_T4_lilT5_lili.num_agpr, 0
	.set _ZL38rocblas_trsm_small_left_device_sharedBILi24ELi24ELb1E19rocblas_complex_numIfES1_PKPKS1_PKPS1_Ev13rocblas_fill_18rocblas_operation_17rocblas_diagonal_iiT3_T4_lilT5_lili.numbered_sgpr, 43
	.set _ZL38rocblas_trsm_small_left_device_sharedBILi24ELi24ELb1E19rocblas_complex_numIfES1_PKPKS1_PKPS1_Ev13rocblas_fill_18rocblas_operation_17rocblas_diagonal_iiT3_T4_lilT5_lili.num_named_barrier, 0
	.set _ZL38rocblas_trsm_small_left_device_sharedBILi24ELi24ELb1E19rocblas_complex_numIfES1_PKPKS1_PKPS1_Ev13rocblas_fill_18rocblas_operation_17rocblas_diagonal_iiT3_T4_lilT5_lili.private_seg_size, 208
	.set _ZL38rocblas_trsm_small_left_device_sharedBILi24ELi24ELb1E19rocblas_complex_numIfES1_PKPKS1_PKPS1_Ev13rocblas_fill_18rocblas_operation_17rocblas_diagonal_iiT3_T4_lilT5_lili.uses_vcc, 1
	.set _ZL38rocblas_trsm_small_left_device_sharedBILi24ELi24ELb1E19rocblas_complex_numIfES1_PKPKS1_PKPS1_Ev13rocblas_fill_18rocblas_operation_17rocblas_diagonal_iiT3_T4_lilT5_lili.uses_flat_scratch, 0
	.set _ZL38rocblas_trsm_small_left_device_sharedBILi24ELi24ELb1E19rocblas_complex_numIfES1_PKPKS1_PKPS1_Ev13rocblas_fill_18rocblas_operation_17rocblas_diagonal_iiT3_T4_lilT5_lili.has_dyn_sized_stack, 0
	.set _ZL38rocblas_trsm_small_left_device_sharedBILi24ELi24ELb1E19rocblas_complex_numIfES1_PKPKS1_PKPS1_Ev13rocblas_fill_18rocblas_operation_17rocblas_diagonal_iiT3_T4_lilT5_lili.has_recursion, 0
	.set _ZL38rocblas_trsm_small_left_device_sharedBILi24ELi24ELb1E19rocblas_complex_numIfES1_PKPKS1_PKPS1_Ev13rocblas_fill_18rocblas_operation_17rocblas_diagonal_iiT3_T4_lilT5_lili.has_indirect_call, 0
	.section	.AMDGPU.csdata,"",@progbits
; Kernel info:
; codeLenInByte = 3072
; TotalNumSgprs: 45
; NumVgprs: 22
; ScratchSize: 208
; MemoryBound: 0
; FloatMode: 240
; IeeeMode: 1
; LDSByteSize: 9216 bytes/workgroup (compile time only)
; SGPRBlocks: 0
; VGPRBlocks: 30
; NumSGPRsForWavesPerEU: 45
; NumVGPRsForWavesPerEU: 241
; Occupancy: 4
; WaveLimiterHint : 0
; COMPUTE_PGM_RSRC2:SCRATCH_EN: 1
; COMPUTE_PGM_RSRC2:USER_SGPR: 2
; COMPUTE_PGM_RSRC2:TRAP_HANDLER: 0
; COMPUTE_PGM_RSRC2:TGID_X_EN: 1
; COMPUTE_PGM_RSRC2:TGID_Y_EN: 0
; COMPUTE_PGM_RSRC2:TGID_Z_EN: 1
; COMPUTE_PGM_RSRC2:TIDIG_COMP_CNT: 0
	.section	.text._ZL30rocblas_trsm_small_left_deviceILi24ELi24ELb1E19rocblas_complex_numIfES1_PKPKS1_PKPS1_Ev13rocblas_fill_18rocblas_operation_17rocblas_diagonal_iiT3_T4_lilT5_lili,"axG",@progbits,_ZL30rocblas_trsm_small_left_deviceILi24ELi24ELb1E19rocblas_complex_numIfES1_PKPKS1_PKPS1_Ev13rocblas_fill_18rocblas_operation_17rocblas_diagonal_iiT3_T4_lilT5_lili,comdat
	.globl	_ZL30rocblas_trsm_small_left_deviceILi24ELi24ELb1E19rocblas_complex_numIfES1_PKPKS1_PKPS1_Ev13rocblas_fill_18rocblas_operation_17rocblas_diagonal_iiT3_T4_lilT5_lili ; -- Begin function _ZL30rocblas_trsm_small_left_deviceILi24ELi24ELb1E19rocblas_complex_numIfES1_PKPKS1_PKPS1_Ev13rocblas_fill_18rocblas_operation_17rocblas_diagonal_iiT3_T4_lilT5_lili
	.p2align	8
	.type	_ZL30rocblas_trsm_small_left_deviceILi24ELi24ELb1E19rocblas_complex_numIfES1_PKPKS1_PKPS1_Ev13rocblas_fill_18rocblas_operation_17rocblas_diagonal_iiT3_T4_lilT5_lili,@function
_ZL30rocblas_trsm_small_left_deviceILi24ELi24ELb1E19rocblas_complex_numIfES1_PKPKS1_PKPS1_Ev13rocblas_fill_18rocblas_operation_17rocblas_diagonal_iiT3_T4_lilT5_lili: ; @_ZL30rocblas_trsm_small_left_deviceILi24ELi24ELb1E19rocblas_complex_numIfES1_PKPKS1_PKPS1_Ev13rocblas_fill_18rocblas_operation_17rocblas_diagonal_iiT3_T4_lilT5_lili
; %bb.0:
	s_load_b32 s24, s[0:1], 0x60
	s_lshr_b32 s2, ttmp7, 16
	s_wait_kmcnt 0x0
	s_cmp_ge_u32 s2, s24
	s_cbranch_scc1 .LBB161_63
; %bb.1:
	s_clause 0x6
	s_load_b32 s18, s[0:1], 0x30
	s_load_b128 s[12:15], s[0:1], 0x4
	s_load_b32 s3, s[0:1], 0x50
	s_load_b32 s20, s[0:1], 0x68
	s_load_b128 s[4:7], s[0:1], 0x20
	s_load_b128 s[8:11], s[0:1], 0x40
	s_load_b64 s[16:17], s[0:1], 0x14
	v_mad_co_u64_u32 v[2:3], null, ttmp9, 24, v[0:1]
	s_mul_i32 s0, ttmp9, 0xffffffe8
	v_dual_mov_b32 v1, 0 :: v_dual_lshlrev_b32 v10, 3, v0
	v_mul_u32_u24_e32 v4, 0xc0, v0
	s_mov_b32 s33, 0
                                        ; implicit-def: $sgpr34
                                        ; implicit-def: $sgpr35
	s_delay_alu instid0(VALU_DEP_1)
	v_add_nc_u32_e32 v15, v10, v4
	s_wait_kmcnt 0x0
	s_ashr_i32 s19, s18, 31
	s_cmp_lg_u32 s12, 0x71
	v_mad_co_i64_i32 v[2:3], null, s3, v2, 0
	s_cselect_b32 s25, -1, 0
	s_min_i32 s26, s14, 24
	s_add_co_i32 s20, s20, -1
	s_wait_alu 0xfffe
	s_add_co_i32 s1, s15, s0
	s_add_co_i32 s27, s26, -1
	s_cmp_ge_u32 ttmp9, s20
	v_lshlrev_b64_e32 v[2:3], 3, v[2:3]
	s_wait_alu 0xfffe
	s_cselect_b32 s1, s1, 24
	s_cmp_lg_u32 s13, 0x84
	v_cmp_gt_i32_e64 s0, s26, v0
	s_cselect_b32 s28, -1, 0
	s_cmp_lg_u32 s12, 0x6f
	s_wait_alu 0xfffe
	v_cmp_gt_i32_e64 s1, s1, v0
	s_cselect_b32 s29, -1, 0
	s_lshl_b64 s[6:7], s[6:7], 3
	s_lshl_b32 s31, s26, 3
	v_add_co_u32 v0, s3, s6, v10
	s_wait_alu 0xf1ff
	v_add_co_ci_u32_e64 v11, null, s7, 0, s3
	s_lshl_b64 s[6:7], s[10:11], 3
	v_or_b32_e32 v12, 4, v0
	s_wait_alu 0xfffe
	v_add_co_u32 v5, vcc_lo, v2, s6
	s_delay_alu instid0(VALU_DEP_1) | instskip(SKIP_1) | instid1(VALU_DEP_3)
	v_add_co_ci_u32_e64 v13, null, s7, v3, vcc_lo
	v_mov_b32_e32 v0, 1.0
	v_or_b32_e32 v14, 4, v5
	s_or_b32 s30, 0, 4
	s_lshl_b64 s[10:11], s[18:19], 3
	s_add_co_i32 s31, s31, -8
	s_mov_b32 s13, 0
	s_branch .LBB161_4
.LBB161_2:                              ;   in Loop: Header=BB161_4 Depth=1
	s_add_co_i32 s2, s2, 0x10000
	s_wait_alu 0xfffe
	s_cmp_ge_u32 s2, s24
	s_cselect_b32 s12, -1, 0
	s_and_not1_b32 s35, s35, exec_lo
	s_or_not1_b32 s12, s12, exec_lo
.LBB161_3:                              ;   in Loop: Header=BB161_4 Depth=1
	s_wait_alu 0xfffe
	s_or_b32 exec_lo, exec_lo, s3
	s_delay_alu instid0(SALU_CYCLE_1)
	s_and_b32 s3, exec_lo, s12
	s_wait_alu 0xfffe
	s_or_b32 s33, s3, s33
	s_and_not1_b32 s3, s34, exec_lo
	s_and_b32 s12, s35, exec_lo
	s_wait_alu 0xfffe
	s_or_b32 s34, s3, s12
	s_and_not1_b32 exec_lo, exec_lo, s33
	s_cbranch_execz .LBB161_62
.LBB161_4:                              ; =>This Loop Header: Depth=1
                                        ;     Child Loop BB161_7 Depth 2
                                        ;     Child Loop BB161_23 Depth 2
                                        ;       Child Loop BB161_26 Depth 3
                                        ;         Child Loop BB161_27 Depth 4
                                        ;         Child Loop BB161_29 Depth 4
                                        ;           Child Loop BB161_30 Depth 5
                                        ;         Child Loop BB161_34 Depth 4
                                        ;           Child Loop BB161_36 Depth 5
                                        ;     Child Loop BB161_44 Depth 2
                                        ;       Child Loop BB161_47 Depth 3
                                        ;         Child Loop BB161_48 Depth 4
                                        ;         Child Loop BB161_51 Depth 4
                                        ;           Child Loop BB161_52 Depth 5
                                        ;         Child Loop BB161_56 Depth 4
                                        ;           Child Loop BB161_58 Depth 5
	s_mov_b32 s3, s13
	s_wait_alu 0xfffe
	s_lshl_b64 s[14:15], s[2:3], 3
	s_delay_alu instid0(SALU_CYCLE_1)
	s_add_nc_u64 s[18:19], s[8:9], s[14:15]
	global_load_b64 v[4:5], v1, s[18:19]
	s_and_saveexec_b32 s3, s0
	s_cbranch_execz .LBB161_19
; %bb.5:                                ;   in Loop: Header=BB161_4 Depth=1
	s_add_nc_u64 s[14:15], s[4:5], s[14:15]
	v_mov_b32_e32 v16, v10
	global_load_b64 v[6:7], v1, s[14:15]
	s_mov_b32 s12, s26
	s_wait_loadcnt 0x0
	v_add_co_u32 v6, vcc_lo, v6, v12
	s_wait_alu 0xfffd
	v_add_co_ci_u32_e64 v7, null, v7, v11, vcc_lo
	s_branch .LBB161_7
.LBB161_6:                              ;   in Loop: Header=BB161_7 Depth=2
	flat_load_b32 v8, v[6:7] offset:-4
	v_add_co_u32 v6, vcc_lo, v6, s10
	s_wait_alu 0xfffd
	v_add_co_ci_u32_e64 v7, null, s11, v7, vcc_lo
	s_add_co_i32 s12, s12, -1
	s_delay_alu instid0(SALU_CYCLE_1)
	s_cmp_eq_u32 s12, 0
	s_wait_loadcnt_dscnt 0x0
	ds_store_b64 v16, v[8:9]
	v_add_nc_u32_e32 v16, 0xc0, v16
	s_cbranch_scc1 .LBB161_11
.LBB161_7:                              ;   Parent Loop BB161_4 Depth=1
                                        ; =>  This Inner Loop Header: Depth=2
	s_and_b32 vcc_lo, exec_lo, s25
	s_mov_b32 s14, -1
                                        ; implicit-def: $vgpr9
	s_wait_alu 0xfffe
	s_cbranch_vccz .LBB161_9
; %bb.8:                                ;   in Loop: Header=BB161_7 Depth=2
	flat_load_b32 v9, v[6:7]
	s_mov_b32 s14, 0
.LBB161_9:                              ;   in Loop: Header=BB161_7 Depth=2
	s_delay_alu instid0(SALU_CYCLE_1)
	s_and_not1_b32 vcc_lo, exec_lo, s14
	s_wait_alu 0xfffe
	s_cbranch_vccnz .LBB161_6
; %bb.10:                               ;   in Loop: Header=BB161_7 Depth=2
	flat_load_b32 v8, v[6:7]
	s_wait_loadcnt_dscnt 0x0
	v_xor_b32_e32 v9, 0x80000000, v8
	s_branch .LBB161_6
.LBB161_11:                             ;   in Loop: Header=BB161_4 Depth=1
	s_and_b32 vcc_lo, exec_lo, s28
	s_mov_b32 s12, -1
	s_wait_alu 0xfffe
	s_cbranch_vccz .LBB161_17
; %bb.12:                               ;   in Loop: Header=BB161_4 Depth=1
	ds_load_b64 v[6:7], v15
                                        ; implicit-def: $vgpr8
	s_wait_dscnt 0x0
	v_cmp_ngt_f32_e64 s12, |v6|, |v7|
	s_and_saveexec_b32 s14, s12
	s_delay_alu instid0(SALU_CYCLE_1)
	s_xor_b32 s12, exec_lo, s14
	s_cbranch_execz .LBB161_14
; %bb.13:                               ;   in Loop: Header=BB161_4 Depth=1
	v_div_scale_f32 v8, null, v7, v7, v6
	v_div_scale_f32 v17, vcc_lo, v6, v7, v6
	s_delay_alu instid0(VALU_DEP_2) | instskip(NEXT) | instid1(TRANS32_DEP_1)
	v_rcp_f32_e32 v9, v8
	v_fma_f32 v16, -v8, v9, 1.0
	s_delay_alu instid0(VALU_DEP_1) | instskip(NEXT) | instid1(VALU_DEP_1)
	v_fmac_f32_e32 v9, v16, v9
	v_mul_f32_e32 v16, v17, v9
	s_delay_alu instid0(VALU_DEP_1) | instskip(NEXT) | instid1(VALU_DEP_1)
	v_fma_f32 v18, -v8, v16, v17
	v_fmac_f32_e32 v16, v18, v9
	s_delay_alu instid0(VALU_DEP_1) | instskip(SKIP_1) | instid1(VALU_DEP_1)
	v_fma_f32 v8, -v8, v16, v17
	s_wait_alu 0xfffd
	v_div_fmas_f32 v8, v8, v9, v16
	s_delay_alu instid0(VALU_DEP_1) | instskip(NEXT) | instid1(VALU_DEP_1)
	v_div_fixup_f32 v8, v8, v7, v6
	v_fmac_f32_e32 v7, v6, v8
	s_delay_alu instid0(VALU_DEP_1) | instskip(SKIP_1) | instid1(VALU_DEP_2)
	v_div_scale_f32 v6, null, v7, v7, 1.0
	v_div_scale_f32 v17, vcc_lo, 1.0, v7, 1.0
	v_rcp_f32_e32 v9, v6
	s_delay_alu instid0(TRANS32_DEP_1) | instskip(NEXT) | instid1(VALU_DEP_1)
	v_fma_f32 v16, -v6, v9, 1.0
	v_fmac_f32_e32 v9, v16, v9
	s_delay_alu instid0(VALU_DEP_1) | instskip(NEXT) | instid1(VALU_DEP_1)
	v_mul_f32_e32 v16, v17, v9
	v_fma_f32 v18, -v6, v16, v17
	s_delay_alu instid0(VALU_DEP_1) | instskip(NEXT) | instid1(VALU_DEP_1)
	v_fmac_f32_e32 v16, v18, v9
	v_fma_f32 v6, -v6, v16, v17
	s_wait_alu 0xfffd
	s_delay_alu instid0(VALU_DEP_1) | instskip(SKIP_1) | instid1(VALU_DEP_2)
	v_div_fmas_f32 v6, v6, v9, v16
	v_add_f32_e32 v9, 0, v8
	v_div_fixup_f32 v6, v6, v7, 1.0
	v_fma_f32 v7, v8, 0, -1.0
	s_delay_alu instid0(VALU_DEP_2) | instskip(NEXT) | instid1(VALU_DEP_2)
	v_mul_f32_e32 v8, v9, v6
	v_mul_f32_e32 v9, v7, v6
                                        ; implicit-def: $vgpr6_vgpr7
.LBB161_14:                             ;   in Loop: Header=BB161_4 Depth=1
	s_and_not1_saveexec_b32 s12, s12
	s_cbranch_execz .LBB161_16
; %bb.15:                               ;   in Loop: Header=BB161_4 Depth=1
	v_div_scale_f32 v8, null, v6, v6, v7
	v_div_scale_f32 v17, vcc_lo, v7, v6, v7
	s_delay_alu instid0(VALU_DEP_2) | instskip(NEXT) | instid1(TRANS32_DEP_1)
	v_rcp_f32_e32 v9, v8
	v_fma_f32 v16, -v8, v9, 1.0
	s_delay_alu instid0(VALU_DEP_1) | instskip(NEXT) | instid1(VALU_DEP_1)
	v_fmac_f32_e32 v9, v16, v9
	v_mul_f32_e32 v16, v17, v9
	s_delay_alu instid0(VALU_DEP_1) | instskip(NEXT) | instid1(VALU_DEP_1)
	v_fma_f32 v18, -v8, v16, v17
	v_fmac_f32_e32 v16, v18, v9
	s_delay_alu instid0(VALU_DEP_1) | instskip(SKIP_1) | instid1(VALU_DEP_1)
	v_fma_f32 v8, -v8, v16, v17
	s_wait_alu 0xfffd
	v_div_fmas_f32 v8, v8, v9, v16
	s_delay_alu instid0(VALU_DEP_1) | instskip(NEXT) | instid1(VALU_DEP_1)
	v_div_fixup_f32 v9, v8, v6, v7
	v_fmac_f32_e32 v6, v7, v9
	s_delay_alu instid0(VALU_DEP_1) | instskip(SKIP_1) | instid1(VALU_DEP_2)
	v_div_scale_f32 v7, null, v6, v6, 1.0
	v_div_scale_f32 v17, vcc_lo, 1.0, v6, 1.0
	v_rcp_f32_e32 v8, v7
	s_delay_alu instid0(TRANS32_DEP_1) | instskip(NEXT) | instid1(VALU_DEP_1)
	v_fma_f32 v16, -v7, v8, 1.0
	v_fmac_f32_e32 v8, v16, v8
	s_delay_alu instid0(VALU_DEP_1) | instskip(NEXT) | instid1(VALU_DEP_1)
	v_mul_f32_e32 v16, v17, v8
	v_fma_f32 v18, -v7, v16, v17
	s_delay_alu instid0(VALU_DEP_1) | instskip(NEXT) | instid1(VALU_DEP_1)
	v_fmac_f32_e32 v16, v18, v8
	v_fma_f32 v7, -v7, v16, v17
	s_wait_alu 0xfffd
	s_delay_alu instid0(VALU_DEP_1) | instskip(SKIP_1) | instid1(VALU_DEP_2)
	v_div_fmas_f32 v7, v7, v8, v16
	v_fma_f32 v8, v9, 0, 1.0
	v_div_fixup_f32 v6, v7, v6, 1.0
	s_delay_alu instid0(VALU_DEP_1)
	v_mul_f32_e32 v8, v8, v6
	v_mul_f32_e64 v9, -v9, v6
.LBB161_16:                             ;   in Loop: Header=BB161_4 Depth=1
	s_or_b32 exec_lo, exec_lo, s12
	s_mov_b32 s12, 0
	ds_store_b64 v15, v[8:9]
.LBB161_17:                             ;   in Loop: Header=BB161_4 Depth=1
	s_and_b32 vcc_lo, exec_lo, s12
	s_wait_alu 0xfffe
	s_cbranch_vccz .LBB161_19
; %bb.18:                               ;   in Loop: Header=BB161_4 Depth=1
	ds_store_b64 v15, v[0:1]
.LBB161_19:                             ;   in Loop: Header=BB161_4 Depth=1
	s_wait_alu 0xfffe
	s_or_b32 exec_lo, exec_lo, s3
	s_mov_b32 s12, -1
	s_or_b32 s35, s35, exec_lo
	; wave barrier
	s_wait_loadcnt_dscnt 0x0
	global_inv scope:SCOPE_SE
	s_and_saveexec_b32 s3, s1
	s_cbranch_execz .LBB161_3
; %bb.20:                               ;   in Loop: Header=BB161_4 Depth=1
	v_add_co_u32 v6, vcc_lo, v4, s6
	s_wait_alu 0xfffd
	v_add_co_ci_u32_e64 v7, null, s7, v5, vcc_lo
	s_delay_alu instid0(VALU_DEP_2) | instskip(SKIP_1) | instid1(VALU_DEP_2)
	v_add_co_u32 v8, vcc_lo, v6, v2
	s_wait_alu 0xfffd
	v_add_co_ci_u32_e64 v9, null, v7, v3, vcc_lo
	s_and_not1_b32 vcc_lo, exec_lo, s29
	s_wait_alu 0xfffe
	s_cbranch_vccnz .LBB161_41
; %bb.21:                               ;   in Loop: Header=BB161_4 Depth=1
	v_add_co_u32 v16, vcc_lo, v4, v14
	s_wait_alu 0xfffd
	v_add_co_ci_u32_e64 v17, null, v5, v13, vcc_lo
	s_mov_b32 s12, 0
	s_mov_b32 s14, s27
	s_branch .LBB161_23
.LBB161_22:                             ;   in Loop: Header=BB161_23 Depth=2
	s_cmp_gt_i32 s14, -1
	s_cselect_b32 s15, -1, 0
	s_add_co_i32 s18, s12, 1
	s_cmp_lt_u32 s12, 2
	s_cselect_b32 s12, -1, 0
	s_delay_alu instid0(SALU_CYCLE_1) | instskip(NEXT) | instid1(SALU_CYCLE_1)
	s_and_b32 s12, s15, s12
	s_and_b32 vcc_lo, exec_lo, s12
	s_wait_alu 0xfffe
	s_mov_b32 s12, s18
	s_cbranch_vccz .LBB161_40
.LBB161_23:                             ;   Parent Loop BB161_4 Depth=1
                                        ; =>  This Loop Header: Depth=2
                                        ;       Child Loop BB161_26 Depth 3
                                        ;         Child Loop BB161_27 Depth 4
                                        ;         Child Loop BB161_29 Depth 4
                                        ;           Child Loop BB161_30 Depth 5
                                        ;         Child Loop BB161_34 Depth 4
                                        ;           Child Loop BB161_36 Depth 5
	s_getpc_b64 s[18:19]
	s_wait_alu 0xfffe
	s_sext_i32_i16 s19, s19
	s_add_co_u32 s18, s18, __const._ZL30rocblas_trsm_small_left_deviceILi24ELi24ELb1E19rocblas_complex_numIfES1_PKPKS1_PKPS1_Ev13rocblas_fill_18rocblas_operation_17rocblas_diagonal_iiT3_T4_lilT5_lili.step_sizes@rel32@lo+12
	s_wait_alu 0xfffe
	s_add_co_ci_u32 s19, s19, __const._ZL30rocblas_trsm_small_left_deviceILi24ELi24ELb1E19rocblas_complex_numIfES1_PKPKS1_PKPS1_Ev13rocblas_fill_18rocblas_operation_17rocblas_diagonal_iiT3_T4_lilT5_lili.step_sizes@rel32@hi+24
	s_lshl_b64 s[20:21], s[12:13], 2
	s_wait_alu 0xfffe
	s_add_nc_u64 s[18:19], s[18:19], s[20:21]
	s_load_b32 s22, s[18:19], 0x0
	s_wait_kmcnt 0x0
	s_add_co_i32 s23, s22, -1
	s_wait_alu 0xfffe
	s_cmp_lt_i32 s14, s23
	s_cbranch_scc1 .LBB161_22
; %bb.24:                               ;   in Loop: Header=BB161_23 Depth=2
	s_mul_i32 s15, s14, 0xc0
	s_max_i32 s36, s22, 1
	s_add_co_i32 s37, s31, s15
	s_mul_i32 s38, s22, 0xffffff40
	s_mul_i32 s39, s14, 0xc8
	;; [unrolled: 1-line block ×3, first 2 shown]
	s_branch .LBB161_26
.LBB161_25:                             ;   in Loop: Header=BB161_26 Depth=3
	s_sub_co_i32 s14, s14, s22
	s_add_co_i32 s37, s37, s38
	s_add_co_i32 s39, s39, s40
	s_cmp_lt_i32 s14, s23
	s_cbranch_scc1 .LBB161_22
.LBB161_26:                             ;   Parent Loop BB161_4 Depth=1
                                        ;     Parent Loop BB161_23 Depth=2
                                        ; =>    This Loop Header: Depth=3
                                        ;         Child Loop BB161_27 Depth 4
                                        ;         Child Loop BB161_29 Depth 4
                                        ;           Child Loop BB161_30 Depth 5
                                        ;         Child Loop BB161_34 Depth 4
                                        ;           Child Loop BB161_36 Depth 5
	s_ashr_i32 s15, s14, 31
	s_delay_alu instid0(SALU_CYCLE_1)
	s_lshl_b64 s[18:19], s[14:15], 3
	s_wait_alu 0xfffe
	v_add_co_u32 v6, vcc_lo, v16, s18
	s_wait_alu 0xfffd
	v_add_co_ci_u32_e64 v7, null, s19, v17, vcc_lo
	s_mov_b32 s18, 4
	s_mov_b32 s19, s36
.LBB161_27:                             ;   Parent Loop BB161_4 Depth=1
                                        ;     Parent Loop BB161_23 Depth=2
                                        ;       Parent Loop BB161_26 Depth=3
                                        ; =>      This Inner Loop Header: Depth=4
	flat_load_b64 v[18:19], v[6:7] offset:-4
	v_add_co_u32 v6, vcc_lo, v6, -8
	s_wait_alu 0xfffd
	v_add_co_ci_u32_e64 v7, null, -1, v7, vcc_lo
	s_wait_alu 0xfffe
	s_add_co_i32 s19, s19, -1
	s_mov_b32 s20, s18
	s_add_co_i32 s18, s18, 8
	s_wait_alu 0xfffe
	s_cmp_eq_u32 s19, 0
	s_wait_loadcnt_dscnt 0x0
	v_mul_f32_e32 v20, s16, v19
	s_delay_alu instid0(VALU_DEP_1) | instskip(NEXT) | instid1(VALU_DEP_1)
	v_dual_mul_f32 v21, s17, v19 :: v_dual_fmac_f32 v20, s17, v18
	v_fma_f32 v19, v18, s16, -v21
	scratch_store_b64 off, v[19:20], s20 offset:-4
	s_cbranch_scc0 .LBB161_27
; %bb.28:                               ;   in Loop: Header=BB161_26 Depth=3
	s_cmp_le_i32 s27, s14
	s_mov_b32 s20, s37
	s_mov_b32 s18, s27
	s_cbranch_scc1 .LBB161_32
.LBB161_29:                             ;   Parent Loop BB161_4 Depth=1
                                        ;     Parent Loop BB161_23 Depth=2
                                        ;       Parent Loop BB161_26 Depth=3
                                        ; =>      This Loop Header: Depth=4
                                        ;           Child Loop BB161_30 Depth 5
	s_wait_alu 0xfffe
	s_ashr_i32 s19, s18, 31
	s_mov_b32 s21, s20
	s_wait_alu 0xfffe
	s_lshl_b64 s[42:43], s[18:19], 3
	s_mov_b32 s19, s30
	s_wait_alu 0xfffe
	v_add_co_u32 v6, vcc_lo, v8, s42
	s_wait_alu 0xfffd
	v_add_co_ci_u32_e64 v7, null, s43, v9, vcc_lo
	s_mov_b32 s41, s36
	flat_load_b64 v[6:7], v[6:7]
.LBB161_30:                             ;   Parent Loop BB161_4 Depth=1
                                        ;     Parent Loop BB161_23 Depth=2
                                        ;       Parent Loop BB161_26 Depth=3
                                        ;         Parent Loop BB161_29 Depth=4
                                        ; =>        This Inner Loop Header: Depth=5
	scratch_load_b64 v[18:19], off, s19 offset:-4
	v_mov_b32_e32 v20, s21
	s_wait_alu 0xfffe
	s_add_co_i32 s41, s41, -1
	s_addk_co_i32 s21, 0xff40
	ds_load_b64 v[20:21], v20
	s_wait_loadcnt_dscnt 0x100
	v_mul_f32_e32 v22, v21, v7
	v_mul_f32_e32 v21, v21, v6
	s_delay_alu instid0(VALU_DEP_1) | instskip(SKIP_1) | instid1(VALU_DEP_1)
	v_fmac_f32_e32 v21, v20, v7
	s_wait_loadcnt 0x0
	v_sub_f32_e32 v19, v19, v21
	v_fma_f32 v22, v20, v6, -v22
	s_delay_alu instid0(VALU_DEP_1)
	v_sub_f32_e32 v18, v18, v22
	scratch_store_b64 off, v[18:19], s19 offset:-4
	s_add_co_i32 s19, s19, 8
	s_wait_alu 0xfffe
	s_cmp_eq_u32 s41, 0
	s_cbranch_scc0 .LBB161_30
; %bb.31:                               ;   in Loop: Header=BB161_29 Depth=4
	s_add_co_i32 s18, s18, -1
	s_add_co_i32 s20, s20, -8
	s_wait_alu 0xfffe
	s_cmp_le_i32 s18, s14
	s_cbranch_scc0 .LBB161_29
.LBB161_32:                             ;   in Loop: Header=BB161_26 Depth=3
	s_mov_b32 s41, 0
	s_mov_b32 s42, s39
	s_branch .LBB161_34
.LBB161_33:                             ;   in Loop: Header=BB161_34 Depth=4
	s_wait_alu 0xfffe
	s_mulk_i32 s20, 0xc8
	s_lshl_b64 s[18:19], s[18:19], 3
	s_wait_alu 0xfffe
	v_mov_b32_e32 v18, s20
	s_lshl_b32 s20, s41, 3
	s_add_co_i32 s41, s41, 1
	s_addk_co_i32 s42, 0xff40
	s_wait_alu 0xfffe
	s_cmp_eq_u32 s41, s36
	ds_load_b64 v[18:19], v18
	s_wait_loadcnt_dscnt 0x0
	v_mul_f32_e32 v20, v19, v7
	v_mul_f32_e32 v21, v18, v7
	s_delay_alu instid0(VALU_DEP_2) | instskip(NEXT) | instid1(VALU_DEP_2)
	v_fma_f32 v20, v18, v6, -v20
	v_fmac_f32_e32 v21, v19, v6
	v_add_co_u32 v6, vcc_lo, v8, s18
	s_wait_alu 0xfffd
	v_add_co_ci_u32_e64 v7, null, s19, v9, vcc_lo
	scratch_store_b64 off, v[20:21], s20
	flat_store_b64 v[6:7], v[20:21]
	s_cbranch_scc1 .LBB161_25
.LBB161_34:                             ;   Parent Loop BB161_4 Depth=1
                                        ;     Parent Loop BB161_23 Depth=2
                                        ;       Parent Loop BB161_26 Depth=3
                                        ; =>      This Loop Header: Depth=4
                                        ;           Child Loop BB161_36 Depth 5
	s_wait_alu 0xfffe
	s_cmp_lg_u32 s41, 0
	s_cbranch_scc0 .LBB161_38
; %bb.35:                               ;   in Loop: Header=BB161_34 Depth=4
	s_lshl_b32 s18, s41, 3
	s_mov_b32 s19, 0
	scratch_load_b64 v[6:7], off, s18
	s_mov_b32 s20, s42
	s_mov_b32 s21, s41
.LBB161_36:                             ;   Parent Loop BB161_4 Depth=1
                                        ;     Parent Loop BB161_23 Depth=2
                                        ;       Parent Loop BB161_26 Depth=3
                                        ;         Parent Loop BB161_34 Depth=4
                                        ; =>        This Inner Loop Header: Depth=5
	scratch_load_b64 v[18:19], off, s19
	s_wait_alu 0xfffe
	v_mov_b32_e32 v20, s20
	s_add_co_i32 s21, s21, -1
	s_add_co_i32 s20, s20, -8
	s_add_co_i32 s19, s19, 8
	s_wait_alu 0xfffe
	s_cmp_eq_u32 s21, 0
	ds_load_b64 v[20:21], v20
	s_wait_loadcnt_dscnt 0x0
	v_mul_f32_e32 v22, v21, v19
	v_mul_f32_e32 v19, v20, v19
	s_delay_alu instid0(VALU_DEP_2) | instskip(NEXT) | instid1(VALU_DEP_1)
	v_fma_f32 v20, v20, v18, -v22
	v_dual_sub_f32 v6, v6, v20 :: v_dual_fmac_f32 v19, v21, v18
	s_delay_alu instid0(VALU_DEP_1)
	v_sub_f32_e32 v7, v7, v19
	scratch_store_b64 off, v[6:7], s18
	s_cbranch_scc0 .LBB161_36
; %bb.37:                               ;   in Loop: Header=BB161_34 Depth=4
	s_sub_co_i32 s20, s14, s41
	s_wait_alu 0xfffe
	s_ashr_i32 s21, s20, 31
	s_wait_alu 0xfffe
	s_mov_b64 s[18:19], s[20:21]
	s_branch .LBB161_33
.LBB161_38:                             ;   in Loop: Header=BB161_34 Depth=4
                                        ; implicit-def: $vgpr6
                                        ; implicit-def: $sgpr20
                                        ; implicit-def: $sgpr18_sgpr19
	s_cbranch_execz .LBB161_33
; %bb.39:                               ;   in Loop: Header=BB161_34 Depth=4
	scratch_load_b64 v[6:7], off, off
	s_mov_b64 s[18:19], s[14:15]
	s_mov_b32 s20, s14
	s_branch .LBB161_33
.LBB161_40:                             ;   in Loop: Header=BB161_4 Depth=1
	s_mov_b32 s12, 0
.LBB161_41:                             ;   in Loop: Header=BB161_4 Depth=1
	s_delay_alu instid0(SALU_CYCLE_1)
	s_and_b32 vcc_lo, exec_lo, s12
	s_wait_alu 0xfffe
	s_cbranch_vccz .LBB161_2
; %bb.42:                               ;   in Loop: Header=BB161_4 Depth=1
	v_add_co_u32 v16, vcc_lo, v4, v14
	s_wait_alu 0xfffd
	v_add_co_ci_u32_e64 v17, null, v5, v13, vcc_lo
	s_mov_b32 s14, 0
	s_mov_b32 s18, 0
	s_branch .LBB161_44
.LBB161_43:                             ;   in Loop: Header=BB161_44 Depth=2
	s_cmp_lt_i32 s14, s26
	s_cselect_b32 s12, -1, 0
	s_add_co_i32 s15, s18, 1
	s_cmp_lt_u32 s18, 2
	s_cselect_b32 s18, -1, 0
	s_wait_alu 0xfffe
	s_and_b32 s12, s12, s18
	s_mov_b32 s18, s15
	s_and_not1_b32 vcc_lo, exec_lo, s12
	s_wait_alu 0xfffe
	s_cbranch_vccnz .LBB161_2
.LBB161_44:                             ;   Parent Loop BB161_4 Depth=1
                                        ; =>  This Loop Header: Depth=2
                                        ;       Child Loop BB161_47 Depth 3
                                        ;         Child Loop BB161_48 Depth 4
                                        ;         Child Loop BB161_51 Depth 4
                                        ;           Child Loop BB161_52 Depth 5
                                        ;         Child Loop BB161_56 Depth 4
                                        ;           Child Loop BB161_58 Depth 5
	s_mov_b32 s19, s13
	s_getpc_b64 s[20:21]
	s_wait_alu 0xfffe
	s_sext_i32_i16 s21, s21
	s_add_co_u32 s20, s20, __const._ZL30rocblas_trsm_small_left_deviceILi24ELi24ELb1E19rocblas_complex_numIfES1_PKPKS1_PKPS1_Ev13rocblas_fill_18rocblas_operation_17rocblas_diagonal_iiT3_T4_lilT5_lili.step_sizes@rel32@lo+12
	s_wait_alu 0xfffe
	s_add_co_ci_u32 s21, s21, __const._ZL30rocblas_trsm_small_left_deviceILi24ELi24ELb1E19rocblas_complex_numIfES1_PKPKS1_PKPS1_Ev13rocblas_fill_18rocblas_operation_17rocblas_diagonal_iiT3_T4_lilT5_lili.step_sizes@rel32@hi+24
	s_lshl_b64 s[22:23], s[18:19], 2
	s_wait_alu 0xfffe
	s_add_nc_u64 s[20:21], s[20:21], s[22:23]
	s_load_b32 s20, s[20:21], 0x0
	s_wait_kmcnt 0x0
	s_add_co_i32 s19, s20, -1
	s_wait_alu 0xfffe
	s_add_co_i32 s12, s19, s14
	s_delay_alu instid0(SALU_CYCLE_1)
	s_cmp_ge_i32 s12, s26
	s_cbranch_scc1 .LBB161_43
; %bb.45:                               ;   in Loop: Header=BB161_44 Depth=2
	s_ashr_i32 s15, s14, 31
	s_ashr_i32 s21, s20, 31
	s_lshl_b64 s[22:23], s[14:15], 3
	s_max_i32 s36, s20, 1
	s_wait_alu 0xfffe
	v_add_co_u32 v4, vcc_lo, v16, s22
	s_wait_alu 0xfffd
	v_add_co_ci_u32_e64 v5, null, s23, v17, vcc_lo
	s_lshl_b64 s[22:23], s[20:21], 3
	s_lshl_b32 s15, s14, 3
	s_lshl_b32 s21, s20, 3
	s_mul_i32 s37, s14, 0xc8
	s_mul_i32 s38, s20, 0xc8
	s_branch .LBB161_47
.LBB161_46:                             ;   in Loop: Header=BB161_47 Depth=3
	v_add_co_u32 v4, vcc_lo, v4, s22
	s_add_co_i32 s14, s14, s20
	s_wait_alu 0xfffd
	v_add_co_ci_u32_e64 v5, null, s23, v5, vcc_lo
	s_add_co_i32 s12, s19, s14
	s_add_co_i32 s15, s15, s21
	s_add_co_i32 s37, s37, s38
	s_cmp_ge_i32 s12, s26
	s_cbranch_scc1 .LBB161_43
.LBB161_47:                             ;   Parent Loop BB161_4 Depth=1
                                        ;     Parent Loop BB161_44 Depth=2
                                        ; =>    This Loop Header: Depth=3
                                        ;         Child Loop BB161_48 Depth 4
                                        ;         Child Loop BB161_51 Depth 4
                                        ;           Child Loop BB161_52 Depth 5
                                        ;         Child Loop BB161_56 Depth 4
                                        ;           Child Loop BB161_58 Depth 5
	v_dual_mov_b32 v7, v5 :: v_dual_mov_b32 v6, v4
	s_mov_b32 s12, 4
	s_mov_b32 s39, s36
.LBB161_48:                             ;   Parent Loop BB161_4 Depth=1
                                        ;     Parent Loop BB161_44 Depth=2
                                        ;       Parent Loop BB161_47 Depth=3
                                        ; =>      This Inner Loop Header: Depth=4
	flat_load_b64 v[18:19], v[6:7] offset:-4
	v_add_co_u32 v6, vcc_lo, v6, 8
	s_wait_alu 0xfffd
	v_add_co_ci_u32_e64 v7, null, 0, v7, vcc_lo
	s_add_co_i32 s39, s39, -1
	s_mov_b32 s40, s12
	s_add_co_i32 s12, s12, 8
	s_cmp_eq_u32 s39, 0
	s_wait_loadcnt_dscnt 0x0
	v_mul_f32_e32 v20, s16, v19
	s_delay_alu instid0(VALU_DEP_1) | instskip(NEXT) | instid1(VALU_DEP_1)
	v_dual_mul_f32 v21, s17, v19 :: v_dual_fmac_f32 v20, s17, v18
	v_fma_f32 v19, v18, s16, -v21
	scratch_store_b64 off, v[19:20], s40 offset:-4
	s_cbranch_scc0 .LBB161_48
; %bb.49:                               ;   in Loop: Header=BB161_47 Depth=3
	s_cmp_lt_i32 s14, 1
	s_cbranch_scc1 .LBB161_54
; %bb.50:                               ;   in Loop: Header=BB161_47 Depth=3
	s_mov_b32 s12, 0
	s_mov_b32 s39, s15
.LBB161_51:                             ;   Parent Loop BB161_4 Depth=1
                                        ;     Parent Loop BB161_44 Depth=2
                                        ;       Parent Loop BB161_47 Depth=3
                                        ; =>      This Loop Header: Depth=4
                                        ;           Child Loop BB161_52 Depth 5
	s_lshl_b64 s[40:41], s[12:13], 3
	s_mov_b32 s42, s36
	s_wait_alu 0xfffe
	v_add_co_u32 v6, vcc_lo, v8, s40
	s_wait_alu 0xfffd
	v_add_co_ci_u32_e64 v7, null, s41, v9, vcc_lo
	s_mov_b32 s40, s30
	s_mov_b32 s41, s39
	flat_load_b64 v[6:7], v[6:7]
.LBB161_52:                             ;   Parent Loop BB161_4 Depth=1
                                        ;     Parent Loop BB161_44 Depth=2
                                        ;       Parent Loop BB161_47 Depth=3
                                        ;         Parent Loop BB161_51 Depth=4
                                        ; =>        This Inner Loop Header: Depth=5
	scratch_load_b64 v[18:19], off, s40 offset:-4
	s_wait_alu 0xfffe
	v_mov_b32_e32 v20, s41
	s_add_co_i32 s42, s42, -1
	s_add_co_i32 s41, s41, 8
	ds_load_b64 v[20:21], v20
	s_wait_loadcnt_dscnt 0x100
	v_mul_f32_e32 v22, v21, v7
	v_mul_f32_e32 v21, v21, v6
	s_delay_alu instid0(VALU_DEP_1) | instskip(SKIP_1) | instid1(VALU_DEP_1)
	v_fmac_f32_e32 v21, v20, v7
	s_wait_loadcnt 0x0
	v_sub_f32_e32 v19, v19, v21
	v_fma_f32 v22, v20, v6, -v22
	s_delay_alu instid0(VALU_DEP_1)
	v_sub_f32_e32 v18, v18, v22
	scratch_store_b64 off, v[18:19], s40 offset:-4
	s_add_co_i32 s40, s40, 8
	s_wait_alu 0xfffe
	s_cmp_eq_u32 s42, 0
	s_cbranch_scc0 .LBB161_52
; %bb.53:                               ;   in Loop: Header=BB161_51 Depth=4
	s_add_co_i32 s12, s12, 1
	s_addk_co_i32 s39, 0xc0
	s_cmp_eq_u32 s12, s14
	s_cbranch_scc0 .LBB161_51
.LBB161_54:                             ;   in Loop: Header=BB161_47 Depth=3
	s_mov_b32 s12, 0
	s_mov_b32 s39, s37
	s_branch .LBB161_56
.LBB161_55:                             ;   in Loop: Header=BB161_56 Depth=4
	s_add_co_i32 s40, s12, s14
	s_lshl_b32 s42, s12, 3
	s_wait_alu 0xfffe
	s_mul_i32 s41, s40, 0xc8
	s_add_co_i32 s12, s12, 1
	s_wait_alu 0xfffe
	v_mov_b32_e32 v18, s41
	s_ashr_i32 s41, s40, 31
	s_add_co_i32 s39, s39, 8
	s_wait_alu 0xfffe
	s_lshl_b64 s[40:41], s[40:41], 3
	s_cmp_eq_u32 s12, s36
	ds_load_b64 v[18:19], v18
	s_wait_loadcnt_dscnt 0x0
	v_mul_f32_e32 v20, v19, v7
	v_mul_f32_e32 v21, v18, v7
	s_delay_alu instid0(VALU_DEP_2) | instskip(NEXT) | instid1(VALU_DEP_2)
	v_fma_f32 v20, v18, v6, -v20
	v_fmac_f32_e32 v21, v19, v6
	s_wait_alu 0xfffe
	v_add_co_u32 v6, vcc_lo, v8, s40
	s_wait_alu 0xfffd
	v_add_co_ci_u32_e64 v7, null, s41, v9, vcc_lo
	scratch_store_b64 off, v[20:21], s42
	flat_store_b64 v[6:7], v[20:21]
	s_cbranch_scc1 .LBB161_46
.LBB161_56:                             ;   Parent Loop BB161_4 Depth=1
                                        ;     Parent Loop BB161_44 Depth=2
                                        ;       Parent Loop BB161_47 Depth=3
                                        ; =>      This Loop Header: Depth=4
                                        ;           Child Loop BB161_58 Depth 5
	s_cmp_lg_u32 s12, 0
	s_cbranch_scc0 .LBB161_60
; %bb.57:                               ;   in Loop: Header=BB161_56 Depth=4
	s_lshl_b32 s40, s12, 3
	s_mov_b32 s41, 0
	scratch_load_b64 v[6:7], off, s40
	s_mov_b32 s42, s39
	s_mov_b32 s43, s12
.LBB161_58:                             ;   Parent Loop BB161_4 Depth=1
                                        ;     Parent Loop BB161_44 Depth=2
                                        ;       Parent Loop BB161_47 Depth=3
                                        ;         Parent Loop BB161_56 Depth=4
                                        ; =>        This Inner Loop Header: Depth=5
	scratch_load_b64 v[18:19], off, s41
	s_wait_alu 0xfffe
	v_mov_b32_e32 v20, s42
	s_add_co_i32 s43, s43, -1
	s_addk_co_i32 s42, 0xc0
	s_add_co_i32 s41, s41, 8
	s_wait_alu 0xfffe
	s_cmp_eq_u32 s43, 0
	ds_load_b64 v[20:21], v20
	s_wait_loadcnt_dscnt 0x0
	v_mul_f32_e32 v22, v21, v19
	v_mul_f32_e32 v19, v20, v19
	s_delay_alu instid0(VALU_DEP_2) | instskip(NEXT) | instid1(VALU_DEP_1)
	v_fma_f32 v20, v20, v18, -v22
	v_dual_sub_f32 v6, v6, v20 :: v_dual_fmac_f32 v19, v21, v18
	s_delay_alu instid0(VALU_DEP_1)
	v_sub_f32_e32 v7, v7, v19
	scratch_store_b64 off, v[6:7], s40
	s_cbranch_scc0 .LBB161_58
; %bb.59:                               ;   in Loop: Header=BB161_56 Depth=4
	s_branch .LBB161_55
.LBB161_60:                             ;   in Loop: Header=BB161_56 Depth=4
                                        ; implicit-def: $vgpr6
	s_cbranch_execz .LBB161_55
; %bb.61:                               ;   in Loop: Header=BB161_56 Depth=4
	scratch_load_b64 v[6:7], off, off
	s_branch .LBB161_55
.LBB161_62:
	s_or_b32 exec_lo, exec_lo, s33
	s_and_saveexec_b32 s0, s34
	s_wait_alu 0xfffe
	s_xor_b32 s0, exec_lo, s0
.LBB161_63:
	s_endpgm
	.section	.rodata,"a",@progbits
	.p2align	6, 0x0
	.amdhsa_kernel _ZL30rocblas_trsm_small_left_deviceILi24ELi24ELb1E19rocblas_complex_numIfES1_PKPKS1_PKPS1_Ev13rocblas_fill_18rocblas_operation_17rocblas_diagonal_iiT3_T4_lilT5_lili
		.amdhsa_group_segment_fixed_size 4608
		.amdhsa_private_segment_fixed_size 208
		.amdhsa_kernarg_size 360
		.amdhsa_user_sgpr_count 2
		.amdhsa_user_sgpr_dispatch_ptr 0
		.amdhsa_user_sgpr_queue_ptr 0
		.amdhsa_user_sgpr_kernarg_segment_ptr 1
		.amdhsa_user_sgpr_dispatch_id 0
		.amdhsa_user_sgpr_private_segment_size 0
		.amdhsa_wavefront_size32 1
		.amdhsa_uses_dynamic_stack 0
		.amdhsa_enable_private_segment 1
		.amdhsa_system_sgpr_workgroup_id_x 1
		.amdhsa_system_sgpr_workgroup_id_y 0
		.amdhsa_system_sgpr_workgroup_id_z 1
		.amdhsa_system_sgpr_workgroup_info 0
		.amdhsa_system_vgpr_workitem_id 0
		.amdhsa_next_free_vgpr 193
		.amdhsa_next_free_sgpr 44
		.amdhsa_reserve_vcc 1
		.amdhsa_float_round_mode_32 0
		.amdhsa_float_round_mode_16_64 0
		.amdhsa_float_denorm_mode_32 3
		.amdhsa_float_denorm_mode_16_64 3
		.amdhsa_fp16_overflow 0
		.amdhsa_workgroup_processor_mode 1
		.amdhsa_memory_ordered 1
		.amdhsa_forward_progress 1
		.amdhsa_inst_pref_size 25
		.amdhsa_round_robin_scheduling 0
		.amdhsa_exception_fp_ieee_invalid_op 0
		.amdhsa_exception_fp_denorm_src 0
		.amdhsa_exception_fp_ieee_div_zero 0
		.amdhsa_exception_fp_ieee_overflow 0
		.amdhsa_exception_fp_ieee_underflow 0
		.amdhsa_exception_fp_ieee_inexact 0
		.amdhsa_exception_int_div_zero 0
	.end_amdhsa_kernel
	.section	.text._ZL30rocblas_trsm_small_left_deviceILi24ELi24ELb1E19rocblas_complex_numIfES1_PKPKS1_PKPS1_Ev13rocblas_fill_18rocblas_operation_17rocblas_diagonal_iiT3_T4_lilT5_lili,"axG",@progbits,_ZL30rocblas_trsm_small_left_deviceILi24ELi24ELb1E19rocblas_complex_numIfES1_PKPKS1_PKPS1_Ev13rocblas_fill_18rocblas_operation_17rocblas_diagonal_iiT3_T4_lilT5_lili,comdat
.Lfunc_end161:
	.size	_ZL30rocblas_trsm_small_left_deviceILi24ELi24ELb1E19rocblas_complex_numIfES1_PKPKS1_PKPS1_Ev13rocblas_fill_18rocblas_operation_17rocblas_diagonal_iiT3_T4_lilT5_lili, .Lfunc_end161-_ZL30rocblas_trsm_small_left_deviceILi24ELi24ELb1E19rocblas_complex_numIfES1_PKPKS1_PKPS1_Ev13rocblas_fill_18rocblas_operation_17rocblas_diagonal_iiT3_T4_lilT5_lili
                                        ; -- End function
	.set _ZL30rocblas_trsm_small_left_deviceILi24ELi24ELb1E19rocblas_complex_numIfES1_PKPKS1_PKPS1_Ev13rocblas_fill_18rocblas_operation_17rocblas_diagonal_iiT3_T4_lilT5_lili.num_vgpr, 23
	.set _ZL30rocblas_trsm_small_left_deviceILi24ELi24ELb1E19rocblas_complex_numIfES1_PKPKS1_PKPS1_Ev13rocblas_fill_18rocblas_operation_17rocblas_diagonal_iiT3_T4_lilT5_lili.num_agpr, 0
	.set _ZL30rocblas_trsm_small_left_deviceILi24ELi24ELb1E19rocblas_complex_numIfES1_PKPKS1_PKPS1_Ev13rocblas_fill_18rocblas_operation_17rocblas_diagonal_iiT3_T4_lilT5_lili.numbered_sgpr, 44
	.set _ZL30rocblas_trsm_small_left_deviceILi24ELi24ELb1E19rocblas_complex_numIfES1_PKPKS1_PKPS1_Ev13rocblas_fill_18rocblas_operation_17rocblas_diagonal_iiT3_T4_lilT5_lili.num_named_barrier, 0
	.set _ZL30rocblas_trsm_small_left_deviceILi24ELi24ELb1E19rocblas_complex_numIfES1_PKPKS1_PKPS1_Ev13rocblas_fill_18rocblas_operation_17rocblas_diagonal_iiT3_T4_lilT5_lili.private_seg_size, 208
	.set _ZL30rocblas_trsm_small_left_deviceILi24ELi24ELb1E19rocblas_complex_numIfES1_PKPKS1_PKPS1_Ev13rocblas_fill_18rocblas_operation_17rocblas_diagonal_iiT3_T4_lilT5_lili.uses_vcc, 1
	.set _ZL30rocblas_trsm_small_left_deviceILi24ELi24ELb1E19rocblas_complex_numIfES1_PKPKS1_PKPS1_Ev13rocblas_fill_18rocblas_operation_17rocblas_diagonal_iiT3_T4_lilT5_lili.uses_flat_scratch, 0
	.set _ZL30rocblas_trsm_small_left_deviceILi24ELi24ELb1E19rocblas_complex_numIfES1_PKPKS1_PKPS1_Ev13rocblas_fill_18rocblas_operation_17rocblas_diagonal_iiT3_T4_lilT5_lili.has_dyn_sized_stack, 0
	.set _ZL30rocblas_trsm_small_left_deviceILi24ELi24ELb1E19rocblas_complex_numIfES1_PKPKS1_PKPS1_Ev13rocblas_fill_18rocblas_operation_17rocblas_diagonal_iiT3_T4_lilT5_lili.has_recursion, 0
	.set _ZL30rocblas_trsm_small_left_deviceILi24ELi24ELb1E19rocblas_complex_numIfES1_PKPKS1_PKPS1_Ev13rocblas_fill_18rocblas_operation_17rocblas_diagonal_iiT3_T4_lilT5_lili.has_indirect_call, 0
	.section	.AMDGPU.csdata,"",@progbits
; Kernel info:
; codeLenInByte = 3096
; TotalNumSgprs: 46
; NumVgprs: 23
; ScratchSize: 208
; MemoryBound: 0
; FloatMode: 240
; IeeeMode: 1
; LDSByteSize: 4608 bytes/workgroup (compile time only)
; SGPRBlocks: 0
; VGPRBlocks: 24
; NumSGPRsForWavesPerEU: 46
; NumVGPRsForWavesPerEU: 193
; Occupancy: 7
; WaveLimiterHint : 1
; COMPUTE_PGM_RSRC2:SCRATCH_EN: 1
; COMPUTE_PGM_RSRC2:USER_SGPR: 2
; COMPUTE_PGM_RSRC2:TRAP_HANDLER: 0
; COMPUTE_PGM_RSRC2:TGID_X_EN: 1
; COMPUTE_PGM_RSRC2:TGID_Y_EN: 0
; COMPUTE_PGM_RSRC2:TGID_Z_EN: 1
; COMPUTE_PGM_RSRC2:TIDIG_COMP_CNT: 0
	.section	.text._ZL31rocblas_trsm_small_right_deviceI19rocblas_complex_numIfES1_PKPKS1_PKPS1_Li24EEv13rocblas_fill_18rocblas_operation_17rocblas_diagonal_iiT0_T1_lilT2_lili,"axG",@progbits,_ZL31rocblas_trsm_small_right_deviceI19rocblas_complex_numIfES1_PKPKS1_PKPS1_Li24EEv13rocblas_fill_18rocblas_operation_17rocblas_diagonal_iiT0_T1_lilT2_lili,comdat
	.globl	_ZL31rocblas_trsm_small_right_deviceI19rocblas_complex_numIfES1_PKPKS1_PKPS1_Li24EEv13rocblas_fill_18rocblas_operation_17rocblas_diagonal_iiT0_T1_lilT2_lili ; -- Begin function _ZL31rocblas_trsm_small_right_deviceI19rocblas_complex_numIfES1_PKPKS1_PKPS1_Li24EEv13rocblas_fill_18rocblas_operation_17rocblas_diagonal_iiT0_T1_lilT2_lili
	.p2align	8
	.type	_ZL31rocblas_trsm_small_right_deviceI19rocblas_complex_numIfES1_PKPKS1_PKPS1_Li24EEv13rocblas_fill_18rocblas_operation_17rocblas_diagonal_iiT0_T1_lilT2_lili,@function
_ZL31rocblas_trsm_small_right_deviceI19rocblas_complex_numIfES1_PKPKS1_PKPS1_Li24EEv13rocblas_fill_18rocblas_operation_17rocblas_diagonal_iiT0_T1_lilT2_lili: ; @_ZL31rocblas_trsm_small_right_deviceI19rocblas_complex_numIfES1_PKPKS1_PKPS1_Li24EEv13rocblas_fill_18rocblas_operation_17rocblas_diagonal_iiT0_T1_lilT2_lili
; %bb.0:
	s_load_b32 s19, s[0:1], 0x60
	s_lshr_b32 s2, ttmp7, 16
	s_wait_kmcnt 0x0
	s_cmp_ge_u32 s2, s19
	s_cbranch_scc1 .LBB162_150
; %bb.1:
	s_clause 0x6
	s_load_b32 s20, s[0:1], 0x30
	s_load_b32 s30, s[0:1], 0x50
	s_load_b128 s[12:15], s[0:1], 0x0
	s_load_b96 s[16:18], s[0:1], 0x10
	s_load_b32 s3, s[0:1], 0x68
	s_load_b128 s[4:7], s[0:1], 0x20
	s_load_b128 s[8:11], s[0:1], 0x40
	s_mul_i32 s0, ttmp9, 0xffffffe8
	v_dual_mov_b32 v12, 1.0 :: v_dual_lshlrev_b32 v21, 3, v0
	s_mov_b32 s22, ttmp9
	v_mul_u32_u24_e32 v1, 0xc0, v0
	v_mov_b32_e32 v13, 0
	s_delay_alu instid0(VALU_DEP_3) | instskip(SKIP_1) | instid1(VALU_DEP_4)
	v_or_b32_e32 v14, 0x1200, v21
	v_lshlrev_b32_e32 v29, 3, v0
	v_add_nc_u32_e32 v28, v21, v1
	s_wait_kmcnt 0x0
	s_ashr_i32 s21, s20, 31
	s_ashr_i32 s31, s30, 31
	s_cmp_lg_u32 s12, 0x7a
	s_cselect_b32 s27, -1, 0
	s_cmp_lg_u32 s13, 0x71
	s_cselect_b32 s1, -1, 0
	s_min_i32 s24, s16, 24
	s_add_co_i32 s3, s3, -1
	s_add_co_i32 s0, s15, s0
	s_add_co_i32 s25, s24, -1
	s_cmp_ge_u32 ttmp9, s3
	s_mov_b32 s3, 0
	s_cselect_b32 s15, s0, 24
	s_ashr_i32 s23, ttmp9, 31
	s_cmp_eq_u32 s14, 0x84
	v_cmp_gt_i32_e32 vcc_lo, s15, v0
	s_cselect_b32 s26, -1, 0
	s_cmp_gt_i32 s16, 0
	v_cmp_gt_i32_e64 s0, s24, v0
	s_cselect_b32 s14, -1, 0
	s_cmp_lg_u32 s13, 0x6f
	s_cselect_b32 s13, -1, 0
	s_cmp_lg_u32 s12, 0x79
	s_cselect_b32 s12, -1, 0
	s_or_b32 s27, s27, s13
	s_or_b32 s28, s12, s13
	s_cmp_gt_i32 s16, 3
	v_cndmask_b32_e64 v22, 0, 1, s12
	s_mul_u64 s[12:13], s[22:23], 0xc0
	s_cselect_b32 s22, -1, 0
	s_wait_alu 0xfffe
	s_and_b32 s23, vcc_lo, s14
	s_lshl_b64 s[14:15], s[6:7], 3
	s_lshl_b64 s[6:7], s[10:11], 3
	s_wait_alu 0xfffe
	v_add_co_u32 v2, s10, s14, v21
	s_delay_alu instid0(VALU_DEP_1)
	v_add_co_ci_u32_e64 v23, null, s15, 0, s10
	s_add_nc_u64 s[14:15], s[12:13], s[6:7]
	v_or_b32_e32 v24, 4, v2
	s_wait_alu 0xfffe
	v_add_co_u32 v3, s14, s14, v21
	s_wait_alu 0xf1ff
	v_add_co_ci_u32_e64 v25, null, s15, 0, s14
	s_lshl_b64 s[14:15], s[30:31], 3
	s_mul_i32 s30, s24, 0xc0
	v_or_b32_e32 v26, 4, v3
	v_add3_u32 v27, s30, v21, 0x1140
	s_mul_i32 s31, s24, 0xc8
	s_lshl_b32 s33, s24, 3
	s_lshl_b64 s[10:11], s[20:21], 3
	s_wait_alu 0xfffe
	s_add_co_i32 s29, s31, 0xffffff20
	s_addk_co_i32 s30, 0xff40
	s_addk_co_i32 s31, 0xfcf8
	s_add_co_i32 s33, s33, -8
	s_branch .LBB162_3
.LBB162_2:                              ;   in Loop: Header=BB162_3 Depth=1
	s_wait_alu 0xfffe
	s_or_b32 exec_lo, exec_lo, s20
	s_add_co_i32 s2, s2, 0x10000
	s_delay_alu instid0(SALU_CYCLE_1)
	s_cmp_lt_u32 s2, s19
	s_cbranch_scc0 .LBB162_150
.LBB162_3:                              ; =>This Loop Header: Depth=1
                                        ;     Child Loop BB162_6 Depth 2
                                        ;     Child Loop BB162_14 Depth 2
	;; [unrolled: 1-line block ×3, first 2 shown]
                                        ;       Child Loop BB162_21 Depth 3
                                        ;     Child Loop BB162_43 Depth 2
                                        ;       Child Loop BB162_44 Depth 3
                                        ;     Child Loop BB162_52 Depth 2
	;; [unrolled: 2-line block ×8, first 2 shown]
	s_lshl_b64 s[20:21], s[2:3], 3
	s_wait_alu 0xfffe
	s_add_nc_u64 s[34:35], s[8:9], s[20:21]
	global_load_b64 v[15:16], v13, s[34:35]
	s_and_saveexec_b32 s34, s0
	s_cbranch_execz .LBB162_12
; %bb.4:                                ;   in Loop: Header=BB162_3 Depth=1
	s_add_nc_u64 s[20:21], s[4:5], s[20:21]
	v_mov_b32_e32 v4, v21
	global_load_b64 v[0:1], v13, s[20:21]
	s_mov_b32 s20, s24
	s_wait_loadcnt 0x0
	v_add_co_u32 v0, vcc_lo, v0, v24
	s_wait_alu 0xfffd
	v_add_co_ci_u32_e64 v1, null, v1, v23, vcc_lo
	s_branch .LBB162_6
.LBB162_5:                              ;   in Loop: Header=BB162_6 Depth=2
	flat_load_b32 v2, v[0:1] offset:-4
	v_add_co_u32 v0, vcc_lo, v0, s10
	s_wait_alu 0xfffd
	v_add_co_ci_u32_e64 v1, null, s11, v1, vcc_lo
	s_add_co_i32 s20, s20, -1
	s_wait_alu 0xfffe
	s_cmp_eq_u32 s20, 0
	s_wait_loadcnt_dscnt 0x0
	ds_store_b64 v4, v[2:3]
	v_add_nc_u32_e32 v4, 0xc0, v4
	s_cbranch_scc1 .LBB162_10
.LBB162_6:                              ;   Parent Loop BB162_3 Depth=1
                                        ; =>  This Inner Loop Header: Depth=2
	s_and_b32 vcc_lo, exec_lo, s1
	s_mov_b32 s21, -1
                                        ; implicit-def: $vgpr3
	s_wait_alu 0xfffe
	s_cbranch_vccz .LBB162_8
; %bb.7:                                ;   in Loop: Header=BB162_6 Depth=2
	flat_load_b32 v3, v[0:1]
	s_mov_b32 s21, 0
.LBB162_8:                              ;   in Loop: Header=BB162_6 Depth=2
	s_wait_alu 0xfffe
	s_and_not1_b32 vcc_lo, exec_lo, s21
	s_wait_alu 0xfffe
	s_cbranch_vccnz .LBB162_5
; %bb.9:                                ;   in Loop: Header=BB162_6 Depth=2
	flat_load_b32 v2, v[0:1]
	s_wait_loadcnt_dscnt 0x0
	v_xor_b32_e32 v3, 0x80000000, v2
	s_branch .LBB162_5
.LBB162_10:                             ;   in Loop: Header=BB162_3 Depth=1
	s_and_b32 vcc_lo, exec_lo, s26
	s_wait_alu 0xfffe
	s_cbranch_vccz .LBB162_12
; %bb.11:                               ;   in Loop: Header=BB162_3 Depth=1
	ds_store_b64 v28, v[12:13]
.LBB162_12:                             ;   in Loop: Header=BB162_3 Depth=1
	s_wait_alu 0xfffe
	s_or_b32 exec_lo, exec_lo, s34
	s_and_saveexec_b32 s20, s23
	s_cbranch_execz .LBB162_15
; %bb.13:                               ;   in Loop: Header=BB162_3 Depth=1
	s_wait_loadcnt 0x0
	v_add_co_u32 v0, vcc_lo, v15, v26
	s_wait_alu 0xfffd
	v_add_co_ci_u32_e64 v1, null, v16, v25, vcc_lo
	v_mov_b32_e32 v2, v14
	s_mov_b32 s21, s16
.LBB162_14:                             ;   Parent Loop BB162_3 Depth=1
                                        ; =>  This Inner Loop Header: Depth=2
	flat_load_b64 v[3:4], v[0:1] offset:-4
	v_add_co_u32 v0, vcc_lo, v0, s14
	s_wait_alu 0xfffd
	v_add_co_ci_u32_e64 v1, null, s15, v1, vcc_lo
	s_wait_alu 0xfffe
	s_add_co_i32 s21, s21, -1
	s_wait_alu 0xfffe
	s_cmp_lg_u32 s21, 0
	s_wait_loadcnt_dscnt 0x0
	v_mul_f32_e32 v5, s17, v4
	s_delay_alu instid0(VALU_DEP_1) | instskip(NEXT) | instid1(VALU_DEP_1)
	v_dual_mul_f32 v6, s18, v4 :: v_dual_fmac_f32 v5, s18, v3
	v_fma_f32 v4, s17, v3, -v6
	ds_store_b64 v2, v[4:5]
	v_add_nc_u32_e32 v2, 0xc0, v2
	s_cbranch_scc1 .LBB162_14
.LBB162_15:                             ;   in Loop: Header=BB162_3 Depth=1
	s_wait_alu 0xfffe
	s_or_b32 exec_lo, exec_lo, s20
	s_delay_alu instid0(SALU_CYCLE_1)
	s_and_b32 vcc_lo, exec_lo, s28
	s_mov_b32 s20, -1
	; wave barrier
	s_wait_loadcnt_dscnt 0x0
	global_inv scope:SCOPE_SE
	s_wait_alu 0xfffe
	s_cbranch_vccz .LBB162_115
; %bb.16:                               ;   in Loop: Header=BB162_3 Depth=1
	s_and_b32 vcc_lo, exec_lo, s27
	s_wait_alu 0xfffe
	s_cbranch_vccz .LBB162_83
; %bb.17:                               ;   in Loop: Header=BB162_3 Depth=1
	v_cmp_ne_u32_e32 vcc_lo, 1, v22
	s_cbranch_vccnz .LBB162_50
; %bb.18:                               ;   in Loop: Header=BB162_3 Depth=1
	s_and_not1_b32 vcc_lo, exec_lo, s22
	s_mov_b32 s34, 0
	s_wait_alu 0xfffe
	s_cbranch_vccnz .LBB162_40
; %bb.19:                               ;   in Loop: Header=BB162_3 Depth=1
	s_mov_b32 s20, 0
	s_mov_b32 s21, 0
.LBB162_20:                             ;   Parent Loop BB162_3 Depth=1
                                        ; =>  This Loop Header: Depth=2
                                        ;       Child Loop BB162_21 Depth 3
	s_wait_alu 0xfffe
	v_mad_co_u64_u32 v[8:9], null, 0xc0, s21, v[14:15]
	s_or_b32 s34, s21, 3
	s_cmp_eq_u32 s21, 0
	s_wait_alu 0xfffe
	s_mulk_i32 s34, 0xc0
	s_wait_alu 0xfffe
	v_dual_mov_b32 v4, v14 :: v_dual_add_nc_u32 v11, s34, v14
	s_mov_b32 s34, s20
	ds_load_2addr_b64 v[0:3], v8 offset1:24
	ds_load_b64 v[17:18], v8 offset:384
	ds_load_b64 v[9:10], v11
	s_mov_b32 s35, s21
	s_cbranch_scc1 .LBB162_22
.LBB162_21:                             ;   Parent Loop BB162_3 Depth=1
                                        ;     Parent Loop BB162_20 Depth=2
                                        ; =>    This Inner Loop Header: Depth=3
	s_wait_alu 0xfffe
	v_mov_b32_e32 v7, s34
	s_add_co_i32 s35, s35, -1
	s_addk_co_i32 s34, 0xc0
	s_wait_alu 0xfffe
	s_cmp_eq_u32 s35, 0
	ds_load_b64 v[5:6], v4
	ds_load_b128 v[30:33], v7
	ds_load_b128 v[34:37], v7 offset:16
	v_add_nc_u32_e32 v4, 0xc0, v4
	s_wait_dscnt 0x1
	v_mul_f32_e32 v20, v33, v6
	s_wait_dscnt 0x0
	v_dual_mul_f32 v33, v33, v5 :: v_dual_mul_f32 v38, v35, v6
	v_mul_f32_e32 v35, v35, v5
	s_delay_alu instid0(VALU_DEP_3) | instskip(SKIP_1) | instid1(VALU_DEP_3)
	v_fma_f32 v20, v32, v5, -v20
	v_mul_f32_e32 v7, v31, v6
	v_fmac_f32_e32 v35, v34, v6
	v_mul_f32_e32 v39, v37, v6
	s_delay_alu instid0(VALU_DEP_4) | instskip(NEXT) | instid1(VALU_DEP_4)
	v_dual_mul_f32 v37, v37, v5 :: v_dual_sub_f32 v2, v2, v20
	v_fma_f32 v7, v30, v5, -v7
	v_mul_f32_e32 v19, v30, v6
	v_fma_f32 v30, v34, v5, -v38
	s_delay_alu instid0(VALU_DEP_4) | instskip(SKIP_1) | instid1(VALU_DEP_4)
	v_fmac_f32_e32 v37, v36, v6
	v_fmac_f32_e32 v33, v32, v6
	v_dual_sub_f32 v0, v0, v7 :: v_dual_fmac_f32 v19, v31, v5
	v_sub_f32_e32 v18, v18, v35
	v_fma_f32 v5, v36, v5, -v39
	v_dual_sub_f32 v17, v17, v30 :: v_dual_sub_f32 v10, v10, v37
	s_delay_alu instid0(VALU_DEP_4) | instskip(SKIP_1) | instid1(VALU_DEP_4)
	v_sub_f32_e32 v1, v1, v19
	v_sub_f32_e32 v3, v3, v33
	;; [unrolled: 1-line block ×3, first 2 shown]
	s_cbranch_scc0 .LBB162_21
.LBB162_22:                             ;   in Loop: Header=BB162_20 Depth=2
	s_lshl_b32 s34, s21, 3
	s_mul_i32 s35, s21, 0xc0
	s_mov_b32 s36, -1
	s_wait_alu 0xfffe
	s_add_co_i32 s35, s34, s35
                                        ; implicit-def: $vgpr20
	s_wait_alu 0xfffe
	v_mov_b32_e32 v4, s35
	ds_load_b64 v[4:5], v4
	s_wait_dscnt 0x0
	v_and_b32_e32 v6, 0x7fffffff, v4
	v_and_b32_e32 v7, 0x7fffffff, v5
	s_delay_alu instid0(VALU_DEP_1)
	v_cmp_ngt_f32_e32 vcc_lo, v6, v7
	s_cbranch_vccz .LBB162_24
; %bb.23:                               ;   in Loop: Header=BB162_20 Depth=2
	v_div_scale_f32 v6, null, v5, v5, v4
	v_div_scale_f32 v20, vcc_lo, v4, v5, v4
	s_mov_b32 s36, 0
	v_rcp_f32_e32 v7, v6
	v_xor_b32_e32 v6, 0x80000000, v6
	s_delay_alu instid0(TRANS32_DEP_1) | instid1(VALU_DEP_1)
	v_fma_f32 v19, v6, v7, 1.0
	s_delay_alu instid0(VALU_DEP_1) | instskip(NEXT) | instid1(VALU_DEP_1)
	v_fmac_f32_e32 v7, v19, v7
	v_mul_f32_e32 v19, v20, v7
	s_delay_alu instid0(VALU_DEP_1) | instskip(NEXT) | instid1(VALU_DEP_1)
	v_fma_f32 v30, v6, v19, v20
	v_fmac_f32_e32 v19, v30, v7
	s_delay_alu instid0(VALU_DEP_1) | instskip(SKIP_1) | instid1(VALU_DEP_1)
	v_fmac_f32_e32 v20, v6, v19
	s_wait_alu 0xfffd
	v_div_fmas_f32 v6, v20, v7, v19
	s_delay_alu instid0(VALU_DEP_1) | instskip(NEXT) | instid1(VALU_DEP_1)
	v_div_fixup_f32 v6, v6, v5, v4
	v_fma_f32 v7, v4, v6, v5
	s_delay_alu instid0(VALU_DEP_1) | instskip(SKIP_1) | instid1(VALU_DEP_2)
	v_div_scale_f32 v19, null, v7, v7, 1.0
	v_div_scale_f32 v31, vcc_lo, 1.0, v7, 1.0
	v_rcp_f32_e32 v20, v19
	v_xor_b32_e32 v19, 0x80000000, v19
	s_delay_alu instid0(TRANS32_DEP_1) | instid1(VALU_DEP_1)
	v_fma_f32 v30, v19, v20, 1.0
	s_delay_alu instid0(VALU_DEP_1) | instskip(NEXT) | instid1(VALU_DEP_1)
	v_fmac_f32_e32 v20, v30, v20
	v_mul_f32_e32 v30, v31, v20
	s_delay_alu instid0(VALU_DEP_1) | instskip(NEXT) | instid1(VALU_DEP_1)
	v_fma_f32 v32, v19, v30, v31
	v_fmac_f32_e32 v30, v32, v20
	s_delay_alu instid0(VALU_DEP_1) | instskip(SKIP_1) | instid1(VALU_DEP_1)
	v_fmac_f32_e32 v31, v19, v30
	s_wait_alu 0xfffd
	v_div_fmas_f32 v19, v31, v20, v30
	v_fma_f32 v20, v0, v6, v1
	v_fma_f32 v6, v1, v6, -v0
	s_delay_alu instid0(VALU_DEP_3) | instskip(NEXT) | instid1(VALU_DEP_1)
	v_div_fixup_f32 v7, v19, v7, 1.0
	v_mul_f32_e32 v19, v20, v7
	s_delay_alu instid0(VALU_DEP_3)
	v_mul_f32_e32 v20, v6, v7
.LBB162_24:                             ;   in Loop: Header=BB162_20 Depth=2
	s_wait_alu 0xfffe
	s_and_not1_b32 vcc_lo, exec_lo, s36
	s_wait_alu 0xfffe
	s_cbranch_vccnz .LBB162_26
; %bb.25:                               ;   in Loop: Header=BB162_20 Depth=2
	v_div_scale_f32 v6, null, v4, v4, v5
	v_div_scale_f32 v20, vcc_lo, v5, v4, v5
	s_delay_alu instid0(VALU_DEP_2)
	v_rcp_f32_e32 v7, v6
	v_xor_b32_e32 v6, 0x80000000, v6
	s_delay_alu instid0(TRANS32_DEP_1) | instid1(VALU_DEP_1)
	v_fma_f32 v19, v6, v7, 1.0
	s_delay_alu instid0(VALU_DEP_1) | instskip(NEXT) | instid1(VALU_DEP_1)
	v_fmac_f32_e32 v7, v19, v7
	v_mul_f32_e32 v19, v20, v7
	s_delay_alu instid0(VALU_DEP_1) | instskip(NEXT) | instid1(VALU_DEP_1)
	v_fma_f32 v30, v6, v19, v20
	v_fmac_f32_e32 v19, v30, v7
	s_delay_alu instid0(VALU_DEP_1) | instskip(SKIP_1) | instid1(VALU_DEP_1)
	v_fmac_f32_e32 v20, v6, v19
	s_wait_alu 0xfffd
	v_div_fmas_f32 v6, v20, v7, v19
	s_delay_alu instid0(VALU_DEP_1) | instskip(NEXT) | instid1(VALU_DEP_1)
	v_div_fixup_f32 v6, v6, v4, v5
	v_fmac_f32_e32 v4, v5, v6
	s_delay_alu instid0(VALU_DEP_1) | instskip(SKIP_1) | instid1(VALU_DEP_2)
	v_div_scale_f32 v5, null, v4, v4, 1.0
	v_div_scale_f32 v20, vcc_lo, 1.0, v4, 1.0
	v_rcp_f32_e32 v7, v5
	v_xor_b32_e32 v5, 0x80000000, v5
	s_delay_alu instid0(TRANS32_DEP_1) | instid1(VALU_DEP_1)
	v_fma_f32 v19, v5, v7, 1.0
	s_delay_alu instid0(VALU_DEP_1) | instskip(NEXT) | instid1(VALU_DEP_1)
	v_fmac_f32_e32 v7, v19, v7
	v_mul_f32_e32 v19, v20, v7
	s_delay_alu instid0(VALU_DEP_1) | instskip(NEXT) | instid1(VALU_DEP_1)
	v_fma_f32 v30, v5, v19, v20
	v_fmac_f32_e32 v19, v30, v7
	s_delay_alu instid0(VALU_DEP_1) | instskip(SKIP_1) | instid1(VALU_DEP_1)
	v_fmac_f32_e32 v20, v5, v19
	s_wait_alu 0xfffd
	v_div_fmas_f32 v5, v20, v7, v19
	v_fma_f32 v7, v1, v6, v0
	v_fma_f32 v0, -v0, v6, v1
	s_delay_alu instid0(VALU_DEP_3) | instskip(NEXT) | instid1(VALU_DEP_1)
	v_div_fixup_f32 v4, v5, v4, 1.0
	v_mul_f32_e32 v19, v7, v4
	s_delay_alu instid0(VALU_DEP_3)
	v_mul_f32_e32 v20, v0, v4
.LBB162_26:                             ;   in Loop: Header=BB162_20 Depth=2
	v_mov_b32_e32 v0, s35
	s_mov_b32 s36, -1
	ds_store_b64 v8, v[19:20]
	ds_load_2addr_b64 v[4:7], v0 offset0:1 offset1:25
	s_wait_dscnt 0x0
	v_mul_f32_e32 v0, v20, v5
	v_mul_f32_e32 v1, v19, v5
	v_and_b32_e32 v5, 0x7fffffff, v6
	v_and_b32_e32 v30, 0x7fffffff, v7
	s_delay_alu instid0(VALU_DEP_4) | instskip(NEXT) | instid1(VALU_DEP_4)
	v_fma_f32 v0, v19, v4, -v0
	v_fmac_f32_e32 v1, v20, v4
	s_delay_alu instid0(VALU_DEP_3) | instskip(NEXT) | instid1(VALU_DEP_2)
	v_cmp_ngt_f32_e32 vcc_lo, v5, v30
                                        ; implicit-def: $vgpr5
	v_dual_sub_f32 v0, v2, v0 :: v_dual_sub_f32 v1, v3, v1
	s_cbranch_vccz .LBB162_28
; %bb.27:                               ;   in Loop: Header=BB162_20 Depth=2
	v_div_scale_f32 v2, null, v7, v7, v6
	v_div_scale_f32 v5, vcc_lo, v6, v7, v6
	s_mov_b32 s36, 0
	v_rcp_f32_e32 v3, v2
	v_xor_b32_e32 v2, 0x80000000, v2
	s_delay_alu instid0(TRANS32_DEP_1) | instid1(VALU_DEP_1)
	v_fma_f32 v4, v2, v3, 1.0
	s_delay_alu instid0(VALU_DEP_1) | instskip(NEXT) | instid1(VALU_DEP_1)
	v_fmac_f32_e32 v3, v4, v3
	v_mul_f32_e32 v4, v5, v3
	s_delay_alu instid0(VALU_DEP_1) | instskip(NEXT) | instid1(VALU_DEP_1)
	v_fma_f32 v30, v2, v4, v5
	v_fmac_f32_e32 v4, v30, v3
	s_delay_alu instid0(VALU_DEP_1) | instskip(SKIP_1) | instid1(VALU_DEP_1)
	v_fmac_f32_e32 v5, v2, v4
	s_wait_alu 0xfffd
	v_div_fmas_f32 v2, v5, v3, v4
	s_delay_alu instid0(VALU_DEP_1) | instskip(NEXT) | instid1(VALU_DEP_1)
	v_div_fixup_f32 v2, v2, v7, v6
	v_fma_f32 v3, v6, v2, v7
	s_delay_alu instid0(VALU_DEP_1) | instskip(SKIP_1) | instid1(VALU_DEP_2)
	v_div_scale_f32 v4, null, v3, v3, 1.0
	v_div_scale_f32 v31, vcc_lo, 1.0, v3, 1.0
	v_rcp_f32_e32 v5, v4
	v_xor_b32_e32 v4, 0x80000000, v4
	s_delay_alu instid0(TRANS32_DEP_1) | instid1(VALU_DEP_1)
	v_fma_f32 v30, v4, v5, 1.0
	s_delay_alu instid0(VALU_DEP_1) | instskip(NEXT) | instid1(VALU_DEP_1)
	v_fmac_f32_e32 v5, v30, v5
	v_mul_f32_e32 v30, v31, v5
	s_delay_alu instid0(VALU_DEP_1) | instskip(NEXT) | instid1(VALU_DEP_1)
	v_fma_f32 v32, v4, v30, v31
	v_fmac_f32_e32 v30, v32, v5
	s_delay_alu instid0(VALU_DEP_1) | instskip(SKIP_1) | instid1(VALU_DEP_1)
	v_fmac_f32_e32 v31, v4, v30
	s_wait_alu 0xfffd
	v_div_fmas_f32 v4, v31, v5, v30
	v_fma_f32 v5, v2, v0, v1
	v_fma_f32 v2, v2, v1, -v0
	s_delay_alu instid0(VALU_DEP_3) | instskip(NEXT) | instid1(VALU_DEP_1)
	v_div_fixup_f32 v3, v4, v3, 1.0
	v_mul_f32_e32 v4, v5, v3
	s_delay_alu instid0(VALU_DEP_3)
	v_mul_f32_e32 v5, v2, v3
.LBB162_28:                             ;   in Loop: Header=BB162_20 Depth=2
	s_wait_alu 0xfffe
	s_and_not1_b32 vcc_lo, exec_lo, s36
	s_wait_alu 0xfffe
	s_cbranch_vccnz .LBB162_30
; %bb.29:                               ;   in Loop: Header=BB162_20 Depth=2
	v_div_scale_f32 v2, null, v6, v6, v7
	v_div_scale_f32 v5, vcc_lo, v7, v6, v7
	s_delay_alu instid0(VALU_DEP_2)
	v_rcp_f32_e32 v3, v2
	v_xor_b32_e32 v2, 0x80000000, v2
	s_delay_alu instid0(TRANS32_DEP_1) | instid1(VALU_DEP_1)
	v_fma_f32 v4, v2, v3, 1.0
	s_delay_alu instid0(VALU_DEP_1) | instskip(NEXT) | instid1(VALU_DEP_1)
	v_fmac_f32_e32 v3, v4, v3
	v_mul_f32_e32 v4, v5, v3
	s_delay_alu instid0(VALU_DEP_1) | instskip(NEXT) | instid1(VALU_DEP_1)
	v_fma_f32 v30, v2, v4, v5
	v_fmac_f32_e32 v4, v30, v3
	s_delay_alu instid0(VALU_DEP_1) | instskip(SKIP_1) | instid1(VALU_DEP_1)
	v_fmac_f32_e32 v5, v2, v4
	s_wait_alu 0xfffd
	v_div_fmas_f32 v2, v5, v3, v4
	s_delay_alu instid0(VALU_DEP_1) | instskip(NEXT) | instid1(VALU_DEP_1)
	v_div_fixup_f32 v2, v2, v6, v7
	v_fmac_f32_e32 v6, v7, v2
	s_delay_alu instid0(VALU_DEP_1) | instskip(SKIP_1) | instid1(VALU_DEP_2)
	v_div_scale_f32 v3, null, v6, v6, 1.0
	v_div_scale_f32 v7, vcc_lo, 1.0, v6, 1.0
	v_rcp_f32_e32 v4, v3
	v_xor_b32_e32 v3, 0x80000000, v3
	s_delay_alu instid0(TRANS32_DEP_1) | instid1(VALU_DEP_1)
	v_fma_f32 v5, v3, v4, 1.0
	s_delay_alu instid0(VALU_DEP_1) | instskip(NEXT) | instid1(VALU_DEP_1)
	v_fmac_f32_e32 v4, v5, v4
	v_mul_f32_e32 v5, v7, v4
	s_delay_alu instid0(VALU_DEP_1) | instskip(NEXT) | instid1(VALU_DEP_1)
	v_fma_f32 v30, v3, v5, v7
	v_fmac_f32_e32 v5, v30, v4
	s_delay_alu instid0(VALU_DEP_1) | instskip(SKIP_1) | instid1(VALU_DEP_1)
	v_fmac_f32_e32 v7, v3, v5
	s_wait_alu 0xfffd
	v_div_fmas_f32 v3, v7, v4, v5
	v_fma_f32 v4, v2, v1, v0
	v_fma_f32 v0, -v2, v0, v1
	s_delay_alu instid0(VALU_DEP_3) | instskip(NEXT) | instid1(VALU_DEP_1)
	v_div_fixup_f32 v3, v3, v6, 1.0
	v_mul_f32_e32 v4, v4, v3
	s_delay_alu instid0(VALU_DEP_3)
	v_mul_f32_e32 v5, v0, v3
.LBB162_30:                             ;   in Loop: Header=BB162_20 Depth=2
	v_mov_b32_e32 v0, s35
	s_add_co_i32 s36, s35, 0xc8
	s_or_b32 s37, s34, 8
	s_mov_b32 s38, -1
	s_wait_alu 0xfffe
	s_sub_co_i32 s37, s36, s37
	ds_load_2addr_b64 v[0:3], v0 offset0:2 offset1:50
	s_wait_alu 0xfffe
	s_add_co_i32 s37, s37, s34
	ds_store_b64 v8, v[4:5] offset:192
	s_wait_dscnt 0x1
	s_wait_alu 0xfffe
	v_dual_mov_b32 v6, s37 :: v_dual_and_b32 v31, 0x7fffffff, v2
	ds_load_b64 v[6:7], v6 offset:16
	v_mul_f32_e32 v30, v20, v1
	v_mul_f32_e32 v1, v19, v1
	s_delay_alu instid0(VALU_DEP_2) | instskip(NEXT) | instid1(VALU_DEP_2)
	v_fma_f32 v30, v19, v0, -v30
	v_dual_fmac_f32 v1, v20, v0 :: v_dual_and_b32 v32, 0x7fffffff, v3
	s_delay_alu instid0(VALU_DEP_2) | instskip(NEXT) | instid1(VALU_DEP_2)
	v_sub_f32_e32 v17, v17, v30
	v_cmp_ngt_f32_e32 vcc_lo, v31, v32
	s_and_b32 vcc_lo, exec_lo, vcc_lo
	s_wait_dscnt 0x0
	v_dual_mul_f32 v0, v5, v7 :: v_dual_sub_f32 v1, v18, v1
	s_delay_alu instid0(VALU_DEP_1) | instskip(NEXT) | instid1(VALU_DEP_1)
	v_fma_f32 v0, v4, v6, -v0
	v_dual_mul_f32 v7, v4, v7 :: v_dual_sub_f32 v0, v17, v0
	s_delay_alu instid0(VALU_DEP_1) | instskip(NEXT) | instid1(VALU_DEP_1)
	v_fmac_f32_e32 v7, v5, v6
	v_sub_f32_e32 v1, v1, v7
                                        ; implicit-def: $vgpr7
	s_wait_alu 0xfffe
	s_cbranch_vccz .LBB162_32
; %bb.31:                               ;   in Loop: Header=BB162_20 Depth=2
	v_div_scale_f32 v6, null, v3, v3, v2
	v_div_scale_f32 v18, vcc_lo, v2, v3, v2
	s_mov_b32 s38, 0
	v_rcp_f32_e32 v7, v6
	v_xor_b32_e32 v6, 0x80000000, v6
	s_delay_alu instid0(TRANS32_DEP_1) | instid1(VALU_DEP_1)
	v_fma_f32 v17, v6, v7, 1.0
	s_delay_alu instid0(VALU_DEP_1) | instskip(NEXT) | instid1(VALU_DEP_1)
	v_fmac_f32_e32 v7, v17, v7
	v_mul_f32_e32 v17, v18, v7
	s_delay_alu instid0(VALU_DEP_1) | instskip(NEXT) | instid1(VALU_DEP_1)
	v_fma_f32 v30, v6, v17, v18
	v_fmac_f32_e32 v17, v30, v7
	s_delay_alu instid0(VALU_DEP_1) | instskip(SKIP_1) | instid1(VALU_DEP_1)
	v_fmac_f32_e32 v18, v6, v17
	s_wait_alu 0xfffd
	v_div_fmas_f32 v6, v18, v7, v17
	s_delay_alu instid0(VALU_DEP_1) | instskip(NEXT) | instid1(VALU_DEP_1)
	v_div_fixup_f32 v6, v6, v3, v2
	v_fma_f32 v7, v2, v6, v3
	s_delay_alu instid0(VALU_DEP_1) | instskip(SKIP_1) | instid1(VALU_DEP_2)
	v_div_scale_f32 v17, null, v7, v7, 1.0
	v_div_scale_f32 v31, vcc_lo, 1.0, v7, 1.0
	v_rcp_f32_e32 v18, v17
	v_xor_b32_e32 v17, 0x80000000, v17
	s_delay_alu instid0(TRANS32_DEP_1) | instid1(VALU_DEP_1)
	v_fma_f32 v30, v17, v18, 1.0
	s_delay_alu instid0(VALU_DEP_1) | instskip(NEXT) | instid1(VALU_DEP_1)
	v_fmac_f32_e32 v18, v30, v18
	v_mul_f32_e32 v30, v31, v18
	s_delay_alu instid0(VALU_DEP_1) | instskip(NEXT) | instid1(VALU_DEP_1)
	v_fma_f32 v32, v17, v30, v31
	v_fmac_f32_e32 v30, v32, v18
	s_delay_alu instid0(VALU_DEP_1) | instskip(SKIP_1) | instid1(VALU_DEP_1)
	v_fmac_f32_e32 v31, v17, v30
	s_wait_alu 0xfffd
	v_div_fmas_f32 v17, v31, v18, v30
	v_fma_f32 v18, v6, v0, v1
	s_delay_alu instid0(VALU_DEP_2) | instskip(SKIP_1) | instid1(VALU_DEP_2)
	v_div_fixup_f32 v7, v17, v7, 1.0
	v_fma_f32 v17, v6, v1, -v0
	v_mul_f32_e32 v6, v18, v7
	s_delay_alu instid0(VALU_DEP_2)
	v_mul_f32_e32 v7, v17, v7
.LBB162_32:                             ;   in Loop: Header=BB162_20 Depth=2
	s_wait_alu 0xfffe
	s_and_not1_b32 vcc_lo, exec_lo, s38
	s_wait_alu 0xfffe
	s_cbranch_vccnz .LBB162_34
; %bb.33:                               ;   in Loop: Header=BB162_20 Depth=2
	v_div_scale_f32 v6, null, v2, v2, v3
	v_div_scale_f32 v18, vcc_lo, v3, v2, v3
	s_delay_alu instid0(VALU_DEP_2)
	v_rcp_f32_e32 v7, v6
	v_xor_b32_e32 v6, 0x80000000, v6
	s_delay_alu instid0(TRANS32_DEP_1) | instid1(VALU_DEP_1)
	v_fma_f32 v17, v6, v7, 1.0
	s_delay_alu instid0(VALU_DEP_1) | instskip(NEXT) | instid1(VALU_DEP_1)
	v_fmac_f32_e32 v7, v17, v7
	v_mul_f32_e32 v17, v18, v7
	s_delay_alu instid0(VALU_DEP_1) | instskip(NEXT) | instid1(VALU_DEP_1)
	v_fma_f32 v30, v6, v17, v18
	v_fmac_f32_e32 v17, v30, v7
	s_delay_alu instid0(VALU_DEP_1) | instskip(SKIP_1) | instid1(VALU_DEP_1)
	v_fmac_f32_e32 v18, v6, v17
	s_wait_alu 0xfffd
	v_div_fmas_f32 v6, v18, v7, v17
	s_delay_alu instid0(VALU_DEP_1) | instskip(NEXT) | instid1(VALU_DEP_1)
	v_div_fixup_f32 v6, v6, v2, v3
	v_fmac_f32_e32 v2, v3, v6
	s_delay_alu instid0(VALU_DEP_1) | instskip(SKIP_1) | instid1(VALU_DEP_2)
	v_div_scale_f32 v3, null, v2, v2, 1.0
	v_div_scale_f32 v18, vcc_lo, 1.0, v2, 1.0
	v_rcp_f32_e32 v7, v3
	v_xor_b32_e32 v3, 0x80000000, v3
	s_delay_alu instid0(TRANS32_DEP_1) | instid1(VALU_DEP_1)
	v_fma_f32 v17, v3, v7, 1.0
	s_delay_alu instid0(VALU_DEP_1) | instskip(NEXT) | instid1(VALU_DEP_1)
	v_fmac_f32_e32 v7, v17, v7
	v_mul_f32_e32 v17, v18, v7
	s_delay_alu instid0(VALU_DEP_1) | instskip(NEXT) | instid1(VALU_DEP_1)
	v_fma_f32 v30, v3, v17, v18
	v_fmac_f32_e32 v17, v30, v7
	s_delay_alu instid0(VALU_DEP_1) | instskip(SKIP_1) | instid1(VALU_DEP_1)
	v_fmac_f32_e32 v18, v3, v17
	s_wait_alu 0xfffd
	v_div_fmas_f32 v3, v18, v7, v17
	v_fma_f32 v7, v6, v1, v0
	v_fma_f32 v0, -v6, v0, v1
	s_delay_alu instid0(VALU_DEP_3) | instskip(NEXT) | instid1(VALU_DEP_1)
	v_div_fixup_f32 v2, v3, v2, 1.0
	v_mul_f32_e32 v6, v7, v2
	s_delay_alu instid0(VALU_DEP_3)
	v_mul_f32_e32 v7, v0, v2
.LBB162_34:                             ;   in Loop: Header=BB162_20 Depth=2
	v_dual_mov_b32 v0, s35 :: v_dual_mov_b32 v17, s37
	s_or_b32 s35, s34, 16
	ds_store_b64 v8, v[6:7] offset:384
	s_wait_alu 0xfffe
	s_sub_co_i32 s35, s36, s35
	ds_load_2addr_b64 v[0:3], v0 offset0:3 offset1:75
	s_wait_alu 0xfffe
	s_add_co_i32 s34, s35, s34
	ds_load_b64 v[17:18], v17 offset:24
	s_wait_alu 0xfffe
	v_mov_b32_e32 v30, s34
	s_mov_b32 s34, -1
	s_wait_dscnt 0x1
	v_mul_f32_e32 v32, v20, v1
	v_mul_f32_e32 v1, v19, v1
	ds_load_b64 v[30:31], v30 offset:224
	s_wait_dscnt 0x1
	v_mul_f32_e32 v33, v5, v18
	v_mul_f32_e32 v18, v4, v18
	v_dual_fmac_f32 v1, v20, v0 :: v_dual_and_b32 v34, 0x7fffffff, v2
	v_fma_f32 v19, v19, v0, -v32
	s_delay_alu instid0(VALU_DEP_4) | instskip(NEXT) | instid1(VALU_DEP_4)
	v_fma_f32 v0, v4, v17, -v33
	v_fmac_f32_e32 v18, v5, v17
	s_wait_dscnt 0x0
	v_dual_sub_f32 v1, v10, v1 :: v_dual_mul_f32 v4, v7, v31
	v_mul_f32_e32 v5, v6, v31
	s_delay_alu instid0(VALU_DEP_2) | instskip(SKIP_1) | instid1(VALU_DEP_3)
	v_fma_f32 v4, v6, v30, -v4
	v_sub_f32_e32 v9, v9, v19
	v_dual_fmac_f32 v5, v7, v30 :: v_dual_and_b32 v10, 0x7fffffff, v3
	v_sub_f32_e32 v1, v1, v18
	s_delay_alu instid0(VALU_DEP_3) | instskip(NEXT) | instid1(VALU_DEP_3)
	v_sub_f32_e32 v0, v9, v0
	v_cmp_ngt_f32_e32 vcc_lo, v34, v10
	s_delay_alu instid0(VALU_DEP_2)
	v_dual_sub_f32 v5, v1, v5 :: v_dual_sub_f32 v4, v0, v4
                                        ; implicit-def: $vgpr1
	s_cbranch_vccz .LBB162_36
; %bb.35:                               ;   in Loop: Header=BB162_20 Depth=2
	v_div_scale_f32 v0, null, v3, v3, v2
	v_div_scale_f32 v7, vcc_lo, v2, v3, v2
	s_mov_b32 s34, 0
	v_rcp_f32_e32 v1, v0
	v_xor_b32_e32 v0, 0x80000000, v0
	s_delay_alu instid0(TRANS32_DEP_1) | instid1(VALU_DEP_1)
	v_fma_f32 v6, v0, v1, 1.0
	s_delay_alu instid0(VALU_DEP_1) | instskip(NEXT) | instid1(VALU_DEP_1)
	v_fmac_f32_e32 v1, v6, v1
	v_mul_f32_e32 v6, v7, v1
	s_delay_alu instid0(VALU_DEP_1) | instskip(NEXT) | instid1(VALU_DEP_1)
	v_fma_f32 v8, v0, v6, v7
	v_fmac_f32_e32 v6, v8, v1
	s_delay_alu instid0(VALU_DEP_1) | instskip(SKIP_1) | instid1(VALU_DEP_1)
	v_fmac_f32_e32 v7, v0, v6
	s_wait_alu 0xfffd
	v_div_fmas_f32 v0, v7, v1, v6
	s_delay_alu instid0(VALU_DEP_1) | instskip(NEXT) | instid1(VALU_DEP_1)
	v_div_fixup_f32 v0, v0, v3, v2
	v_fma_f32 v1, v2, v0, v3
	s_delay_alu instid0(VALU_DEP_1) | instskip(SKIP_1) | instid1(VALU_DEP_2)
	v_div_scale_f32 v6, null, v1, v1, 1.0
	v_div_scale_f32 v9, vcc_lo, 1.0, v1, 1.0
	v_rcp_f32_e32 v7, v6
	v_xor_b32_e32 v6, 0x80000000, v6
	s_delay_alu instid0(TRANS32_DEP_1) | instid1(VALU_DEP_1)
	v_fma_f32 v8, v6, v7, 1.0
	s_delay_alu instid0(VALU_DEP_1) | instskip(NEXT) | instid1(VALU_DEP_1)
	v_fmac_f32_e32 v7, v8, v7
	v_mul_f32_e32 v8, v9, v7
	s_delay_alu instid0(VALU_DEP_1) | instskip(NEXT) | instid1(VALU_DEP_1)
	v_fma_f32 v10, v6, v8, v9
	v_fmac_f32_e32 v8, v10, v7
	s_delay_alu instid0(VALU_DEP_1) | instskip(SKIP_1) | instid1(VALU_DEP_1)
	v_fmac_f32_e32 v9, v6, v8
	s_wait_alu 0xfffd
	v_div_fmas_f32 v6, v9, v7, v8
	v_fma_f32 v7, v0, v4, v5
	s_delay_alu instid0(VALU_DEP_2) | instskip(SKIP_1) | instid1(VALU_DEP_2)
	v_div_fixup_f32 v1, v6, v1, 1.0
	v_fma_f32 v6, v0, v5, -v4
	v_mul_f32_e32 v0, v7, v1
	s_delay_alu instid0(VALU_DEP_2)
	v_mul_f32_e32 v1, v6, v1
.LBB162_36:                             ;   in Loop: Header=BB162_20 Depth=2
	s_wait_alu 0xfffe
	s_and_not1_b32 vcc_lo, exec_lo, s34
	s_wait_alu 0xfffe
	s_cbranch_vccnz .LBB162_38
; %bb.37:                               ;   in Loop: Header=BB162_20 Depth=2
	v_div_scale_f32 v0, null, v2, v2, v3
	v_div_scale_f32 v7, vcc_lo, v3, v2, v3
	s_delay_alu instid0(VALU_DEP_2)
	v_rcp_f32_e32 v1, v0
	v_xor_b32_e32 v0, 0x80000000, v0
	s_delay_alu instid0(TRANS32_DEP_1) | instid1(VALU_DEP_1)
	v_fma_f32 v6, v0, v1, 1.0
	s_delay_alu instid0(VALU_DEP_1) | instskip(NEXT) | instid1(VALU_DEP_1)
	v_fmac_f32_e32 v1, v6, v1
	v_mul_f32_e32 v6, v7, v1
	s_delay_alu instid0(VALU_DEP_1) | instskip(NEXT) | instid1(VALU_DEP_1)
	v_fma_f32 v8, v0, v6, v7
	v_fmac_f32_e32 v6, v8, v1
	s_delay_alu instid0(VALU_DEP_1) | instskip(SKIP_1) | instid1(VALU_DEP_1)
	v_fmac_f32_e32 v7, v0, v6
	s_wait_alu 0xfffd
	v_div_fmas_f32 v0, v7, v1, v6
	s_delay_alu instid0(VALU_DEP_1) | instskip(NEXT) | instid1(VALU_DEP_1)
	v_div_fixup_f32 v0, v0, v2, v3
	v_fmac_f32_e32 v2, v3, v0
	s_delay_alu instid0(VALU_DEP_1) | instskip(SKIP_1) | instid1(VALU_DEP_2)
	v_div_scale_f32 v1, null, v2, v2, 1.0
	v_div_scale_f32 v7, vcc_lo, 1.0, v2, 1.0
	v_rcp_f32_e32 v3, v1
	v_xor_b32_e32 v1, 0x80000000, v1
	s_delay_alu instid0(TRANS32_DEP_1) | instid1(VALU_DEP_1)
	v_fma_f32 v6, v1, v3, 1.0
	s_delay_alu instid0(VALU_DEP_1) | instskip(NEXT) | instid1(VALU_DEP_1)
	v_fmac_f32_e32 v3, v6, v3
	v_mul_f32_e32 v6, v7, v3
	s_delay_alu instid0(VALU_DEP_1) | instskip(NEXT) | instid1(VALU_DEP_1)
	v_fma_f32 v8, v1, v6, v7
	v_fmac_f32_e32 v6, v8, v3
	s_delay_alu instid0(VALU_DEP_1) | instskip(SKIP_1) | instid1(VALU_DEP_1)
	v_fmac_f32_e32 v7, v1, v6
	s_wait_alu 0xfffd
	v_div_fmas_f32 v1, v7, v3, v6
	v_fma_f32 v3, v0, v5, v4
	s_delay_alu instid0(VALU_DEP_2) | instskip(SKIP_1) | instid1(VALU_DEP_2)
	v_div_fixup_f32 v1, v1, v2, 1.0
	v_fma_f32 v2, -v0, v4, v5
	v_mul_f32_e32 v0, v3, v1
	s_delay_alu instid0(VALU_DEP_2)
	v_mul_f32_e32 v1, v2, v1
.LBB162_38:                             ;   in Loop: Header=BB162_20 Depth=2
	s_add_co_i32 s34, s21, 4
	s_add_co_i32 s21, s21, 7
	;; [unrolled: 1-line block ×3, first 2 shown]
	s_wait_alu 0xfffe
	s_cmp_ge_i32 s21, s24
	ds_store_b64 v11, v[0:1]
	s_cbranch_scc1 .LBB162_40
; %bb.39:                               ;   in Loop: Header=BB162_20 Depth=2
	s_mov_b32 s21, s34
	s_branch .LBB162_20
.LBB162_40:                             ;   in Loop: Header=BB162_3 Depth=1
	s_cmp_ge_i32 s34, s24
	s_cbranch_scc1 .LBB162_49
; %bb.41:                               ;   in Loop: Header=BB162_3 Depth=1
	s_lshl_b32 s20, s34, 3
	s_branch .LBB162_43
.LBB162_42:                             ;   in Loop: Header=BB162_43 Depth=2
	s_add_co_i32 s34, s34, 1
	s_add_co_i32 s20, s20, 8
	s_wait_alu 0xfffe
	s_cmp_ge_i32 s34, s24
	ds_store_b64 v6, v[4:5]
	s_cbranch_scc1 .LBB162_49
.LBB162_43:                             ;   Parent Loop BB162_3 Depth=1
                                        ; =>  This Loop Header: Depth=2
                                        ;       Child Loop BB162_44 Depth 3
	s_mul_i32 s21, s34, 0xc0
	v_mov_b32_e32 v2, v14
	s_wait_alu 0xfffe
	v_add_nc_u32_e32 v6, s21, v14
	s_cmp_eq_u32 s34, 0
	s_mov_b32 s35, s20
	s_mov_b32 s36, s34
	ds_load_b64 v[0:1], v6
	s_cbranch_scc1 .LBB162_45
.LBB162_44:                             ;   Parent Loop BB162_3 Depth=1
                                        ;     Parent Loop BB162_43 Depth=2
                                        ; =>    This Inner Loop Header: Depth=3
	s_wait_alu 0xfffe
	v_mov_b32_e32 v5, s35
	s_add_co_i32 s36, s36, -1
	s_addk_co_i32 s35, 0xc0
	s_wait_alu 0xfffe
	s_cmp_eq_u32 s36, 0
	ds_load_b64 v[3:4], v2
	ds_load_b64 v[7:8], v5
	s_wait_dscnt 0x0
	v_dual_mul_f32 v5, v8, v4 :: v_dual_add_nc_u32 v2, 0xc0, v2
	v_mul_f32_e32 v4, v7, v4
	s_delay_alu instid0(VALU_DEP_2) | instskip(NEXT) | instid1(VALU_DEP_2)
	v_fma_f32 v5, v7, v3, -v5
	v_fmac_f32_e32 v4, v8, v3
	s_delay_alu instid0(VALU_DEP_1)
	v_dual_sub_f32 v0, v0, v5 :: v_dual_sub_f32 v1, v1, v4
	s_cbranch_scc0 .LBB162_44
.LBB162_45:                             ;   in Loop: Header=BB162_43 Depth=2
	s_lshl_b32 s35, s34, 3
	s_wait_alu 0xfffe
	s_add_co_i32 s21, s35, s21
	s_wait_alu 0xfffe
	v_mov_b32_e32 v2, s21
	s_mov_b32 s21, -1
	ds_load_b64 v[2:3], v2
	s_wait_dscnt 0x0
	v_and_b32_e32 v4, 0x7fffffff, v2
	v_and_b32_e32 v5, 0x7fffffff, v3
	s_delay_alu instid0(VALU_DEP_1)
	v_cmp_ngt_f32_e32 vcc_lo, v4, v5
                                        ; implicit-def: $vgpr4
	s_cbranch_vccz .LBB162_47
; %bb.46:                               ;   in Loop: Header=BB162_43 Depth=2
	v_div_scale_f32 v4, null, v3, v3, v2
	v_div_scale_f32 v8, vcc_lo, v2, v3, v2
	s_mov_b32 s21, 0
	v_rcp_f32_e32 v5, v4
	v_xor_b32_e32 v4, 0x80000000, v4
	s_delay_alu instid0(TRANS32_DEP_1) | instid1(VALU_DEP_1)
	v_fma_f32 v7, v4, v5, 1.0
	s_delay_alu instid0(VALU_DEP_1) | instskip(NEXT) | instid1(VALU_DEP_1)
	v_fmac_f32_e32 v5, v7, v5
	v_mul_f32_e32 v7, v8, v5
	s_delay_alu instid0(VALU_DEP_1) | instskip(NEXT) | instid1(VALU_DEP_1)
	v_fma_f32 v9, v4, v7, v8
	v_fmac_f32_e32 v7, v9, v5
	s_delay_alu instid0(VALU_DEP_1) | instskip(SKIP_1) | instid1(VALU_DEP_1)
	v_fmac_f32_e32 v8, v4, v7
	s_wait_alu 0xfffd
	v_div_fmas_f32 v4, v8, v5, v7
	s_delay_alu instid0(VALU_DEP_1) | instskip(NEXT) | instid1(VALU_DEP_1)
	v_div_fixup_f32 v4, v4, v3, v2
	v_fma_f32 v5, v2, v4, v3
	s_delay_alu instid0(VALU_DEP_1) | instskip(SKIP_1) | instid1(VALU_DEP_2)
	v_div_scale_f32 v7, null, v5, v5, 1.0
	v_div_scale_f32 v10, vcc_lo, 1.0, v5, 1.0
	v_rcp_f32_e32 v8, v7
	v_xor_b32_e32 v7, 0x80000000, v7
	s_delay_alu instid0(TRANS32_DEP_1) | instid1(VALU_DEP_1)
	v_fma_f32 v9, v7, v8, 1.0
	s_delay_alu instid0(VALU_DEP_1) | instskip(NEXT) | instid1(VALU_DEP_1)
	v_fmac_f32_e32 v8, v9, v8
	v_mul_f32_e32 v9, v10, v8
	s_delay_alu instid0(VALU_DEP_1) | instskip(NEXT) | instid1(VALU_DEP_1)
	v_fma_f32 v11, v7, v9, v10
	v_fmac_f32_e32 v9, v11, v8
	s_delay_alu instid0(VALU_DEP_1) | instskip(SKIP_1) | instid1(VALU_DEP_1)
	v_fmac_f32_e32 v10, v7, v9
	s_wait_alu 0xfffd
	v_div_fmas_f32 v7, v10, v8, v9
	v_fma_f32 v8, v0, v4, v1
	s_delay_alu instid0(VALU_DEP_2) | instskip(SKIP_1) | instid1(VALU_DEP_2)
	v_div_fixup_f32 v5, v7, v5, 1.0
	v_fma_f32 v7, v1, v4, -v0
	v_mul_f32_e32 v4, v8, v5
	s_delay_alu instid0(VALU_DEP_2)
	v_mul_f32_e32 v5, v7, v5
.LBB162_47:                             ;   in Loop: Header=BB162_43 Depth=2
	s_wait_alu 0xfffe
	s_and_not1_b32 vcc_lo, exec_lo, s21
	s_wait_alu 0xfffe
	s_cbranch_vccnz .LBB162_42
; %bb.48:                               ;   in Loop: Header=BB162_43 Depth=2
	v_div_scale_f32 v4, null, v2, v2, v3
	v_div_scale_f32 v8, vcc_lo, v3, v2, v3
	s_delay_alu instid0(VALU_DEP_2)
	v_rcp_f32_e32 v5, v4
	v_xor_b32_e32 v4, 0x80000000, v4
	s_delay_alu instid0(TRANS32_DEP_1) | instid1(VALU_DEP_1)
	v_fma_f32 v7, v4, v5, 1.0
	s_delay_alu instid0(VALU_DEP_1) | instskip(NEXT) | instid1(VALU_DEP_1)
	v_fmac_f32_e32 v5, v7, v5
	v_mul_f32_e32 v7, v8, v5
	s_delay_alu instid0(VALU_DEP_1) | instskip(NEXT) | instid1(VALU_DEP_1)
	v_fma_f32 v9, v4, v7, v8
	v_fmac_f32_e32 v7, v9, v5
	s_delay_alu instid0(VALU_DEP_1) | instskip(SKIP_1) | instid1(VALU_DEP_1)
	v_fmac_f32_e32 v8, v4, v7
	s_wait_alu 0xfffd
	v_div_fmas_f32 v4, v8, v5, v7
	s_delay_alu instid0(VALU_DEP_1) | instskip(NEXT) | instid1(VALU_DEP_1)
	v_div_fixup_f32 v4, v4, v2, v3
	v_fmac_f32_e32 v2, v3, v4
	s_delay_alu instid0(VALU_DEP_1) | instskip(SKIP_1) | instid1(VALU_DEP_2)
	v_div_scale_f32 v3, null, v2, v2, 1.0
	v_div_scale_f32 v8, vcc_lo, 1.0, v2, 1.0
	v_rcp_f32_e32 v5, v3
	v_xor_b32_e32 v3, 0x80000000, v3
	s_delay_alu instid0(TRANS32_DEP_1) | instid1(VALU_DEP_1)
	v_fma_f32 v7, v3, v5, 1.0
	s_delay_alu instid0(VALU_DEP_1) | instskip(NEXT) | instid1(VALU_DEP_1)
	v_fmac_f32_e32 v5, v7, v5
	v_mul_f32_e32 v7, v8, v5
	s_delay_alu instid0(VALU_DEP_1) | instskip(NEXT) | instid1(VALU_DEP_1)
	v_fma_f32 v9, v3, v7, v8
	v_fmac_f32_e32 v7, v9, v5
	s_delay_alu instid0(VALU_DEP_1) | instskip(SKIP_1) | instid1(VALU_DEP_1)
	v_fmac_f32_e32 v8, v3, v7
	s_wait_alu 0xfffd
	v_div_fmas_f32 v3, v8, v5, v7
	v_fma_f32 v5, v1, v4, v0
	v_fma_f32 v0, -v0, v4, v1
	s_delay_alu instid0(VALU_DEP_3) | instskip(NEXT) | instid1(VALU_DEP_1)
	v_div_fixup_f32 v2, v3, v2, 1.0
	v_mul_f32_e32 v4, v5, v2
	s_delay_alu instid0(VALU_DEP_3)
	v_mul_f32_e32 v5, v0, v2
	s_branch .LBB162_42
.LBB162_49:                             ;   in Loop: Header=BB162_3 Depth=1
	s_mov_b32 s20, 0
.LBB162_50:                             ;   in Loop: Header=BB162_3 Depth=1
	s_wait_alu 0xfffe
	s_and_b32 vcc_lo, exec_lo, s20
	s_wait_alu 0xfffe
	s_cbranch_vccz .LBB162_82
; %bb.51:                               ;   in Loop: Header=BB162_3 Depth=1
	s_mov_b32 s34, s25
	s_and_not1_b32 vcc_lo, exec_lo, s22
	s_mov_b32 s20, s29
	s_mov_b32 s21, s25
	s_wait_alu 0xfffe
	s_cbranch_vccnz .LBB162_73
.LBB162_52:                             ;   Parent Loop BB162_3 Depth=1
                                        ; =>  This Loop Header: Depth=2
                                        ;       Child Loop BB162_53 Depth 3
	s_wait_alu 0xfffe
	s_mul_i32 s35, s21, 0xc0
	s_mov_b32 s36, s25
	s_wait_alu 0xfffe
	v_add_nc_u32_e32 v20, s35, v14
	s_add_co_i32 s34, s35, 0xfffffdc0
	s_cmp_le_i32 s25, s21
	s_wait_alu 0xfffe
	v_add_nc_u32_e32 v17, s34, v14
	s_mov_b32 s34, s20
	v_dual_mov_b32 v4, v27 :: v_dual_add_nc_u32 v19, 0xffffff40, v20
	v_add_nc_u32_e32 v18, 0xfffffe80, v20
	ds_load_b64 v[8:9], v20
	ds_load_b64 v[6:7], v19
	;; [unrolled: 1-line block ×4, first 2 shown]
	s_cbranch_scc1 .LBB162_54
.LBB162_53:                             ;   Parent Loop BB162_3 Depth=1
                                        ;     Parent Loop BB162_52 Depth=2
                                        ; =>    This Inner Loop Header: Depth=3
	s_wait_alu 0xfffe
	v_mov_b32_e32 v5, s34
	s_add_co_i32 s36, s36, -1
	s_addk_co_i32 s34, 0xff40
	s_wait_alu 0xfffe
	s_cmp_le_i32 s36, s21
	ds_load_b64 v[10:11], v4
	ds_load_2addr_b64 v[30:33], v5 offset0:2 offset1:3
	ds_load_2addr_b64 v[34:37], v5 offset1:1
	s_wait_dscnt 0x1
	v_dual_mul_f32 v5, v33, v11 :: v_dual_add_nc_u32 v4, 0xffffff40, v4
	v_mul_f32_e32 v38, v32, v11
	v_mul_f32_e32 v39, v31, v11
	s_wait_dscnt 0x0
	v_dual_mul_f32 v31, v31, v10 :: v_dual_mul_f32 v40, v37, v11
	v_mul_f32_e32 v41, v35, v11
	v_mul_f32_e32 v35, v35, v10
	v_fma_f32 v5, v32, v10, -v5
	v_mul_f32_e32 v37, v37, v10
	v_fmac_f32_e32 v38, v33, v10
	v_fma_f32 v32, v30, v10, -v39
	v_fmac_f32_e32 v31, v30, v11
	v_fma_f32 v30, v36, v10, -v40
	v_dual_fmac_f32 v35, v34, v11 :: v_dual_sub_f32 v8, v8, v5
	v_fmac_f32_e32 v37, v36, v11
	v_sub_f32_e32 v9, v9, v38
	s_delay_alu instid0(VALU_DEP_4) | instskip(SKIP_1) | instid1(VALU_DEP_4)
	v_sub_f32_e32 v2, v2, v30
	v_fma_f32 v10, v34, v10, -v41
	v_dual_sub_f32 v6, v6, v32 :: v_dual_sub_f32 v3, v3, v37
	s_delay_alu instid0(VALU_DEP_2)
	v_dual_sub_f32 v1, v1, v35 :: v_dual_sub_f32 v0, v0, v10
	v_sub_f32_e32 v7, v7, v31
	s_cbranch_scc0 .LBB162_53
.LBB162_54:                             ;   in Loop: Header=BB162_52 Depth=2
	s_add_co_i32 s34, s21, -3
; %bb.55:                               ;   in Loop: Header=BB162_52 Depth=2
	s_lshl_b32 s36, s21, 3
	s_wait_alu 0xfffe
	s_add_co_i32 s35, s36, s35
	s_mov_b32 s36, -1
	s_wait_alu 0xfffe
	v_mov_b32_e32 v4, s35
	ds_load_b64 v[10:11], v4
	s_wait_dscnt 0x0
	v_and_b32_e32 v4, 0x7fffffff, v10
	v_and_b32_e32 v5, 0x7fffffff, v11
	s_delay_alu instid0(VALU_DEP_1)
	v_cmp_ngt_f32_e32 vcc_lo, v4, v5
                                        ; implicit-def: $vgpr5
	s_cbranch_vccz .LBB162_57
; %bb.56:                               ;   in Loop: Header=BB162_52 Depth=2
	v_div_scale_f32 v4, null, v11, v11, v10
	v_div_scale_f32 v31, vcc_lo, v10, v11, v10
	s_mov_b32 s36, 0
	v_rcp_f32_e32 v5, v4
	v_xor_b32_e32 v4, 0x80000000, v4
	s_delay_alu instid0(TRANS32_DEP_1) | instid1(VALU_DEP_1)
	v_fma_f32 v30, v4, v5, 1.0
	s_delay_alu instid0(VALU_DEP_1) | instskip(NEXT) | instid1(VALU_DEP_1)
	v_fmac_f32_e32 v5, v30, v5
	v_mul_f32_e32 v30, v31, v5
	s_delay_alu instid0(VALU_DEP_1) | instskip(NEXT) | instid1(VALU_DEP_1)
	v_fma_f32 v32, v4, v30, v31
	v_fmac_f32_e32 v30, v32, v5
	s_delay_alu instid0(VALU_DEP_1) | instskip(SKIP_1) | instid1(VALU_DEP_1)
	v_fmac_f32_e32 v31, v4, v30
	s_wait_alu 0xfffd
	v_div_fmas_f32 v4, v31, v5, v30
	s_delay_alu instid0(VALU_DEP_1) | instskip(NEXT) | instid1(VALU_DEP_1)
	v_div_fixup_f32 v4, v4, v11, v10
	v_fma_f32 v5, v10, v4, v11
	s_delay_alu instid0(VALU_DEP_1) | instskip(SKIP_1) | instid1(VALU_DEP_2)
	v_div_scale_f32 v30, null, v5, v5, 1.0
	v_div_scale_f32 v33, vcc_lo, 1.0, v5, 1.0
	v_rcp_f32_e32 v31, v30
	v_xor_b32_e32 v30, 0x80000000, v30
	s_delay_alu instid0(TRANS32_DEP_1) | instid1(VALU_DEP_1)
	v_fma_f32 v32, v30, v31, 1.0
	s_delay_alu instid0(VALU_DEP_1) | instskip(NEXT) | instid1(VALU_DEP_1)
	v_fmac_f32_e32 v31, v32, v31
	v_mul_f32_e32 v32, v33, v31
	s_delay_alu instid0(VALU_DEP_1) | instskip(NEXT) | instid1(VALU_DEP_1)
	v_fma_f32 v34, v30, v32, v33
	v_fmac_f32_e32 v32, v34, v31
	s_delay_alu instid0(VALU_DEP_1) | instskip(SKIP_1) | instid1(VALU_DEP_1)
	v_fmac_f32_e32 v33, v30, v32
	s_wait_alu 0xfffd
	v_div_fmas_f32 v30, v33, v31, v32
	v_fma_f32 v31, v8, v4, v9
	s_delay_alu instid0(VALU_DEP_2) | instskip(SKIP_1) | instid1(VALU_DEP_2)
	v_div_fixup_f32 v5, v30, v5, 1.0
	v_fma_f32 v30, v9, v4, -v8
	v_mul_f32_e32 v4, v31, v5
	s_delay_alu instid0(VALU_DEP_2)
	v_mul_f32_e32 v5, v30, v5
.LBB162_57:                             ;   in Loop: Header=BB162_52 Depth=2
	s_wait_alu 0xfffe
	s_and_not1_b32 vcc_lo, exec_lo, s36
	s_wait_alu 0xfffe
	s_cbranch_vccnz .LBB162_59
; %bb.58:                               ;   in Loop: Header=BB162_52 Depth=2
	v_div_scale_f32 v4, null, v10, v10, v11
	v_div_scale_f32 v31, vcc_lo, v11, v10, v11
	s_delay_alu instid0(VALU_DEP_2)
	v_rcp_f32_e32 v5, v4
	v_xor_b32_e32 v4, 0x80000000, v4
	s_delay_alu instid0(TRANS32_DEP_1) | instid1(VALU_DEP_1)
	v_fma_f32 v30, v4, v5, 1.0
	s_delay_alu instid0(VALU_DEP_1) | instskip(NEXT) | instid1(VALU_DEP_1)
	v_fmac_f32_e32 v5, v30, v5
	v_mul_f32_e32 v30, v31, v5
	s_delay_alu instid0(VALU_DEP_1) | instskip(NEXT) | instid1(VALU_DEP_1)
	v_fma_f32 v32, v4, v30, v31
	v_fmac_f32_e32 v30, v32, v5
	s_delay_alu instid0(VALU_DEP_1) | instskip(SKIP_1) | instid1(VALU_DEP_1)
	v_fmac_f32_e32 v31, v4, v30
	s_wait_alu 0xfffd
	v_div_fmas_f32 v4, v31, v5, v30
	s_delay_alu instid0(VALU_DEP_1) | instskip(NEXT) | instid1(VALU_DEP_1)
	v_div_fixup_f32 v4, v4, v10, v11
	v_fmac_f32_e32 v10, v11, v4
	s_delay_alu instid0(VALU_DEP_1) | instskip(SKIP_1) | instid1(VALU_DEP_2)
	v_div_scale_f32 v5, null, v10, v10, 1.0
	v_div_scale_f32 v31, vcc_lo, 1.0, v10, 1.0
	v_rcp_f32_e32 v11, v5
	v_xor_b32_e32 v5, 0x80000000, v5
	s_delay_alu instid0(TRANS32_DEP_1) | instid1(VALU_DEP_1)
	v_fma_f32 v30, v5, v11, 1.0
	s_delay_alu instid0(VALU_DEP_1) | instskip(NEXT) | instid1(VALU_DEP_1)
	v_fmac_f32_e32 v11, v30, v11
	v_mul_f32_e32 v30, v31, v11
	s_delay_alu instid0(VALU_DEP_1) | instskip(NEXT) | instid1(VALU_DEP_1)
	v_fma_f32 v32, v5, v30, v31
	v_fmac_f32_e32 v30, v32, v11
	s_delay_alu instid0(VALU_DEP_1) | instskip(SKIP_1) | instid1(VALU_DEP_1)
	v_fmac_f32_e32 v31, v5, v30
	s_wait_alu 0xfffd
	v_div_fmas_f32 v5, v31, v11, v30
	v_fma_f32 v11, v9, v4, v8
	v_fma_f32 v8, -v8, v4, v9
	s_delay_alu instid0(VALU_DEP_3) | instskip(NEXT) | instid1(VALU_DEP_1)
	v_div_fixup_f32 v5, v5, v10, 1.0
	v_mul_f32_e32 v4, v11, v5
	s_delay_alu instid0(VALU_DEP_3)
	v_mul_f32_e32 v5, v8, v5
.LBB162_59:                             ;   in Loop: Header=BB162_52 Depth=2
	s_add_co_i32 s37, s35, -8
	s_add_co_i32 s36, s35, 0xffffff38
	s_wait_alu 0xfffe
	v_dual_mov_b32 v8, s37 :: v_dual_mov_b32 v9, s36
	s_mov_b32 s37, -1
	ds_load_b64 v[10:11], v8
	ds_load_b64 v[8:9], v9
	ds_store_b64 v20, v[4:5]
	s_wait_dscnt 0x1
	v_dual_mul_f32 v30, v5, v11 :: v_dual_and_b32 v31, 0x7fffffff, v8
	v_dual_mul_f32 v11, v4, v11 :: v_dual_and_b32 v32, 0x7fffffff, v9
	s_delay_alu instid0(VALU_DEP_2) | instskip(NEXT) | instid1(VALU_DEP_2)
	v_fma_f32 v30, v4, v10, -v30
	v_fmac_f32_e32 v11, v5, v10
	s_delay_alu instid0(VALU_DEP_3) | instskip(NEXT) | instid1(VALU_DEP_2)
	v_cmp_ngt_f32_e32 vcc_lo, v31, v32
	v_dual_sub_f32 v10, v6, v30 :: v_dual_sub_f32 v11, v7, v11
                                        ; implicit-def: $vgpr7
	s_cbranch_vccz .LBB162_61
; %bb.60:                               ;   in Loop: Header=BB162_52 Depth=2
	v_div_scale_f32 v6, null, v9, v9, v8
	v_div_scale_f32 v30, vcc_lo, v8, v9, v8
	s_mov_b32 s37, 0
	v_rcp_f32_e32 v7, v6
	v_xor_b32_e32 v6, 0x80000000, v6
	s_delay_alu instid0(TRANS32_DEP_1) | instid1(VALU_DEP_1)
	v_fma_f32 v20, v6, v7, 1.0
	s_delay_alu instid0(VALU_DEP_1) | instskip(NEXT) | instid1(VALU_DEP_1)
	v_fmac_f32_e32 v7, v20, v7
	v_mul_f32_e32 v20, v30, v7
	s_delay_alu instid0(VALU_DEP_1) | instskip(NEXT) | instid1(VALU_DEP_1)
	v_fma_f32 v31, v6, v20, v30
	v_fmac_f32_e32 v20, v31, v7
	s_delay_alu instid0(VALU_DEP_1) | instskip(SKIP_1) | instid1(VALU_DEP_1)
	v_fmac_f32_e32 v30, v6, v20
	s_wait_alu 0xfffd
	v_div_fmas_f32 v6, v30, v7, v20
	s_delay_alu instid0(VALU_DEP_1) | instskip(NEXT) | instid1(VALU_DEP_1)
	v_div_fixup_f32 v6, v6, v9, v8
	v_fma_f32 v7, v8, v6, v9
	s_delay_alu instid0(VALU_DEP_1) | instskip(SKIP_1) | instid1(VALU_DEP_2)
	v_div_scale_f32 v20, null, v7, v7, 1.0
	v_div_scale_f32 v32, vcc_lo, 1.0, v7, 1.0
	v_rcp_f32_e32 v30, v20
	v_xor_b32_e32 v20, 0x80000000, v20
	s_delay_alu instid0(TRANS32_DEP_1) | instid1(VALU_DEP_1)
	v_fma_f32 v31, v20, v30, 1.0
	s_delay_alu instid0(VALU_DEP_1) | instskip(NEXT) | instid1(VALU_DEP_1)
	v_fmac_f32_e32 v30, v31, v30
	v_mul_f32_e32 v31, v32, v30
	s_delay_alu instid0(VALU_DEP_1) | instskip(NEXT) | instid1(VALU_DEP_1)
	v_fma_f32 v33, v20, v31, v32
	v_fmac_f32_e32 v31, v33, v30
	s_delay_alu instid0(VALU_DEP_1) | instskip(SKIP_1) | instid1(VALU_DEP_1)
	v_fmac_f32_e32 v32, v20, v31
	s_wait_alu 0xfffd
	v_div_fmas_f32 v20, v32, v30, v31
	v_fma_f32 v30, v6, v10, v11
	s_delay_alu instid0(VALU_DEP_2) | instskip(SKIP_1) | instid1(VALU_DEP_2)
	v_div_fixup_f32 v7, v20, v7, 1.0
	v_fma_f32 v20, v6, v11, -v10
	v_mul_f32_e32 v6, v30, v7
	s_delay_alu instid0(VALU_DEP_2)
	v_mul_f32_e32 v7, v20, v7
.LBB162_61:                             ;   in Loop: Header=BB162_52 Depth=2
	s_wait_alu 0xfffe
	s_and_not1_b32 vcc_lo, exec_lo, s37
	s_wait_alu 0xfffe
	s_cbranch_vccnz .LBB162_63
; %bb.62:                               ;   in Loop: Header=BB162_52 Depth=2
	v_div_scale_f32 v6, null, v8, v8, v9
	v_div_scale_f32 v30, vcc_lo, v9, v8, v9
	s_delay_alu instid0(VALU_DEP_2)
	v_rcp_f32_e32 v7, v6
	v_xor_b32_e32 v6, 0x80000000, v6
	s_delay_alu instid0(TRANS32_DEP_1) | instid1(VALU_DEP_1)
	v_fma_f32 v20, v6, v7, 1.0
	s_delay_alu instid0(VALU_DEP_1) | instskip(NEXT) | instid1(VALU_DEP_1)
	v_fmac_f32_e32 v7, v20, v7
	v_mul_f32_e32 v20, v30, v7
	s_delay_alu instid0(VALU_DEP_1) | instskip(NEXT) | instid1(VALU_DEP_1)
	v_fma_f32 v31, v6, v20, v30
	v_fmac_f32_e32 v20, v31, v7
	s_delay_alu instid0(VALU_DEP_1) | instskip(SKIP_1) | instid1(VALU_DEP_1)
	v_fmac_f32_e32 v30, v6, v20
	s_wait_alu 0xfffd
	v_div_fmas_f32 v6, v30, v7, v20
	s_delay_alu instid0(VALU_DEP_1) | instskip(NEXT) | instid1(VALU_DEP_1)
	v_div_fixup_f32 v6, v6, v8, v9
	v_fmac_f32_e32 v8, v9, v6
	s_delay_alu instid0(VALU_DEP_1) | instskip(NEXT) | instid1(VALU_DEP_1)
	v_div_scale_f32 v7, null, v8, v8, 1.0
	v_rcp_f32_e32 v9, v7
	v_xor_b32_e32 v7, 0x80000000, v7
	s_delay_alu instid0(TRANS32_DEP_1) | instid1(VALU_DEP_1)
	v_fma_f32 v20, v7, v9, 1.0
	s_delay_alu instid0(VALU_DEP_1) | instskip(SKIP_1) | instid1(VALU_DEP_1)
	v_fmac_f32_e32 v9, v20, v9
	v_div_scale_f32 v30, vcc_lo, 1.0, v8, 1.0
	v_mul_f32_e32 v20, v30, v9
	s_delay_alu instid0(VALU_DEP_1) | instskip(NEXT) | instid1(VALU_DEP_1)
	v_fma_f32 v31, v7, v20, v30
	v_fmac_f32_e32 v20, v31, v9
	s_delay_alu instid0(VALU_DEP_1) | instskip(SKIP_1) | instid1(VALU_DEP_1)
	v_fmac_f32_e32 v30, v7, v20
	s_wait_alu 0xfffd
	v_div_fmas_f32 v7, v30, v9, v20
	v_fma_f32 v9, v6, v11, v10
	s_delay_alu instid0(VALU_DEP_2) | instskip(SKIP_1) | instid1(VALU_DEP_2)
	v_div_fixup_f32 v7, v7, v8, 1.0
	v_fma_f32 v8, -v6, v10, v11
	v_mul_f32_e32 v6, v9, v7
	s_delay_alu instid0(VALU_DEP_2)
	v_mul_f32_e32 v7, v8, v7
.LBB162_63:                             ;   in Loop: Header=BB162_52 Depth=2
	s_add_co_i32 s38, s21, -1
	s_add_co_i32 s37, s35, -16
	s_wait_alu 0xfffe
	s_lshl_b32 s38, s38, 3
	s_wait_alu 0xfffe
	s_sub_co_i32 s38, s36, s38
	s_add_co_i32 s36, s35, 0xfffffe70
	s_wait_alu 0xfffe
	v_dual_mov_b32 v8, s37 :: v_dual_mov_b32 v9, s36
	s_add_co_i32 s37, s21, -2
	s_wait_alu 0xfffe
	s_lshl_b32 s37, s37, 3
	ds_load_b64 v[10:11], v8
	s_wait_alu 0xfffe
	s_add_co_i32 s39, s38, s37
	s_wait_alu 0xfffe
	v_mov_b32_e32 v8, s39
	s_mov_b32 s39, -1
	s_wait_dscnt 0x0
	v_mul_f32_e32 v20, v5, v11
	v_mul_f32_e32 v11, v4, v11
	ds_load_b64 v[30:31], v8
	ds_load_b64 v[8:9], v9
	ds_store_b64 v19, v[6:7]
	v_fmac_f32_e32 v11, v5, v10
	s_wait_dscnt 0x1
	v_and_b32_e32 v33, 0x7fffffff, v9
	v_fma_f32 v20, v4, v10, -v20
	v_mul_f32_e32 v10, v7, v31
	v_dual_mul_f32 v31, v6, v31 :: v_dual_and_b32 v32, 0x7fffffff, v8
	s_delay_alu instid0(VALU_DEP_3) | instskip(NEXT) | instid1(VALU_DEP_3)
	v_dual_sub_f32 v3, v3, v11 :: v_dual_sub_f32 v2, v2, v20
	v_fma_f32 v10, v6, v30, -v10
	s_delay_alu instid0(VALU_DEP_3) | instskip(NEXT) | instid1(VALU_DEP_4)
	v_fmac_f32_e32 v31, v7, v30
	v_cmp_ngt_f32_e32 vcc_lo, v32, v33
	s_delay_alu instid0(VALU_DEP_2)
	v_dual_sub_f32 v2, v2, v10 :: v_dual_sub_f32 v3, v3, v31
                                        ; implicit-def: $vgpr11
	s_cbranch_vccz .LBB162_65
; %bb.64:                               ;   in Loop: Header=BB162_52 Depth=2
	v_div_scale_f32 v10, null, v9, v9, v8
	v_div_scale_f32 v20, vcc_lo, v8, v9, v8
	s_mov_b32 s39, 0
	v_rcp_f32_e32 v11, v10
	v_xor_b32_e32 v10, 0x80000000, v10
	s_delay_alu instid0(TRANS32_DEP_1) | instid1(VALU_DEP_1)
	v_fma_f32 v19, v10, v11, 1.0
	s_delay_alu instid0(VALU_DEP_1) | instskip(NEXT) | instid1(VALU_DEP_1)
	v_fmac_f32_e32 v11, v19, v11
	v_mul_f32_e32 v19, v20, v11
	s_delay_alu instid0(VALU_DEP_1) | instskip(NEXT) | instid1(VALU_DEP_1)
	v_fma_f32 v30, v10, v19, v20
	v_fmac_f32_e32 v19, v30, v11
	s_delay_alu instid0(VALU_DEP_1) | instskip(SKIP_1) | instid1(VALU_DEP_1)
	v_fmac_f32_e32 v20, v10, v19
	s_wait_alu 0xfffd
	v_div_fmas_f32 v10, v20, v11, v19
	s_delay_alu instid0(VALU_DEP_1) | instskip(NEXT) | instid1(VALU_DEP_1)
	v_div_fixup_f32 v10, v10, v9, v8
	v_fma_f32 v11, v8, v10, v9
	s_delay_alu instid0(VALU_DEP_1) | instskip(SKIP_1) | instid1(VALU_DEP_2)
	v_div_scale_f32 v19, null, v11, v11, 1.0
	v_div_scale_f32 v31, vcc_lo, 1.0, v11, 1.0
	v_rcp_f32_e32 v20, v19
	v_xor_b32_e32 v19, 0x80000000, v19
	s_delay_alu instid0(TRANS32_DEP_1) | instid1(VALU_DEP_1)
	v_fma_f32 v30, v19, v20, 1.0
	s_delay_alu instid0(VALU_DEP_1) | instskip(NEXT) | instid1(VALU_DEP_1)
	v_fmac_f32_e32 v20, v30, v20
	v_mul_f32_e32 v30, v31, v20
	s_delay_alu instid0(VALU_DEP_1) | instskip(NEXT) | instid1(VALU_DEP_1)
	v_fma_f32 v32, v19, v30, v31
	v_fmac_f32_e32 v30, v32, v20
	s_delay_alu instid0(VALU_DEP_1) | instskip(SKIP_1) | instid1(VALU_DEP_1)
	v_fmac_f32_e32 v31, v19, v30
	s_wait_alu 0xfffd
	v_div_fmas_f32 v19, v31, v20, v30
	v_fma_f32 v20, v10, v2, v3
	s_delay_alu instid0(VALU_DEP_2) | instskip(SKIP_1) | instid1(VALU_DEP_2)
	v_div_fixup_f32 v11, v19, v11, 1.0
	v_fma_f32 v19, v10, v3, -v2
	v_mul_f32_e32 v10, v20, v11
	s_delay_alu instid0(VALU_DEP_2)
	v_mul_f32_e32 v11, v19, v11
.LBB162_65:                             ;   in Loop: Header=BB162_52 Depth=2
	s_wait_alu 0xfffe
	s_and_not1_b32 vcc_lo, exec_lo, s39
	s_wait_alu 0xfffe
	s_cbranch_vccnz .LBB162_67
; %bb.66:                               ;   in Loop: Header=BB162_52 Depth=2
	v_div_scale_f32 v10, null, v8, v8, v9
	v_div_scale_f32 v20, vcc_lo, v9, v8, v9
	s_delay_alu instid0(VALU_DEP_2)
	v_rcp_f32_e32 v11, v10
	v_xor_b32_e32 v10, 0x80000000, v10
	s_delay_alu instid0(TRANS32_DEP_1) | instid1(VALU_DEP_1)
	v_fma_f32 v19, v10, v11, 1.0
	s_delay_alu instid0(VALU_DEP_1) | instskip(NEXT) | instid1(VALU_DEP_1)
	v_fmac_f32_e32 v11, v19, v11
	v_mul_f32_e32 v19, v20, v11
	s_delay_alu instid0(VALU_DEP_1) | instskip(NEXT) | instid1(VALU_DEP_1)
	v_fma_f32 v30, v10, v19, v20
	v_fmac_f32_e32 v19, v30, v11
	s_delay_alu instid0(VALU_DEP_1) | instskip(SKIP_1) | instid1(VALU_DEP_1)
	v_fmac_f32_e32 v20, v10, v19
	s_wait_alu 0xfffd
	v_div_fmas_f32 v10, v20, v11, v19
	s_delay_alu instid0(VALU_DEP_1) | instskip(NEXT) | instid1(VALU_DEP_1)
	v_div_fixup_f32 v10, v10, v8, v9
	v_fmac_f32_e32 v8, v9, v10
	s_delay_alu instid0(VALU_DEP_1) | instskip(SKIP_1) | instid1(VALU_DEP_2)
	v_div_scale_f32 v9, null, v8, v8, 1.0
	v_div_scale_f32 v20, vcc_lo, 1.0, v8, 1.0
	v_rcp_f32_e32 v11, v9
	v_xor_b32_e32 v9, 0x80000000, v9
	s_delay_alu instid0(TRANS32_DEP_1) | instid1(VALU_DEP_1)
	v_fma_f32 v19, v9, v11, 1.0
	s_delay_alu instid0(VALU_DEP_1) | instskip(NEXT) | instid1(VALU_DEP_1)
	v_fmac_f32_e32 v11, v19, v11
	v_mul_f32_e32 v19, v20, v11
	s_delay_alu instid0(VALU_DEP_1) | instskip(NEXT) | instid1(VALU_DEP_1)
	v_fma_f32 v30, v9, v19, v20
	v_fmac_f32_e32 v19, v30, v11
	s_delay_alu instid0(VALU_DEP_1) | instskip(SKIP_1) | instid1(VALU_DEP_1)
	v_fmac_f32_e32 v20, v9, v19
	s_wait_alu 0xfffd
	v_div_fmas_f32 v9, v20, v11, v19
	v_fma_f32 v11, v10, v3, v2
	v_fma_f32 v2, -v10, v2, v3
	s_delay_alu instid0(VALU_DEP_3) | instskip(NEXT) | instid1(VALU_DEP_1)
	v_div_fixup_f32 v8, v9, v8, 1.0
	v_mul_f32_e32 v10, v11, v8
	s_delay_alu instid0(VALU_DEP_3)
	v_mul_f32_e32 v11, v2, v8
.LBB162_67:                             ;   in Loop: Header=BB162_52 Depth=2
	s_sub_co_i32 s35, s35, 24
	s_lshl_b32 s34, s34, 3
	s_wait_alu 0xfffe
	v_mov_b32_e32 v2, s35
	s_add_co_i32 s35, s38, s34
	s_sub_co_i32 s37, s36, s37
	s_wait_alu 0xfffe
	v_mov_b32_e32 v3, s35
	s_add_co_i32 s34, s37, s34
	ds_load_b64 v[8:9], v2
	ds_load_b64 v[19:20], v3
	s_wait_alu 0xfffe
	v_mov_b32_e32 v30, s34
	s_add_co_i32 s34, s36, 0xffffff38
	s_wait_alu 0xfffe
	v_mov_b32_e32 v2, s34
	s_mov_b32 s34, -1
	s_wait_dscnt 0x1
	v_mul_f32_e32 v32, v5, v9
	v_mul_f32_e32 v9, v4, v9
	s_wait_dscnt 0x0
	v_mul_f32_e32 v33, v7, v20
	ds_load_b64 v[30:31], v30
	ds_load_b64 v[2:3], v2
	v_mul_f32_e32 v20, v6, v20
	ds_store_b64 v18, v[10:11]
	v_fmac_f32_e32 v9, v5, v8
	v_fma_f32 v6, v6, v19, -v33
	s_wait_dscnt 0x2
	s_delay_alu instid0(VALU_DEP_2)
	v_dual_sub_f32 v1, v1, v9 :: v_dual_mul_f32 v34, v11, v31
	v_mul_f32_e32 v31, v10, v31
	v_fma_f32 v4, v4, v8, -v32
	s_wait_dscnt 0x1
	v_dual_fmac_f32 v20, v7, v19 :: v_dual_and_b32 v5, 0x7fffffff, v2
	v_fma_f32 v7, v10, v30, -v34
	s_delay_alu instid0(VALU_DEP_3) | instskip(NEXT) | instid1(VALU_DEP_3)
	v_dual_fmac_f32 v31, v11, v30 :: v_dual_sub_f32 v0, v0, v4
	v_dual_sub_f32 v1, v1, v20 :: v_dual_and_b32 v4, 0x7fffffff, v3
	s_delay_alu instid0(VALU_DEP_2) | instskip(NEXT) | instid1(VALU_DEP_2)
	v_sub_f32_e32 v0, v0, v6
	v_cmp_ngt_f32_e32 vcc_lo, v5, v4
	s_delay_alu instid0(VALU_DEP_3) | instskip(NEXT) | instid1(VALU_DEP_3)
	v_sub_f32_e32 v5, v1, v31
	v_sub_f32_e32 v4, v0, v7
                                        ; implicit-def: $vgpr1
	s_cbranch_vccz .LBB162_69
; %bb.68:                               ;   in Loop: Header=BB162_52 Depth=2
	v_div_scale_f32 v0, null, v3, v3, v2
	v_div_scale_f32 v7, vcc_lo, v2, v3, v2
	s_mov_b32 s34, 0
	v_rcp_f32_e32 v1, v0
	v_xor_b32_e32 v0, 0x80000000, v0
	s_delay_alu instid0(TRANS32_DEP_1) | instid1(VALU_DEP_1)
	v_fma_f32 v6, v0, v1, 1.0
	s_delay_alu instid0(VALU_DEP_1) | instskip(NEXT) | instid1(VALU_DEP_1)
	v_fmac_f32_e32 v1, v6, v1
	v_mul_f32_e32 v6, v7, v1
	s_delay_alu instid0(VALU_DEP_1) | instskip(NEXT) | instid1(VALU_DEP_1)
	v_fma_f32 v8, v0, v6, v7
	v_fmac_f32_e32 v6, v8, v1
	s_delay_alu instid0(VALU_DEP_1) | instskip(SKIP_1) | instid1(VALU_DEP_1)
	v_fmac_f32_e32 v7, v0, v6
	s_wait_alu 0xfffd
	v_div_fmas_f32 v0, v7, v1, v6
	s_delay_alu instid0(VALU_DEP_1) | instskip(NEXT) | instid1(VALU_DEP_1)
	v_div_fixup_f32 v0, v0, v3, v2
	v_fma_f32 v1, v2, v0, v3
	s_delay_alu instid0(VALU_DEP_1) | instskip(SKIP_1) | instid1(VALU_DEP_2)
	v_div_scale_f32 v6, null, v1, v1, 1.0
	v_div_scale_f32 v9, vcc_lo, 1.0, v1, 1.0
	v_rcp_f32_e32 v7, v6
	v_xor_b32_e32 v6, 0x80000000, v6
	s_delay_alu instid0(TRANS32_DEP_1) | instid1(VALU_DEP_1)
	v_fma_f32 v8, v6, v7, 1.0
	s_delay_alu instid0(VALU_DEP_1) | instskip(NEXT) | instid1(VALU_DEP_1)
	v_fmac_f32_e32 v7, v8, v7
	v_mul_f32_e32 v8, v9, v7
	s_delay_alu instid0(VALU_DEP_1) | instskip(NEXT) | instid1(VALU_DEP_1)
	v_fma_f32 v10, v6, v8, v9
	v_fmac_f32_e32 v8, v10, v7
	s_delay_alu instid0(VALU_DEP_1) | instskip(SKIP_1) | instid1(VALU_DEP_1)
	v_fmac_f32_e32 v9, v6, v8
	s_wait_alu 0xfffd
	v_div_fmas_f32 v6, v9, v7, v8
	v_fma_f32 v7, v0, v4, v5
	s_delay_alu instid0(VALU_DEP_2) | instskip(SKIP_1) | instid1(VALU_DEP_2)
	v_div_fixup_f32 v1, v6, v1, 1.0
	v_fma_f32 v6, v0, v5, -v4
	v_mul_f32_e32 v0, v7, v1
	s_delay_alu instid0(VALU_DEP_2)
	v_mul_f32_e32 v1, v6, v1
.LBB162_69:                             ;   in Loop: Header=BB162_52 Depth=2
	s_wait_alu 0xfffe
	s_and_not1_b32 vcc_lo, exec_lo, s34
	s_wait_alu 0xfffe
	s_cbranch_vccnz .LBB162_71
; %bb.70:                               ;   in Loop: Header=BB162_52 Depth=2
	v_div_scale_f32 v0, null, v2, v2, v3
	v_div_scale_f32 v7, vcc_lo, v3, v2, v3
	s_delay_alu instid0(VALU_DEP_2)
	v_rcp_f32_e32 v1, v0
	v_xor_b32_e32 v0, 0x80000000, v0
	s_delay_alu instid0(TRANS32_DEP_1) | instid1(VALU_DEP_1)
	v_fma_f32 v6, v0, v1, 1.0
	s_delay_alu instid0(VALU_DEP_1) | instskip(NEXT) | instid1(VALU_DEP_1)
	v_fmac_f32_e32 v1, v6, v1
	v_mul_f32_e32 v6, v7, v1
	s_delay_alu instid0(VALU_DEP_1) | instskip(NEXT) | instid1(VALU_DEP_1)
	v_fma_f32 v8, v0, v6, v7
	v_fmac_f32_e32 v6, v8, v1
	s_delay_alu instid0(VALU_DEP_1) | instskip(SKIP_1) | instid1(VALU_DEP_1)
	v_fmac_f32_e32 v7, v0, v6
	s_wait_alu 0xfffd
	v_div_fmas_f32 v0, v7, v1, v6
	s_delay_alu instid0(VALU_DEP_1) | instskip(NEXT) | instid1(VALU_DEP_1)
	v_div_fixup_f32 v0, v0, v2, v3
	v_fmac_f32_e32 v2, v3, v0
	s_delay_alu instid0(VALU_DEP_1) | instskip(SKIP_1) | instid1(VALU_DEP_2)
	v_div_scale_f32 v1, null, v2, v2, 1.0
	v_div_scale_f32 v7, vcc_lo, 1.0, v2, 1.0
	v_rcp_f32_e32 v3, v1
	v_xor_b32_e32 v1, 0x80000000, v1
	s_delay_alu instid0(TRANS32_DEP_1) | instid1(VALU_DEP_1)
	v_fma_f32 v6, v1, v3, 1.0
	s_delay_alu instid0(VALU_DEP_1) | instskip(NEXT) | instid1(VALU_DEP_1)
	v_fmac_f32_e32 v3, v6, v3
	v_mul_f32_e32 v6, v7, v3
	s_delay_alu instid0(VALU_DEP_1) | instskip(NEXT) | instid1(VALU_DEP_1)
	v_fma_f32 v8, v1, v6, v7
	v_fmac_f32_e32 v6, v8, v3
	s_delay_alu instid0(VALU_DEP_1) | instskip(SKIP_1) | instid1(VALU_DEP_1)
	v_fmac_f32_e32 v7, v1, v6
	s_wait_alu 0xfffd
	v_div_fmas_f32 v1, v7, v3, v6
	v_fma_f32 v3, v0, v5, v4
	s_delay_alu instid0(VALU_DEP_2) | instskip(SKIP_1) | instid1(VALU_DEP_2)
	v_div_fixup_f32 v1, v1, v2, 1.0
	v_fma_f32 v2, -v0, v4, v5
	v_mul_f32_e32 v0, v3, v1
	s_delay_alu instid0(VALU_DEP_2)
	v_mul_f32_e32 v1, v2, v1
.LBB162_71:                             ;   in Loop: Header=BB162_52 Depth=2
	s_add_co_i32 s34, s21, -4
	s_sub_co_i32 s20, s20, 32
	s_cmp_lt_i32 s21, 7
	ds_store_b64 v17, v[0:1]
	s_cbranch_scc1 .LBB162_73
; %bb.72:                               ;   in Loop: Header=BB162_52 Depth=2
	s_wait_alu 0xfffe
	s_mov_b32 s21, s34
	s_branch .LBB162_52
.LBB162_73:                             ;   in Loop: Header=BB162_3 Depth=1
	s_wait_alu 0xfffe
	s_cmp_lt_i32 s34, 0
	s_cbranch_scc1 .LBB162_82
; %bb.74:                               ;   in Loop: Header=BB162_3 Depth=1
	s_lshl_b32 s20, s34, 3
	s_wait_alu 0xfffe
	s_add_co_i32 s20, s30, s20
	s_branch .LBB162_76
.LBB162_75:                             ;   in Loop: Header=BB162_76 Depth=2
	s_add_co_i32 s21, s34, -1
	s_add_co_i32 s20, s20, -8
	s_cmp_lt_i32 s34, 1
	s_wait_alu 0xfffe
	s_mov_b32 s34, s21
	ds_store_b64 v6, v[4:5]
	s_cbranch_scc1 .LBB162_82
.LBB162_76:                             ;   Parent Loop BB162_3 Depth=1
                                        ; =>  This Loop Header: Depth=2
                                        ;       Child Loop BB162_77 Depth 3
	s_wait_alu 0xfffe
	s_mul_i32 s21, s34, 0xc0
	v_mov_b32_e32 v2, v27
	s_wait_alu 0xfffe
	v_add_nc_u32_e32 v6, s21, v14
	s_cmp_le_i32 s25, s34
	s_mov_b32 s35, s20
	s_mov_b32 s36, s25
	ds_load_b64 v[0:1], v6
	s_cbranch_scc1 .LBB162_78
.LBB162_77:                             ;   Parent Loop BB162_3 Depth=1
                                        ;     Parent Loop BB162_76 Depth=2
                                        ; =>    This Inner Loop Header: Depth=3
	s_wait_alu 0xfffe
	v_mov_b32_e32 v5, s35
	s_add_co_i32 s36, s36, -1
	s_addk_co_i32 s35, 0xff40
	s_wait_alu 0xfffe
	s_cmp_le_i32 s36, s34
	ds_load_b64 v[3:4], v2
	ds_load_b64 v[7:8], v5
	s_wait_dscnt 0x0
	v_dual_mul_f32 v5, v8, v4 :: v_dual_add_nc_u32 v2, 0xffffff40, v2
	v_mul_f32_e32 v4, v7, v4
	s_delay_alu instid0(VALU_DEP_2) | instskip(NEXT) | instid1(VALU_DEP_2)
	v_fma_f32 v5, v7, v3, -v5
	v_fmac_f32_e32 v4, v8, v3
	s_delay_alu instid0(VALU_DEP_1)
	v_dual_sub_f32 v0, v0, v5 :: v_dual_sub_f32 v1, v1, v4
	s_cbranch_scc0 .LBB162_77
.LBB162_78:                             ;   in Loop: Header=BB162_76 Depth=2
	s_lshl_b32 s35, s34, 3
	s_wait_alu 0xfffe
	s_add_co_i32 s21, s35, s21
	s_wait_alu 0xfffe
	v_mov_b32_e32 v2, s21
	s_mov_b32 s21, -1
	ds_load_b64 v[2:3], v2
	s_wait_dscnt 0x0
	v_and_b32_e32 v4, 0x7fffffff, v2
	v_and_b32_e32 v5, 0x7fffffff, v3
	s_delay_alu instid0(VALU_DEP_1)
	v_cmp_ngt_f32_e32 vcc_lo, v4, v5
                                        ; implicit-def: $vgpr4
	s_cbranch_vccz .LBB162_80
; %bb.79:                               ;   in Loop: Header=BB162_76 Depth=2
	v_div_scale_f32 v4, null, v3, v3, v2
	v_div_scale_f32 v8, vcc_lo, v2, v3, v2
	s_mov_b32 s21, 0
	v_rcp_f32_e32 v5, v4
	v_xor_b32_e32 v4, 0x80000000, v4
	s_delay_alu instid0(TRANS32_DEP_1) | instid1(VALU_DEP_1)
	v_fma_f32 v7, v4, v5, 1.0
	s_delay_alu instid0(VALU_DEP_1) | instskip(NEXT) | instid1(VALU_DEP_1)
	v_fmac_f32_e32 v5, v7, v5
	v_mul_f32_e32 v7, v8, v5
	s_delay_alu instid0(VALU_DEP_1) | instskip(NEXT) | instid1(VALU_DEP_1)
	v_fma_f32 v9, v4, v7, v8
	v_fmac_f32_e32 v7, v9, v5
	s_delay_alu instid0(VALU_DEP_1) | instskip(SKIP_1) | instid1(VALU_DEP_1)
	v_fmac_f32_e32 v8, v4, v7
	s_wait_alu 0xfffd
	v_div_fmas_f32 v4, v8, v5, v7
	s_delay_alu instid0(VALU_DEP_1) | instskip(NEXT) | instid1(VALU_DEP_1)
	v_div_fixup_f32 v4, v4, v3, v2
	v_fma_f32 v5, v2, v4, v3
	s_delay_alu instid0(VALU_DEP_1) | instskip(SKIP_1) | instid1(VALU_DEP_2)
	v_div_scale_f32 v7, null, v5, v5, 1.0
	v_div_scale_f32 v10, vcc_lo, 1.0, v5, 1.0
	v_rcp_f32_e32 v8, v7
	v_xor_b32_e32 v7, 0x80000000, v7
	s_delay_alu instid0(TRANS32_DEP_1) | instid1(VALU_DEP_1)
	v_fma_f32 v9, v7, v8, 1.0
	s_delay_alu instid0(VALU_DEP_1) | instskip(NEXT) | instid1(VALU_DEP_1)
	v_fmac_f32_e32 v8, v9, v8
	v_mul_f32_e32 v9, v10, v8
	s_delay_alu instid0(VALU_DEP_1) | instskip(NEXT) | instid1(VALU_DEP_1)
	v_fma_f32 v11, v7, v9, v10
	v_fmac_f32_e32 v9, v11, v8
	s_delay_alu instid0(VALU_DEP_1) | instskip(SKIP_1) | instid1(VALU_DEP_1)
	v_fmac_f32_e32 v10, v7, v9
	s_wait_alu 0xfffd
	v_div_fmas_f32 v7, v10, v8, v9
	v_fma_f32 v8, v0, v4, v1
	s_delay_alu instid0(VALU_DEP_2) | instskip(SKIP_1) | instid1(VALU_DEP_2)
	v_div_fixup_f32 v5, v7, v5, 1.0
	v_fma_f32 v7, v1, v4, -v0
	v_mul_f32_e32 v4, v8, v5
	s_delay_alu instid0(VALU_DEP_2)
	v_mul_f32_e32 v5, v7, v5
.LBB162_80:                             ;   in Loop: Header=BB162_76 Depth=2
	s_wait_alu 0xfffe
	s_and_not1_b32 vcc_lo, exec_lo, s21
	s_wait_alu 0xfffe
	s_cbranch_vccnz .LBB162_75
; %bb.81:                               ;   in Loop: Header=BB162_76 Depth=2
	v_div_scale_f32 v4, null, v2, v2, v3
	v_div_scale_f32 v8, vcc_lo, v3, v2, v3
	s_delay_alu instid0(VALU_DEP_2)
	v_rcp_f32_e32 v5, v4
	v_xor_b32_e32 v4, 0x80000000, v4
	s_delay_alu instid0(TRANS32_DEP_1) | instid1(VALU_DEP_1)
	v_fma_f32 v7, v4, v5, 1.0
	s_delay_alu instid0(VALU_DEP_1) | instskip(NEXT) | instid1(VALU_DEP_1)
	v_fmac_f32_e32 v5, v7, v5
	v_mul_f32_e32 v7, v8, v5
	s_delay_alu instid0(VALU_DEP_1) | instskip(NEXT) | instid1(VALU_DEP_1)
	v_fma_f32 v9, v4, v7, v8
	v_fmac_f32_e32 v7, v9, v5
	s_delay_alu instid0(VALU_DEP_1) | instskip(SKIP_1) | instid1(VALU_DEP_1)
	v_fmac_f32_e32 v8, v4, v7
	s_wait_alu 0xfffd
	v_div_fmas_f32 v4, v8, v5, v7
	s_delay_alu instid0(VALU_DEP_1) | instskip(NEXT) | instid1(VALU_DEP_1)
	v_div_fixup_f32 v4, v4, v2, v3
	v_fmac_f32_e32 v2, v3, v4
	s_delay_alu instid0(VALU_DEP_1) | instskip(SKIP_1) | instid1(VALU_DEP_2)
	v_div_scale_f32 v3, null, v2, v2, 1.0
	v_div_scale_f32 v8, vcc_lo, 1.0, v2, 1.0
	v_rcp_f32_e32 v5, v3
	v_xor_b32_e32 v3, 0x80000000, v3
	s_delay_alu instid0(TRANS32_DEP_1) | instid1(VALU_DEP_1)
	v_fma_f32 v7, v3, v5, 1.0
	s_delay_alu instid0(VALU_DEP_1) | instskip(NEXT) | instid1(VALU_DEP_1)
	v_fmac_f32_e32 v5, v7, v5
	v_mul_f32_e32 v7, v8, v5
	s_delay_alu instid0(VALU_DEP_1) | instskip(NEXT) | instid1(VALU_DEP_1)
	v_fma_f32 v9, v3, v7, v8
	v_fmac_f32_e32 v7, v9, v5
	s_delay_alu instid0(VALU_DEP_1) | instskip(SKIP_1) | instid1(VALU_DEP_1)
	v_fmac_f32_e32 v8, v3, v7
	s_wait_alu 0xfffd
	v_div_fmas_f32 v3, v8, v5, v7
	v_fma_f32 v5, v1, v4, v0
	v_fma_f32 v0, -v0, v4, v1
	s_delay_alu instid0(VALU_DEP_3) | instskip(NEXT) | instid1(VALU_DEP_1)
	v_div_fixup_f32 v2, v3, v2, 1.0
	v_mul_f32_e32 v4, v5, v2
	s_delay_alu instid0(VALU_DEP_3)
	v_mul_f32_e32 v5, v0, v2
	s_branch .LBB162_75
.LBB162_82:                             ;   in Loop: Header=BB162_3 Depth=1
	s_mov_b32 s20, 0
.LBB162_83:                             ;   in Loop: Header=BB162_3 Depth=1
	s_wait_alu 0xfffe
	s_and_not1_b32 vcc_lo, exec_lo, s20
	s_wait_alu 0xfffe
	s_cbranch_vccnz .LBB162_114
; %bb.84:                               ;   in Loop: Header=BB162_3 Depth=1
	s_mov_b32 s34, s25
	s_and_not1_b32 vcc_lo, exec_lo, s22
	s_mov_b32 s20, s31
	s_mov_b32 s21, s25
	s_wait_alu 0xfffe
	s_cbranch_vccnz .LBB162_105
.LBB162_85:                             ;   Parent Loop BB162_3 Depth=1
                                        ; =>  This Loop Header: Depth=2
                                        ;       Child Loop BB162_86 Depth 3
	s_wait_alu 0xfffe
	s_mul_i32 s34, s21, 24
	s_cmp_le_i32 s25, s21
	s_wait_alu 0xfffe
	v_lshl_add_u32 v20, s34, 3, v14
	s_mov_b32 s35, s20
	s_mov_b32 s36, s25
	s_delay_alu instid0(VALU_DEP_1)
	v_dual_mov_b32 v2, v27 :: v_dual_add_nc_u32 v19, 0xffffff40, v20
	v_add_nc_u32_e32 v18, 0xfffffe80, v20
	v_add_nc_u32_e32 v17, 0xfffffdc0, v20
	ds_load_b64 v[0:1], v20
	ds_load_b64 v[10:11], v19
	;; [unrolled: 1-line block ×4, first 2 shown]
	s_cbranch_scc1 .LBB162_87
.LBB162_86:                             ;   Parent Loop BB162_3 Depth=1
                                        ;     Parent Loop BB162_85 Depth=2
                                        ; =>    This Inner Loop Header: Depth=3
	s_wait_alu 0xfffe
	v_mov_b32_e32 v3, s35
	s_add_co_i32 s36, s36, -1
	s_add_co_i32 s35, s35, -8
	s_wait_alu 0xfffe
	s_cmp_le_i32 s36, s21
	ds_load_b64 v[8:9], v2
	ds_load_2addr_b64 v[30:33], v3 offset0:48 offset1:72
	ds_load_2addr_b64 v[34:37], v3 offset1:24
	s_wait_dscnt 0x1
	v_dual_mul_f32 v3, v33, v9 :: v_dual_add_nc_u32 v2, 0xffffff40, v2
	v_mul_f32_e32 v38, v32, v9
	v_mul_f32_e32 v39, v31, v9
	s_wait_dscnt 0x0
	v_dual_mul_f32 v31, v31, v8 :: v_dual_mul_f32 v40, v37, v9
	v_mul_f32_e32 v41, v35, v9
	v_mul_f32_e32 v35, v35, v8
	v_fma_f32 v3, v32, v8, -v3
	v_mul_f32_e32 v37, v37, v8
	v_fmac_f32_e32 v38, v33, v8
	v_fma_f32 v32, v30, v8, -v39
	v_fmac_f32_e32 v31, v30, v9
	v_fma_f32 v30, v36, v8, -v40
	v_dual_fmac_f32 v35, v34, v9 :: v_dual_sub_f32 v0, v0, v3
	v_fmac_f32_e32 v37, v36, v9
	v_sub_f32_e32 v1, v1, v38
	s_delay_alu instid0(VALU_DEP_4) | instskip(SKIP_1) | instid1(VALU_DEP_4)
	v_sub_f32_e32 v6, v6, v30
	v_fma_f32 v8, v34, v8, -v41
	v_dual_sub_f32 v10, v10, v32 :: v_dual_sub_f32 v7, v7, v37
	s_delay_alu instid0(VALU_DEP_2)
	v_dual_sub_f32 v5, v5, v35 :: v_dual_sub_f32 v4, v4, v8
	v_sub_f32_e32 v11, v11, v31
	s_cbranch_scc0 .LBB162_86
.LBB162_87:                             ;   in Loop: Header=BB162_85 Depth=2
	s_mul_i32 s35, s21, 0xc8
	s_wait_alu 0xfffe
	v_mov_b32_e32 v2, s35
	s_mov_b32 s35, -1
	ds_load_b64 v[2:3], v2
	s_wait_dscnt 0x0
	v_and_b32_e32 v8, 0x7fffffff, v2
	v_and_b32_e32 v9, 0x7fffffff, v3
	s_delay_alu instid0(VALU_DEP_1)
	v_cmp_ngt_f32_e32 vcc_lo, v8, v9
                                        ; implicit-def: $vgpr9
	s_cbranch_vccz .LBB162_89
; %bb.88:                               ;   in Loop: Header=BB162_85 Depth=2
	v_div_scale_f32 v8, null, v3, v3, v2
	v_div_scale_f32 v31, vcc_lo, v2, v3, v2
	s_mov_b32 s35, 0
	v_rcp_f32_e32 v9, v8
	v_xor_b32_e32 v8, 0x80000000, v8
	s_delay_alu instid0(TRANS32_DEP_1) | instid1(VALU_DEP_1)
	v_fma_f32 v30, v8, v9, 1.0
	s_delay_alu instid0(VALU_DEP_1) | instskip(NEXT) | instid1(VALU_DEP_1)
	v_fmac_f32_e32 v9, v30, v9
	v_mul_f32_e32 v30, v31, v9
	s_delay_alu instid0(VALU_DEP_1) | instskip(NEXT) | instid1(VALU_DEP_1)
	v_fma_f32 v32, v8, v30, v31
	v_fmac_f32_e32 v30, v32, v9
	s_delay_alu instid0(VALU_DEP_1) | instskip(SKIP_1) | instid1(VALU_DEP_1)
	v_fmac_f32_e32 v31, v8, v30
	s_wait_alu 0xfffd
	v_div_fmas_f32 v8, v31, v9, v30
	s_delay_alu instid0(VALU_DEP_1) | instskip(NEXT) | instid1(VALU_DEP_1)
	v_div_fixup_f32 v8, v8, v3, v2
	v_fma_f32 v9, v2, v8, v3
	s_delay_alu instid0(VALU_DEP_1) | instskip(SKIP_1) | instid1(VALU_DEP_2)
	v_div_scale_f32 v30, null, v9, v9, 1.0
	v_div_scale_f32 v33, vcc_lo, 1.0, v9, 1.0
	v_rcp_f32_e32 v31, v30
	v_xor_b32_e32 v30, 0x80000000, v30
	s_delay_alu instid0(TRANS32_DEP_1) | instid1(VALU_DEP_1)
	v_fma_f32 v32, v30, v31, 1.0
	s_delay_alu instid0(VALU_DEP_1) | instskip(NEXT) | instid1(VALU_DEP_1)
	v_fmac_f32_e32 v31, v32, v31
	v_mul_f32_e32 v32, v33, v31
	s_delay_alu instid0(VALU_DEP_1) | instskip(NEXT) | instid1(VALU_DEP_1)
	v_fma_f32 v34, v30, v32, v33
	v_fmac_f32_e32 v32, v34, v31
	s_delay_alu instid0(VALU_DEP_1) | instskip(SKIP_1) | instid1(VALU_DEP_1)
	v_fmac_f32_e32 v33, v30, v32
	s_wait_alu 0xfffd
	v_div_fmas_f32 v30, v33, v31, v32
	v_fma_f32 v31, v0, v8, v1
	s_delay_alu instid0(VALU_DEP_2) | instskip(SKIP_1) | instid1(VALU_DEP_2)
	v_div_fixup_f32 v9, v30, v9, 1.0
	v_fma_f32 v30, v1, v8, -v0
	v_mul_f32_e32 v8, v31, v9
	s_delay_alu instid0(VALU_DEP_2)
	v_mul_f32_e32 v9, v30, v9
.LBB162_89:                             ;   in Loop: Header=BB162_85 Depth=2
	s_wait_alu 0xfffe
	s_and_not1_b32 vcc_lo, exec_lo, s35
	s_wait_alu 0xfffe
	s_cbranch_vccnz .LBB162_91
; %bb.90:                               ;   in Loop: Header=BB162_85 Depth=2
	v_div_scale_f32 v8, null, v2, v2, v3
	v_div_scale_f32 v31, vcc_lo, v3, v2, v3
	s_delay_alu instid0(VALU_DEP_2)
	v_rcp_f32_e32 v9, v8
	v_xor_b32_e32 v8, 0x80000000, v8
	s_delay_alu instid0(TRANS32_DEP_1) | instid1(VALU_DEP_1)
	v_fma_f32 v30, v8, v9, 1.0
	s_delay_alu instid0(VALU_DEP_1) | instskip(NEXT) | instid1(VALU_DEP_1)
	v_fmac_f32_e32 v9, v30, v9
	v_mul_f32_e32 v30, v31, v9
	s_delay_alu instid0(VALU_DEP_1) | instskip(NEXT) | instid1(VALU_DEP_1)
	v_fma_f32 v32, v8, v30, v31
	v_fmac_f32_e32 v30, v32, v9
	s_delay_alu instid0(VALU_DEP_1) | instskip(SKIP_1) | instid1(VALU_DEP_1)
	v_fmac_f32_e32 v31, v8, v30
	s_wait_alu 0xfffd
	v_div_fmas_f32 v8, v31, v9, v30
	s_delay_alu instid0(VALU_DEP_1) | instskip(NEXT) | instid1(VALU_DEP_1)
	v_div_fixup_f32 v8, v8, v2, v3
	v_fmac_f32_e32 v2, v3, v8
	s_delay_alu instid0(VALU_DEP_1) | instskip(SKIP_1) | instid1(VALU_DEP_2)
	v_div_scale_f32 v3, null, v2, v2, 1.0
	v_div_scale_f32 v31, vcc_lo, 1.0, v2, 1.0
	v_rcp_f32_e32 v9, v3
	v_xor_b32_e32 v3, 0x80000000, v3
	s_delay_alu instid0(TRANS32_DEP_1) | instid1(VALU_DEP_1)
	v_fma_f32 v30, v3, v9, 1.0
	s_delay_alu instid0(VALU_DEP_1) | instskip(NEXT) | instid1(VALU_DEP_1)
	v_fmac_f32_e32 v9, v30, v9
	v_mul_f32_e32 v30, v31, v9
	s_delay_alu instid0(VALU_DEP_1) | instskip(NEXT) | instid1(VALU_DEP_1)
	v_fma_f32 v32, v3, v30, v31
	v_fmac_f32_e32 v30, v32, v9
	s_delay_alu instid0(VALU_DEP_1) | instskip(SKIP_1) | instid1(VALU_DEP_1)
	v_fmac_f32_e32 v31, v3, v30
	s_wait_alu 0xfffd
	v_div_fmas_f32 v3, v31, v9, v30
	v_fma_f32 v9, v1, v8, v0
	v_fma_f32 v0, -v0, v8, v1
	s_delay_alu instid0(VALU_DEP_3) | instskip(NEXT) | instid1(VALU_DEP_1)
	v_div_fixup_f32 v2, v3, v2, 1.0
	v_mul_f32_e32 v8, v9, v2
	s_delay_alu instid0(VALU_DEP_3)
	v_mul_f32_e32 v9, v0, v2
.LBB162_91:                             ;   in Loop: Header=BB162_85 Depth=2
	s_lshl_b32 s35, s34, 3
	s_lshl_b32 s34, s21, 3
	s_wait_alu 0xfffe
	s_addk_co_i32 s35, 0xff40
	ds_store_b64 v20, v[8:9]
	s_wait_alu 0xfffe
	s_add_co_i32 s36, s34, s35
	s_wait_alu 0xfffe
	s_add_co_i32 s36, s36, -8
	s_wait_alu 0xfffe
	v_mov_b32_e32 v0, s36
	s_mov_b32 s36, -1
	ds_load_2addr_b64 v[0:3], v0 offset1:1
	s_wait_dscnt 0x0
	v_dual_mul_f32 v30, v9, v3 :: v_dual_and_b32 v31, 0x7fffffff, v0
	v_dual_mul_f32 v3, v8, v3 :: v_dual_and_b32 v32, 0x7fffffff, v1
	s_delay_alu instid0(VALU_DEP_2) | instskip(NEXT) | instid1(VALU_DEP_2)
	v_fma_f32 v30, v8, v2, -v30
	v_fmac_f32_e32 v3, v9, v2
	s_delay_alu instid0(VALU_DEP_3) | instskip(NEXT) | instid1(VALU_DEP_2)
	v_cmp_ngt_f32_e32 vcc_lo, v31, v32
	v_dual_sub_f32 v2, v10, v30 :: v_dual_sub_f32 v3, v11, v3
                                        ; implicit-def: $vgpr11
	s_cbranch_vccz .LBB162_93
; %bb.92:                               ;   in Loop: Header=BB162_85 Depth=2
	v_div_scale_f32 v10, null, v1, v1, v0
	v_div_scale_f32 v30, vcc_lo, v0, v1, v0
	s_mov_b32 s36, 0
	v_rcp_f32_e32 v11, v10
	v_xor_b32_e32 v10, 0x80000000, v10
	s_delay_alu instid0(TRANS32_DEP_1) | instid1(VALU_DEP_1)
	v_fma_f32 v20, v10, v11, 1.0
	s_delay_alu instid0(VALU_DEP_1) | instskip(NEXT) | instid1(VALU_DEP_1)
	v_fmac_f32_e32 v11, v20, v11
	v_mul_f32_e32 v20, v30, v11
	s_delay_alu instid0(VALU_DEP_1) | instskip(NEXT) | instid1(VALU_DEP_1)
	v_fma_f32 v31, v10, v20, v30
	v_fmac_f32_e32 v20, v31, v11
	s_delay_alu instid0(VALU_DEP_1) | instskip(SKIP_1) | instid1(VALU_DEP_1)
	v_fmac_f32_e32 v30, v10, v20
	s_wait_alu 0xfffd
	v_div_fmas_f32 v10, v30, v11, v20
	s_delay_alu instid0(VALU_DEP_1) | instskip(NEXT) | instid1(VALU_DEP_1)
	v_div_fixup_f32 v10, v10, v1, v0
	v_fma_f32 v11, v0, v10, v1
	s_delay_alu instid0(VALU_DEP_1) | instskip(SKIP_1) | instid1(VALU_DEP_2)
	v_div_scale_f32 v20, null, v11, v11, 1.0
	v_div_scale_f32 v32, vcc_lo, 1.0, v11, 1.0
	v_rcp_f32_e32 v30, v20
	v_xor_b32_e32 v20, 0x80000000, v20
	s_delay_alu instid0(TRANS32_DEP_1) | instid1(VALU_DEP_1)
	v_fma_f32 v31, v20, v30, 1.0
	s_delay_alu instid0(VALU_DEP_1) | instskip(NEXT) | instid1(VALU_DEP_1)
	v_fmac_f32_e32 v30, v31, v30
	v_mul_f32_e32 v31, v32, v30
	s_delay_alu instid0(VALU_DEP_1) | instskip(NEXT) | instid1(VALU_DEP_1)
	v_fma_f32 v33, v20, v31, v32
	v_fmac_f32_e32 v31, v33, v30
	s_delay_alu instid0(VALU_DEP_1) | instskip(SKIP_1) | instid1(VALU_DEP_1)
	v_fmac_f32_e32 v32, v20, v31
	s_wait_alu 0xfffd
	v_div_fmas_f32 v20, v32, v30, v31
	v_fma_f32 v30, v10, v2, v3
	s_delay_alu instid0(VALU_DEP_2) | instskip(SKIP_1) | instid1(VALU_DEP_2)
	v_div_fixup_f32 v11, v20, v11, 1.0
	v_fma_f32 v20, v10, v3, -v2
	v_mul_f32_e32 v10, v30, v11
	s_delay_alu instid0(VALU_DEP_2)
	v_mul_f32_e32 v11, v20, v11
.LBB162_93:                             ;   in Loop: Header=BB162_85 Depth=2
	s_wait_alu 0xfffe
	s_and_not1_b32 vcc_lo, exec_lo, s36
	s_wait_alu 0xfffe
	s_cbranch_vccnz .LBB162_95
; %bb.94:                               ;   in Loop: Header=BB162_85 Depth=2
	v_div_scale_f32 v10, null, v0, v0, v1
	v_div_scale_f32 v30, vcc_lo, v1, v0, v1
	s_delay_alu instid0(VALU_DEP_2)
	v_rcp_f32_e32 v11, v10
	v_xor_b32_e32 v10, 0x80000000, v10
	s_delay_alu instid0(TRANS32_DEP_1) | instid1(VALU_DEP_1)
	v_fma_f32 v20, v10, v11, 1.0
	s_delay_alu instid0(VALU_DEP_1) | instskip(NEXT) | instid1(VALU_DEP_1)
	v_fmac_f32_e32 v11, v20, v11
	v_mul_f32_e32 v20, v30, v11
	s_delay_alu instid0(VALU_DEP_1) | instskip(NEXT) | instid1(VALU_DEP_1)
	v_fma_f32 v31, v10, v20, v30
	v_fmac_f32_e32 v20, v31, v11
	s_delay_alu instid0(VALU_DEP_1) | instskip(SKIP_1) | instid1(VALU_DEP_1)
	v_fmac_f32_e32 v30, v10, v20
	s_wait_alu 0xfffd
	v_div_fmas_f32 v10, v30, v11, v20
	s_delay_alu instid0(VALU_DEP_1) | instskip(NEXT) | instid1(VALU_DEP_1)
	v_div_fixup_f32 v10, v10, v0, v1
	v_fmac_f32_e32 v0, v1, v10
	s_delay_alu instid0(VALU_DEP_1) | instskip(NEXT) | instid1(VALU_DEP_1)
	v_div_scale_f32 v1, null, v0, v0, 1.0
	v_rcp_f32_e32 v11, v1
	v_xor_b32_e32 v1, 0x80000000, v1
	s_delay_alu instid0(TRANS32_DEP_1) | instid1(VALU_DEP_1)
	v_fma_f32 v20, v1, v11, 1.0
	s_delay_alu instid0(VALU_DEP_1) | instskip(SKIP_1) | instid1(VALU_DEP_1)
	v_fmac_f32_e32 v11, v20, v11
	v_div_scale_f32 v30, vcc_lo, 1.0, v0, 1.0
	v_mul_f32_e32 v20, v30, v11
	s_delay_alu instid0(VALU_DEP_1) | instskip(NEXT) | instid1(VALU_DEP_1)
	v_fma_f32 v31, v1, v20, v30
	v_fmac_f32_e32 v20, v31, v11
	s_delay_alu instid0(VALU_DEP_1) | instskip(SKIP_1) | instid1(VALU_DEP_1)
	v_fmac_f32_e32 v30, v1, v20
	s_wait_alu 0xfffd
	v_div_fmas_f32 v1, v30, v11, v20
	v_fma_f32 v11, v10, v3, v2
	s_delay_alu instid0(VALU_DEP_2) | instskip(SKIP_1) | instid1(VALU_DEP_2)
	v_div_fixup_f32 v0, v1, v0, 1.0
	v_fma_f32 v1, -v10, v2, v3
	v_mul_f32_e32 v10, v11, v0
	s_delay_alu instid0(VALU_DEP_2)
	v_mul_f32_e32 v11, v1, v0
.LBB162_95:                             ;   in Loop: Header=BB162_85 Depth=2
	s_addk_co_i32 s35, 0xff40
	s_wait_alu 0xfffe
	s_add_co_i32 s34, s35, s34
	s_wait_alu 0xfffe
	s_add_co_i32 s35, s34, -16
	s_wait_alu 0xfffe
	v_dual_mov_b32 v0, s34 :: v_dual_mov_b32 v1, s35
	s_mov_b32 s35, -1
	ds_load_b64 v[30:31], v0
	ds_load_2addr_b64 v[0:3], v1 offset1:1
	ds_store_b64 v19, v[10:11]
	s_wait_dscnt 0x1
	v_dual_mul_f32 v20, v9, v31 :: v_dual_and_b32 v33, 0x7fffffff, v0
	v_mul_f32_e32 v31, v8, v31
	v_mul_f32_e32 v32, v11, v3
	;; [unrolled: 1-line block ×3, first 2 shown]
	s_delay_alu instid0(VALU_DEP_4) | instskip(NEXT) | instid1(VALU_DEP_4)
	v_fma_f32 v20, v8, v30, -v20
	v_dual_fmac_f32 v31, v9, v30 :: v_dual_and_b32 v30, 0x7fffffff, v1
	s_delay_alu instid0(VALU_DEP_4) | instskip(NEXT) | instid1(VALU_DEP_3)
	v_fma_f32 v32, v10, v2, -v32
	v_dual_fmac_f32 v3, v11, v2 :: v_dual_sub_f32 v2, v6, v20
	s_delay_alu instid0(VALU_DEP_3) | instskip(NEXT) | instid1(VALU_DEP_4)
	v_sub_f32_e32 v6, v7, v31
	v_cmp_ngt_f32_e32 vcc_lo, v33, v30
	s_delay_alu instid0(VALU_DEP_3) | instskip(NEXT) | instid1(VALU_DEP_3)
	v_sub_f32_e32 v2, v2, v32
	v_sub_f32_e32 v3, v6, v3
                                        ; implicit-def: $vgpr7
	s_cbranch_vccz .LBB162_97
; %bb.96:                               ;   in Loop: Header=BB162_85 Depth=2
	v_div_scale_f32 v6, null, v1, v1, v0
	v_div_scale_f32 v20, vcc_lo, v0, v1, v0
	s_mov_b32 s35, 0
	v_rcp_f32_e32 v7, v6
	v_xor_b32_e32 v6, 0x80000000, v6
	s_delay_alu instid0(TRANS32_DEP_1) | instid1(VALU_DEP_1)
	v_fma_f32 v19, v6, v7, 1.0
	s_delay_alu instid0(VALU_DEP_1) | instskip(NEXT) | instid1(VALU_DEP_1)
	v_fmac_f32_e32 v7, v19, v7
	v_mul_f32_e32 v19, v20, v7
	s_delay_alu instid0(VALU_DEP_1) | instskip(NEXT) | instid1(VALU_DEP_1)
	v_fma_f32 v30, v6, v19, v20
	v_fmac_f32_e32 v19, v30, v7
	s_delay_alu instid0(VALU_DEP_1) | instskip(SKIP_1) | instid1(VALU_DEP_1)
	v_fmac_f32_e32 v20, v6, v19
	s_wait_alu 0xfffd
	v_div_fmas_f32 v6, v20, v7, v19
	s_delay_alu instid0(VALU_DEP_1) | instskip(NEXT) | instid1(VALU_DEP_1)
	v_div_fixup_f32 v6, v6, v1, v0
	v_fma_f32 v7, v0, v6, v1
	s_delay_alu instid0(VALU_DEP_1) | instskip(SKIP_1) | instid1(VALU_DEP_2)
	v_div_scale_f32 v19, null, v7, v7, 1.0
	v_div_scale_f32 v31, vcc_lo, 1.0, v7, 1.0
	v_rcp_f32_e32 v20, v19
	v_xor_b32_e32 v19, 0x80000000, v19
	s_delay_alu instid0(TRANS32_DEP_1) | instid1(VALU_DEP_1)
	v_fma_f32 v30, v19, v20, 1.0
	s_delay_alu instid0(VALU_DEP_1) | instskip(NEXT) | instid1(VALU_DEP_1)
	v_fmac_f32_e32 v20, v30, v20
	v_mul_f32_e32 v30, v31, v20
	s_delay_alu instid0(VALU_DEP_1) | instskip(NEXT) | instid1(VALU_DEP_1)
	v_fma_f32 v32, v19, v30, v31
	v_fmac_f32_e32 v30, v32, v20
	s_delay_alu instid0(VALU_DEP_1) | instskip(SKIP_1) | instid1(VALU_DEP_1)
	v_fmac_f32_e32 v31, v19, v30
	s_wait_alu 0xfffd
	v_div_fmas_f32 v19, v31, v20, v30
	v_fma_f32 v20, v6, v2, v3
	s_delay_alu instid0(VALU_DEP_2) | instskip(SKIP_1) | instid1(VALU_DEP_2)
	v_div_fixup_f32 v7, v19, v7, 1.0
	v_fma_f32 v19, v6, v3, -v2
	v_mul_f32_e32 v6, v20, v7
	s_delay_alu instid0(VALU_DEP_2)
	v_mul_f32_e32 v7, v19, v7
.LBB162_97:                             ;   in Loop: Header=BB162_85 Depth=2
	s_wait_alu 0xfffe
	s_and_not1_b32 vcc_lo, exec_lo, s35
	s_wait_alu 0xfffe
	s_cbranch_vccnz .LBB162_99
; %bb.98:                               ;   in Loop: Header=BB162_85 Depth=2
	v_div_scale_f32 v6, null, v0, v0, v1
	v_div_scale_f32 v20, vcc_lo, v1, v0, v1
	s_delay_alu instid0(VALU_DEP_2)
	v_rcp_f32_e32 v7, v6
	v_xor_b32_e32 v6, 0x80000000, v6
	s_delay_alu instid0(TRANS32_DEP_1) | instid1(VALU_DEP_1)
	v_fma_f32 v19, v6, v7, 1.0
	s_delay_alu instid0(VALU_DEP_1) | instskip(NEXT) | instid1(VALU_DEP_1)
	v_fmac_f32_e32 v7, v19, v7
	v_mul_f32_e32 v19, v20, v7
	s_delay_alu instid0(VALU_DEP_1) | instskip(NEXT) | instid1(VALU_DEP_1)
	v_fma_f32 v30, v6, v19, v20
	v_fmac_f32_e32 v19, v30, v7
	s_delay_alu instid0(VALU_DEP_1) | instskip(SKIP_1) | instid1(VALU_DEP_1)
	v_fmac_f32_e32 v20, v6, v19
	s_wait_alu 0xfffd
	v_div_fmas_f32 v6, v20, v7, v19
	s_delay_alu instid0(VALU_DEP_1) | instskip(NEXT) | instid1(VALU_DEP_1)
	v_div_fixup_f32 v6, v6, v0, v1
	v_fmac_f32_e32 v0, v1, v6
	s_delay_alu instid0(VALU_DEP_1) | instskip(SKIP_1) | instid1(VALU_DEP_2)
	v_div_scale_f32 v1, null, v0, v0, 1.0
	v_div_scale_f32 v20, vcc_lo, 1.0, v0, 1.0
	v_rcp_f32_e32 v7, v1
	v_xor_b32_e32 v1, 0x80000000, v1
	s_delay_alu instid0(TRANS32_DEP_1) | instid1(VALU_DEP_1)
	v_fma_f32 v19, v1, v7, 1.0
	s_delay_alu instid0(VALU_DEP_1) | instskip(NEXT) | instid1(VALU_DEP_1)
	v_fmac_f32_e32 v7, v19, v7
	v_mul_f32_e32 v19, v20, v7
	s_delay_alu instid0(VALU_DEP_1) | instskip(NEXT) | instid1(VALU_DEP_1)
	v_fma_f32 v30, v1, v19, v20
	v_fmac_f32_e32 v19, v30, v7
	s_delay_alu instid0(VALU_DEP_1) | instskip(SKIP_1) | instid1(VALU_DEP_1)
	v_fmac_f32_e32 v20, v1, v19
	s_wait_alu 0xfffd
	v_div_fmas_f32 v1, v20, v7, v19
	v_fma_f32 v7, v6, v3, v2
	s_delay_alu instid0(VALU_DEP_2) | instskip(SKIP_1) | instid1(VALU_DEP_2)
	v_div_fixup_f32 v0, v1, v0, 1.0
	v_fma_f32 v1, -v6, v2, v3
	v_mul_f32_e32 v6, v7, v0
	s_delay_alu instid0(VALU_DEP_2)
	v_mul_f32_e32 v7, v1, v0
.LBB162_99:                             ;   in Loop: Header=BB162_85 Depth=2
	s_add_co_i32 s35, s34, 0xffffff38
	s_addk_co_i32 s34, 0xff28
	s_wait_alu 0xfffe
	v_dual_mov_b32 v0, s35 :: v_dual_mov_b32 v1, s34
	s_mov_b32 s34, -1
	ds_load_2addr_b64 v[30:33], v0 offset1:1
	ds_load_2addr_b64 v[0:3], v1 offset1:1
	ds_store_b64 v18, v[6:7]
	s_wait_dscnt 0x1
	v_dual_mul_f32 v19, v9, v33 :: v_dual_mul_f32 v34, v7, v3
	v_dual_mul_f32 v20, v8, v33 :: v_dual_mul_f32 v33, v11, v31
	v_mul_f32_e32 v31, v10, v31
	s_delay_alu instid0(VALU_DEP_3) | instskip(NEXT) | instid1(VALU_DEP_3)
	v_fma_f32 v8, v8, v32, -v19
	v_dual_mul_f32 v3, v6, v3 :: v_dual_fmac_f32 v20, v9, v32
	s_delay_alu instid0(VALU_DEP_4) | instskip(NEXT) | instid1(VALU_DEP_3)
	v_fma_f32 v10, v10, v30, -v33
	v_dual_fmac_f32 v31, v11, v30 :: v_dual_sub_f32 v4, v4, v8
	v_and_b32_e32 v9, 0x7fffffff, v0
	v_fma_f32 v11, v6, v2, -v34
	v_dual_fmac_f32 v3, v7, v2 :: v_dual_and_b32 v8, 0x7fffffff, v1
	s_delay_alu instid0(VALU_DEP_4) | instskip(NEXT) | instid1(VALU_DEP_2)
	v_dual_sub_f32 v2, v4, v10 :: v_dual_sub_f32 v5, v5, v20
	v_cmp_ngt_f32_e32 vcc_lo, v9, v8
	s_delay_alu instid0(VALU_DEP_2) | instskip(NEXT) | instid1(VALU_DEP_3)
	v_sub_f32_e32 v4, v2, v11
	v_sub_f32_e32 v5, v5, v31
	s_delay_alu instid0(VALU_DEP_1)
	v_sub_f32_e32 v5, v5, v3
                                        ; implicit-def: $vgpr3
	s_cbranch_vccz .LBB162_101
; %bb.100:                              ;   in Loop: Header=BB162_85 Depth=2
	v_div_scale_f32 v2, null, v1, v1, v0
	v_div_scale_f32 v7, vcc_lo, v0, v1, v0
	s_mov_b32 s34, 0
	v_rcp_f32_e32 v3, v2
	v_xor_b32_e32 v2, 0x80000000, v2
	s_delay_alu instid0(TRANS32_DEP_1) | instid1(VALU_DEP_1)
	v_fma_f32 v6, v2, v3, 1.0
	s_delay_alu instid0(VALU_DEP_1) | instskip(NEXT) | instid1(VALU_DEP_1)
	v_fmac_f32_e32 v3, v6, v3
	v_mul_f32_e32 v6, v7, v3
	s_delay_alu instid0(VALU_DEP_1) | instskip(NEXT) | instid1(VALU_DEP_1)
	v_fma_f32 v8, v2, v6, v7
	v_fmac_f32_e32 v6, v8, v3
	s_delay_alu instid0(VALU_DEP_1) | instskip(SKIP_1) | instid1(VALU_DEP_1)
	v_fmac_f32_e32 v7, v2, v6
	s_wait_alu 0xfffd
	v_div_fmas_f32 v2, v7, v3, v6
	s_delay_alu instid0(VALU_DEP_1) | instskip(NEXT) | instid1(VALU_DEP_1)
	v_div_fixup_f32 v2, v2, v1, v0
	v_fma_f32 v3, v0, v2, v1
	s_delay_alu instid0(VALU_DEP_1) | instskip(SKIP_1) | instid1(VALU_DEP_2)
	v_div_scale_f32 v6, null, v3, v3, 1.0
	v_div_scale_f32 v9, vcc_lo, 1.0, v3, 1.0
	v_rcp_f32_e32 v7, v6
	v_xor_b32_e32 v6, 0x80000000, v6
	s_delay_alu instid0(TRANS32_DEP_1) | instid1(VALU_DEP_1)
	v_fma_f32 v8, v6, v7, 1.0
	s_delay_alu instid0(VALU_DEP_1) | instskip(NEXT) | instid1(VALU_DEP_1)
	v_fmac_f32_e32 v7, v8, v7
	v_mul_f32_e32 v8, v9, v7
	s_delay_alu instid0(VALU_DEP_1) | instskip(NEXT) | instid1(VALU_DEP_1)
	v_fma_f32 v10, v6, v8, v9
	v_fmac_f32_e32 v8, v10, v7
	s_delay_alu instid0(VALU_DEP_1) | instskip(SKIP_1) | instid1(VALU_DEP_1)
	v_fmac_f32_e32 v9, v6, v8
	s_wait_alu 0xfffd
	v_div_fmas_f32 v6, v9, v7, v8
	v_fma_f32 v7, v2, v4, v5
	s_delay_alu instid0(VALU_DEP_2) | instskip(SKIP_1) | instid1(VALU_DEP_2)
	v_div_fixup_f32 v3, v6, v3, 1.0
	v_fma_f32 v6, v2, v5, -v4
	v_mul_f32_e32 v2, v7, v3
	s_delay_alu instid0(VALU_DEP_2)
	v_mul_f32_e32 v3, v6, v3
.LBB162_101:                            ;   in Loop: Header=BB162_85 Depth=2
	s_wait_alu 0xfffe
	s_and_not1_b32 vcc_lo, exec_lo, s34
	s_wait_alu 0xfffe
	s_cbranch_vccnz .LBB162_103
; %bb.102:                              ;   in Loop: Header=BB162_85 Depth=2
	v_div_scale_f32 v2, null, v0, v0, v1
	v_div_scale_f32 v7, vcc_lo, v1, v0, v1
	s_delay_alu instid0(VALU_DEP_2)
	v_rcp_f32_e32 v3, v2
	v_xor_b32_e32 v2, 0x80000000, v2
	s_delay_alu instid0(TRANS32_DEP_1) | instid1(VALU_DEP_1)
	v_fma_f32 v6, v2, v3, 1.0
	s_delay_alu instid0(VALU_DEP_1) | instskip(NEXT) | instid1(VALU_DEP_1)
	v_fmac_f32_e32 v3, v6, v3
	v_mul_f32_e32 v6, v7, v3
	s_delay_alu instid0(VALU_DEP_1) | instskip(NEXT) | instid1(VALU_DEP_1)
	v_fma_f32 v8, v2, v6, v7
	v_fmac_f32_e32 v6, v8, v3
	s_delay_alu instid0(VALU_DEP_1) | instskip(SKIP_1) | instid1(VALU_DEP_1)
	v_fmac_f32_e32 v7, v2, v6
	s_wait_alu 0xfffd
	v_div_fmas_f32 v2, v7, v3, v6
	s_delay_alu instid0(VALU_DEP_1) | instskip(NEXT) | instid1(VALU_DEP_1)
	v_div_fixup_f32 v2, v2, v0, v1
	v_fmac_f32_e32 v0, v1, v2
	s_delay_alu instid0(VALU_DEP_1) | instskip(SKIP_1) | instid1(VALU_DEP_2)
	v_div_scale_f32 v1, null, v0, v0, 1.0
	v_div_scale_f32 v7, vcc_lo, 1.0, v0, 1.0
	v_rcp_f32_e32 v3, v1
	v_xor_b32_e32 v1, 0x80000000, v1
	s_delay_alu instid0(TRANS32_DEP_1) | instid1(VALU_DEP_1)
	v_fma_f32 v6, v1, v3, 1.0
	s_delay_alu instid0(VALU_DEP_1) | instskip(NEXT) | instid1(VALU_DEP_1)
	v_fmac_f32_e32 v3, v6, v3
	v_mul_f32_e32 v6, v7, v3
	s_delay_alu instid0(VALU_DEP_1) | instskip(NEXT) | instid1(VALU_DEP_1)
	v_fma_f32 v8, v1, v6, v7
	v_fmac_f32_e32 v6, v8, v3
	s_delay_alu instid0(VALU_DEP_1) | instskip(SKIP_1) | instid1(VALU_DEP_1)
	v_fmac_f32_e32 v7, v1, v6
	s_wait_alu 0xfffd
	v_div_fmas_f32 v1, v7, v3, v6
	v_fma_f32 v3, v2, v5, v4
	s_delay_alu instid0(VALU_DEP_2) | instskip(SKIP_1) | instid1(VALU_DEP_2)
	v_div_fixup_f32 v0, v1, v0, 1.0
	v_fma_f32 v1, -v2, v4, v5
	v_mul_f32_e32 v2, v3, v0
	s_delay_alu instid0(VALU_DEP_2)
	v_mul_f32_e32 v3, v1, v0
.LBB162_103:                            ;   in Loop: Header=BB162_85 Depth=2
	s_add_co_i32 s34, s21, -4
	s_addk_co_i32 s20, 0xfd00
	s_cmp_lt_i32 s21, 7
	ds_store_b64 v17, v[2:3]
	s_cbranch_scc1 .LBB162_105
; %bb.104:                              ;   in Loop: Header=BB162_85 Depth=2
	s_wait_alu 0xfffe
	s_mov_b32 s21, s34
	s_branch .LBB162_85
.LBB162_105:                            ;   in Loop: Header=BB162_3 Depth=1
	s_wait_alu 0xfffe
	s_cmp_lt_i32 s34, 0
	s_cbranch_scc1 .LBB162_114
; %bb.106:                              ;   in Loop: Header=BB162_3 Depth=1
	s_mul_i32 s20, s34, 0xc0
	s_wait_alu 0xfffe
	s_add_co_i32 s20, s33, s20
	s_branch .LBB162_108
.LBB162_107:                            ;   in Loop: Header=BB162_108 Depth=2
	v_sub_co_u32 v1, s21, s34, 1
	s_and_b32 vcc_lo, exec_lo, s21
	s_addk_co_i32 s20, 0xff40
	ds_store_b64 v0, v[5:6]
	v_readfirstlane_b32 s34, v1
	s_wait_alu 0xfffe
	s_cbranch_vccnz .LBB162_114
.LBB162_108:                            ;   Parent Loop BB162_3 Depth=1
                                        ; =>  This Loop Header: Depth=2
                                        ;       Child Loop BB162_109 Depth 3
	s_wait_alu 0xf1ff
	v_mad_co_u64_u32 v[0:1], null, 0xc0, s34, v[14:15]
	v_mov_b32_e32 v3, v27
	s_cmp_le_i32 s25, s34
	s_wait_alu 0xfffe
	s_mov_b32 s21, s20
	s_mov_b32 s35, s25
	ds_load_b64 v[1:2], v0
	s_cbranch_scc1 .LBB162_110
.LBB162_109:                            ;   Parent Loop BB162_3 Depth=1
                                        ;     Parent Loop BB162_108 Depth=2
                                        ; =>    This Inner Loop Header: Depth=3
	s_wait_alu 0xfffe
	v_mov_b32_e32 v6, s21
	s_add_co_i32 s35, s35, -1
	s_add_co_i32 s21, s21, -8
	s_wait_alu 0xfffe
	s_cmp_le_u32 s35, s34
	ds_load_b64 v[4:5], v3
	ds_load_b64 v[6:7], v6
	s_wait_dscnt 0x0
	v_dual_mul_f32 v8, v7, v5 :: v_dual_add_nc_u32 v3, 0xffffff40, v3
	v_mul_f32_e32 v5, v6, v5
	s_delay_alu instid0(VALU_DEP_2) | instskip(NEXT) | instid1(VALU_DEP_2)
	v_fma_f32 v6, v6, v4, -v8
	v_fmac_f32_e32 v5, v7, v4
	s_delay_alu instid0(VALU_DEP_1)
	v_dual_sub_f32 v1, v1, v6 :: v_dual_sub_f32 v2, v2, v5
	s_cbranch_scc0 .LBB162_109
.LBB162_110:                            ;   in Loop: Header=BB162_108 Depth=2
	s_mul_i32 s21, s34, 0xc8
	s_wait_alu 0xfffe
	v_mov_b32_e32 v3, s21
	s_mov_b32 s21, -1
	ds_load_b64 v[3:4], v3
	s_wait_dscnt 0x0
	v_and_b32_e32 v5, 0x7fffffff, v3
	v_and_b32_e32 v6, 0x7fffffff, v4
	s_delay_alu instid0(VALU_DEP_1)
	v_cmp_ngt_f32_e32 vcc_lo, v5, v6
                                        ; implicit-def: $vgpr5
	s_cbranch_vccz .LBB162_112
; %bb.111:                              ;   in Loop: Header=BB162_108 Depth=2
	v_div_scale_f32 v5, null, v4, v4, v3
	v_div_scale_f32 v8, vcc_lo, v3, v4, v3
	s_mov_b32 s21, 0
	v_rcp_f32_e32 v6, v5
	v_xor_b32_e32 v5, 0x80000000, v5
	s_delay_alu instid0(TRANS32_DEP_1) | instid1(VALU_DEP_1)
	v_fma_f32 v7, v5, v6, 1.0
	s_delay_alu instid0(VALU_DEP_1) | instskip(NEXT) | instid1(VALU_DEP_1)
	v_fmac_f32_e32 v6, v7, v6
	v_mul_f32_e32 v7, v8, v6
	s_delay_alu instid0(VALU_DEP_1) | instskip(NEXT) | instid1(VALU_DEP_1)
	v_fma_f32 v9, v5, v7, v8
	v_fmac_f32_e32 v7, v9, v6
	s_delay_alu instid0(VALU_DEP_1) | instskip(SKIP_1) | instid1(VALU_DEP_1)
	v_fmac_f32_e32 v8, v5, v7
	s_wait_alu 0xfffd
	v_div_fmas_f32 v5, v8, v6, v7
	s_delay_alu instid0(VALU_DEP_1) | instskip(NEXT) | instid1(VALU_DEP_1)
	v_div_fixup_f32 v5, v5, v4, v3
	v_fma_f32 v6, v3, v5, v4
	s_delay_alu instid0(VALU_DEP_1) | instskip(SKIP_1) | instid1(VALU_DEP_2)
	v_div_scale_f32 v7, null, v6, v6, 1.0
	v_div_scale_f32 v10, vcc_lo, 1.0, v6, 1.0
	v_rcp_f32_e32 v8, v7
	v_xor_b32_e32 v7, 0x80000000, v7
	s_delay_alu instid0(TRANS32_DEP_1) | instid1(VALU_DEP_1)
	v_fma_f32 v9, v7, v8, 1.0
	s_delay_alu instid0(VALU_DEP_1) | instskip(NEXT) | instid1(VALU_DEP_1)
	v_fmac_f32_e32 v8, v9, v8
	v_mul_f32_e32 v9, v10, v8
	s_delay_alu instid0(VALU_DEP_1) | instskip(NEXT) | instid1(VALU_DEP_1)
	v_fma_f32 v11, v7, v9, v10
	v_fmac_f32_e32 v9, v11, v8
	s_delay_alu instid0(VALU_DEP_1) | instskip(SKIP_1) | instid1(VALU_DEP_1)
	v_fmac_f32_e32 v10, v7, v9
	s_wait_alu 0xfffd
	v_div_fmas_f32 v7, v10, v8, v9
	v_fma_f32 v8, v1, v5, v2
	s_delay_alu instid0(VALU_DEP_2) | instskip(SKIP_1) | instid1(VALU_DEP_2)
	v_div_fixup_f32 v6, v7, v6, 1.0
	v_fma_f32 v7, v2, v5, -v1
	v_mul_f32_e32 v5, v8, v6
	s_delay_alu instid0(VALU_DEP_2)
	v_mul_f32_e32 v6, v7, v6
.LBB162_112:                            ;   in Loop: Header=BB162_108 Depth=2
	s_wait_alu 0xfffe
	s_and_not1_b32 vcc_lo, exec_lo, s21
	s_wait_alu 0xfffe
	s_cbranch_vccnz .LBB162_107
; %bb.113:                              ;   in Loop: Header=BB162_108 Depth=2
	v_div_scale_f32 v5, null, v3, v3, v4
	v_div_scale_f32 v8, vcc_lo, v4, v3, v4
	s_delay_alu instid0(VALU_DEP_2)
	v_rcp_f32_e32 v6, v5
	v_xor_b32_e32 v5, 0x80000000, v5
	s_delay_alu instid0(TRANS32_DEP_1) | instid1(VALU_DEP_1)
	v_fma_f32 v7, v5, v6, 1.0
	s_delay_alu instid0(VALU_DEP_1) | instskip(NEXT) | instid1(VALU_DEP_1)
	v_fmac_f32_e32 v6, v7, v6
	v_mul_f32_e32 v7, v8, v6
	s_delay_alu instid0(VALU_DEP_1) | instskip(NEXT) | instid1(VALU_DEP_1)
	v_fma_f32 v9, v5, v7, v8
	v_fmac_f32_e32 v7, v9, v6
	s_delay_alu instid0(VALU_DEP_1) | instskip(SKIP_1) | instid1(VALU_DEP_1)
	v_fmac_f32_e32 v8, v5, v7
	s_wait_alu 0xfffd
	v_div_fmas_f32 v5, v8, v6, v7
	s_delay_alu instid0(VALU_DEP_1) | instskip(NEXT) | instid1(VALU_DEP_1)
	v_div_fixup_f32 v5, v5, v3, v4
	v_fmac_f32_e32 v3, v4, v5
	s_delay_alu instid0(VALU_DEP_1) | instskip(SKIP_1) | instid1(VALU_DEP_2)
	v_div_scale_f32 v4, null, v3, v3, 1.0
	v_div_scale_f32 v8, vcc_lo, 1.0, v3, 1.0
	v_rcp_f32_e32 v6, v4
	v_xor_b32_e32 v4, 0x80000000, v4
	s_delay_alu instid0(TRANS32_DEP_1) | instid1(VALU_DEP_1)
	v_fma_f32 v7, v4, v6, 1.0
	s_delay_alu instid0(VALU_DEP_1) | instskip(NEXT) | instid1(VALU_DEP_1)
	v_fmac_f32_e32 v6, v7, v6
	v_mul_f32_e32 v7, v8, v6
	s_delay_alu instid0(VALU_DEP_1) | instskip(NEXT) | instid1(VALU_DEP_1)
	v_fma_f32 v9, v4, v7, v8
	v_fmac_f32_e32 v7, v9, v6
	s_delay_alu instid0(VALU_DEP_1) | instskip(SKIP_1) | instid1(VALU_DEP_1)
	v_fmac_f32_e32 v8, v4, v7
	s_wait_alu 0xfffd
	v_div_fmas_f32 v4, v8, v6, v7
	v_fma_f32 v6, v2, v5, v1
	v_fma_f32 v1, -v1, v5, v2
	s_delay_alu instid0(VALU_DEP_3) | instskip(NEXT) | instid1(VALU_DEP_1)
	v_div_fixup_f32 v3, v4, v3, 1.0
	v_mul_f32_e32 v5, v6, v3
	s_delay_alu instid0(VALU_DEP_3)
	v_mul_f32_e32 v6, v1, v3
	s_branch .LBB162_107
.LBB162_114:                            ;   in Loop: Header=BB162_3 Depth=1
	s_mov_b32 s20, 0
.LBB162_115:                            ;   in Loop: Header=BB162_3 Depth=1
	s_wait_alu 0xfffe
	s_and_not1_b32 vcc_lo, exec_lo, s20
	s_wait_alu 0xfffe
	s_cbranch_vccnz .LBB162_147
; %bb.116:                              ;   in Loop: Header=BB162_3 Depth=1
	s_and_not1_b32 vcc_lo, exec_lo, s22
	s_mov_b32 s34, 0
	s_wait_alu 0xfffe
	s_cbranch_vccnz .LBB162_138
; %bb.117:                              ;   in Loop: Header=BB162_3 Depth=1
	s_mov_b32 s20, 0
	s_mov_b32 s21, 0
.LBB162_118:                            ;   Parent Loop BB162_3 Depth=1
                                        ; =>  This Loop Header: Depth=2
                                        ;       Child Loop BB162_119 Depth 3
	s_wait_alu 0xfffe
	s_mul_i32 s34, s21, 24
	v_mov_b32_e32 v8, v14
	s_wait_alu 0xfffe
	v_lshl_add_u32 v19, s34, 3, v14
	s_cmp_eq_u32 s21, 0
	s_mov_b32 s35, s20
	s_mov_b32 s36, s21
	ds_load_2addr_b64 v[4:7], v19 offset1:24
	ds_load_2addr_b64 v[0:3], v19 offset0:48 offset1:72
	s_cbranch_scc1 .LBB162_120
.LBB162_119:                            ;   Parent Loop BB162_3 Depth=1
                                        ;     Parent Loop BB162_118 Depth=2
                                        ; =>    This Inner Loop Header: Depth=3
	s_wait_alu 0xfffe
	v_mov_b32_e32 v11, s35
	s_add_co_i32 s36, s36, -1
	s_add_co_i32 s35, s35, 8
	s_wait_alu 0xfffe
	s_cmp_eq_u32 s36, 0
	ds_load_b64 v[9:10], v8
	ds_load_2addr_b64 v[30:33], v11 offset1:24
	ds_load_2addr_b64 v[34:37], v11 offset0:48 offset1:72
	s_wait_dscnt 0x1
	v_dual_mul_f32 v11, v31, v10 :: v_dual_add_nc_u32 v8, 0xc0, v8
	v_mul_f32_e32 v20, v33, v9
	v_mul_f32_e32 v18, v33, v10
	s_wait_dscnt 0x0
	v_mul_f32_e32 v33, v35, v10
	v_mul_f32_e32 v35, v35, v9
	v_fma_f32 v11, v30, v9, -v11
	v_mul_f32_e32 v17, v30, v10
	v_fma_f32 v18, v32, v9, -v18
	v_fma_f32 v30, v34, v9, -v33
	s_delay_alu instid0(VALU_DEP_4) | instskip(NEXT) | instid1(VALU_DEP_4)
	v_dual_fmac_f32 v35, v34, v10 :: v_dual_sub_f32 v4, v4, v11
	v_dual_mul_f32 v38, v37, v10 :: v_dual_fmac_f32 v17, v31, v9
	v_dual_mul_f32 v37, v37, v9 :: v_dual_fmac_f32 v20, v32, v10
	v_sub_f32_e32 v6, v6, v18
	s_delay_alu instid0(VALU_DEP_3) | instskip(NEXT) | instid1(VALU_DEP_4)
	v_fma_f32 v9, v36, v9, -v38
	v_sub_f32_e32 v5, v5, v17
	s_delay_alu instid0(VALU_DEP_4) | instskip(SKIP_1) | instid1(VALU_DEP_4)
	v_fmac_f32_e32 v37, v36, v10
	v_dual_sub_f32 v7, v7, v20 :: v_dual_sub_f32 v0, v0, v30
	v_dual_sub_f32 v1, v1, v35 :: v_dual_sub_f32 v2, v2, v9
	s_delay_alu instid0(VALU_DEP_3)
	v_sub_f32_e32 v3, v3, v37
	s_cbranch_scc0 .LBB162_119
.LBB162_120:                            ;   in Loop: Header=BB162_118 Depth=2
	s_mul_i32 s35, s21, 0xc8
                                        ; implicit-def: $vgpr18
	s_wait_alu 0xfffe
	v_mov_b32_e32 v8, s35
	s_mov_b32 s35, -1
	ds_load_b64 v[8:9], v8
	s_wait_dscnt 0x0
	v_and_b32_e32 v10, 0x7fffffff, v8
	v_and_b32_e32 v11, 0x7fffffff, v9
	s_delay_alu instid0(VALU_DEP_1)
	v_cmp_ngt_f32_e32 vcc_lo, v10, v11
	s_cbranch_vccz .LBB162_122
; %bb.121:                              ;   in Loop: Header=BB162_118 Depth=2
	v_div_scale_f32 v10, null, v9, v9, v8
	v_div_scale_f32 v18, vcc_lo, v8, v9, v8
	s_mov_b32 s35, 0
	v_rcp_f32_e32 v11, v10
	v_xor_b32_e32 v10, 0x80000000, v10
	s_delay_alu instid0(TRANS32_DEP_1) | instid1(VALU_DEP_1)
	v_fma_f32 v17, v10, v11, 1.0
	s_delay_alu instid0(VALU_DEP_1) | instskip(NEXT) | instid1(VALU_DEP_1)
	v_fmac_f32_e32 v11, v17, v11
	v_mul_f32_e32 v17, v18, v11
	s_delay_alu instid0(VALU_DEP_1) | instskip(NEXT) | instid1(VALU_DEP_1)
	v_fma_f32 v20, v10, v17, v18
	v_fmac_f32_e32 v17, v20, v11
	s_delay_alu instid0(VALU_DEP_1) | instskip(SKIP_1) | instid1(VALU_DEP_1)
	v_fmac_f32_e32 v18, v10, v17
	s_wait_alu 0xfffd
	v_div_fmas_f32 v10, v18, v11, v17
	s_delay_alu instid0(VALU_DEP_1) | instskip(NEXT) | instid1(VALU_DEP_1)
	v_div_fixup_f32 v10, v10, v9, v8
	v_fma_f32 v11, v8, v10, v9
	s_delay_alu instid0(VALU_DEP_1) | instskip(SKIP_1) | instid1(VALU_DEP_2)
	v_div_scale_f32 v17, null, v11, v11, 1.0
	v_div_scale_f32 v30, vcc_lo, 1.0, v11, 1.0
	v_rcp_f32_e32 v18, v17
	v_xor_b32_e32 v17, 0x80000000, v17
	s_delay_alu instid0(TRANS32_DEP_1) | instid1(VALU_DEP_1)
	v_fma_f32 v20, v17, v18, 1.0
	s_delay_alu instid0(VALU_DEP_1) | instskip(NEXT) | instid1(VALU_DEP_1)
	v_fmac_f32_e32 v18, v20, v18
	v_mul_f32_e32 v20, v30, v18
	s_delay_alu instid0(VALU_DEP_1) | instskip(NEXT) | instid1(VALU_DEP_1)
	v_fma_f32 v31, v17, v20, v30
	v_fmac_f32_e32 v20, v31, v18
	s_delay_alu instid0(VALU_DEP_1) | instskip(SKIP_1) | instid1(VALU_DEP_1)
	v_fmac_f32_e32 v30, v17, v20
	s_wait_alu 0xfffd
	v_div_fmas_f32 v17, v30, v18, v20
	v_fma_f32 v18, v4, v10, v5
	v_fma_f32 v10, v5, v10, -v4
	s_delay_alu instid0(VALU_DEP_3) | instskip(NEXT) | instid1(VALU_DEP_1)
	v_div_fixup_f32 v11, v17, v11, 1.0
	v_mul_f32_e32 v17, v18, v11
	s_delay_alu instid0(VALU_DEP_3)
	v_mul_f32_e32 v18, v10, v11
.LBB162_122:                            ;   in Loop: Header=BB162_118 Depth=2
	s_wait_alu 0xfffe
	s_and_not1_b32 vcc_lo, exec_lo, s35
	s_wait_alu 0xfffe
	s_cbranch_vccnz .LBB162_124
; %bb.123:                              ;   in Loop: Header=BB162_118 Depth=2
	v_div_scale_f32 v10, null, v8, v8, v9
	v_div_scale_f32 v18, vcc_lo, v9, v8, v9
	s_delay_alu instid0(VALU_DEP_2)
	v_rcp_f32_e32 v11, v10
	v_xor_b32_e32 v10, 0x80000000, v10
	s_delay_alu instid0(TRANS32_DEP_1) | instid1(VALU_DEP_1)
	v_fma_f32 v17, v10, v11, 1.0
	s_delay_alu instid0(VALU_DEP_1) | instskip(NEXT) | instid1(VALU_DEP_1)
	v_fmac_f32_e32 v11, v17, v11
	v_mul_f32_e32 v17, v18, v11
	s_delay_alu instid0(VALU_DEP_1) | instskip(NEXT) | instid1(VALU_DEP_1)
	v_fma_f32 v20, v10, v17, v18
	v_fmac_f32_e32 v17, v20, v11
	s_delay_alu instid0(VALU_DEP_1) | instskip(SKIP_1) | instid1(VALU_DEP_1)
	v_fmac_f32_e32 v18, v10, v17
	s_wait_alu 0xfffd
	v_div_fmas_f32 v10, v18, v11, v17
	s_delay_alu instid0(VALU_DEP_1) | instskip(NEXT) | instid1(VALU_DEP_1)
	v_div_fixup_f32 v10, v10, v8, v9
	v_fmac_f32_e32 v8, v9, v10
	s_delay_alu instid0(VALU_DEP_1) | instskip(SKIP_1) | instid1(VALU_DEP_2)
	v_div_scale_f32 v9, null, v8, v8, 1.0
	v_div_scale_f32 v18, vcc_lo, 1.0, v8, 1.0
	v_rcp_f32_e32 v11, v9
	v_xor_b32_e32 v9, 0x80000000, v9
	s_delay_alu instid0(TRANS32_DEP_1) | instid1(VALU_DEP_1)
	v_fma_f32 v17, v9, v11, 1.0
	s_delay_alu instid0(VALU_DEP_1) | instskip(NEXT) | instid1(VALU_DEP_1)
	v_fmac_f32_e32 v11, v17, v11
	v_mul_f32_e32 v17, v18, v11
	s_delay_alu instid0(VALU_DEP_1) | instskip(NEXT) | instid1(VALU_DEP_1)
	v_fma_f32 v20, v9, v17, v18
	v_fmac_f32_e32 v17, v20, v11
	s_delay_alu instid0(VALU_DEP_1) | instskip(SKIP_1) | instid1(VALU_DEP_1)
	v_fmac_f32_e32 v18, v9, v17
	s_wait_alu 0xfffd
	v_div_fmas_f32 v9, v18, v11, v17
	v_fma_f32 v11, v5, v10, v4
	v_fma_f32 v4, -v4, v10, v5
	s_delay_alu instid0(VALU_DEP_3) | instskip(NEXT) | instid1(VALU_DEP_1)
	v_div_fixup_f32 v8, v9, v8, 1.0
	v_mul_f32_e32 v17, v11, v8
	s_delay_alu instid0(VALU_DEP_3)
	v_mul_f32_e32 v18, v4, v8
.LBB162_124:                            ;   in Loop: Header=BB162_118 Depth=2
	s_lshl_b32 s35, s34, 3
	s_lshl_b32 s34, s21, 3
	s_wait_alu 0xfffe
	s_addk_co_i32 s35, 0xc0
	ds_store_b64 v19, v[17:18]
	s_wait_alu 0xfffe
	s_add_co_i32 s36, s35, s34
	s_wait_alu 0xfffe
	v_mov_b32_e32 v4, s36
	s_mov_b32 s36, -1
	ds_load_b128 v[8:11], v4
	s_wait_dscnt 0x0
	v_mul_f32_e32 v4, v18, v9
	v_mul_f32_e32 v5, v17, v9
	v_and_b32_e32 v9, 0x7fffffff, v10
	v_and_b32_e32 v20, 0x7fffffff, v11
	s_delay_alu instid0(VALU_DEP_4) | instskip(NEXT) | instid1(VALU_DEP_4)
	v_fma_f32 v4, v17, v8, -v4
	v_fmac_f32_e32 v5, v18, v8
	s_delay_alu instid0(VALU_DEP_3) | instskip(NEXT) | instid1(VALU_DEP_2)
	v_cmp_ngt_f32_e32 vcc_lo, v9, v20
                                        ; implicit-def: $vgpr9
	v_dual_sub_f32 v4, v6, v4 :: v_dual_sub_f32 v5, v7, v5
	s_cbranch_vccz .LBB162_126
; %bb.125:                              ;   in Loop: Header=BB162_118 Depth=2
	v_div_scale_f32 v6, null, v11, v11, v10
	v_div_scale_f32 v9, vcc_lo, v10, v11, v10
	s_mov_b32 s36, 0
	v_rcp_f32_e32 v7, v6
	v_xor_b32_e32 v6, 0x80000000, v6
	s_delay_alu instid0(TRANS32_DEP_1) | instid1(VALU_DEP_1)
	v_fma_f32 v8, v6, v7, 1.0
	s_delay_alu instid0(VALU_DEP_1) | instskip(NEXT) | instid1(VALU_DEP_1)
	v_fmac_f32_e32 v7, v8, v7
	v_mul_f32_e32 v8, v9, v7
	s_delay_alu instid0(VALU_DEP_1) | instskip(NEXT) | instid1(VALU_DEP_1)
	v_fma_f32 v20, v6, v8, v9
	v_fmac_f32_e32 v8, v20, v7
	s_delay_alu instid0(VALU_DEP_1) | instskip(SKIP_1) | instid1(VALU_DEP_1)
	v_fmac_f32_e32 v9, v6, v8
	s_wait_alu 0xfffd
	v_div_fmas_f32 v6, v9, v7, v8
	s_delay_alu instid0(VALU_DEP_1) | instskip(NEXT) | instid1(VALU_DEP_1)
	v_div_fixup_f32 v6, v6, v11, v10
	v_fma_f32 v7, v10, v6, v11
	s_delay_alu instid0(VALU_DEP_1) | instskip(SKIP_1) | instid1(VALU_DEP_2)
	v_div_scale_f32 v8, null, v7, v7, 1.0
	v_div_scale_f32 v30, vcc_lo, 1.0, v7, 1.0
	v_rcp_f32_e32 v9, v8
	v_xor_b32_e32 v8, 0x80000000, v8
	s_delay_alu instid0(TRANS32_DEP_1) | instid1(VALU_DEP_1)
	v_fma_f32 v20, v8, v9, 1.0
	s_delay_alu instid0(VALU_DEP_1) | instskip(NEXT) | instid1(VALU_DEP_1)
	v_fmac_f32_e32 v9, v20, v9
	v_mul_f32_e32 v20, v30, v9
	s_delay_alu instid0(VALU_DEP_1) | instskip(NEXT) | instid1(VALU_DEP_1)
	v_fma_f32 v31, v8, v20, v30
	v_fmac_f32_e32 v20, v31, v9
	s_delay_alu instid0(VALU_DEP_1) | instskip(SKIP_1) | instid1(VALU_DEP_1)
	v_fmac_f32_e32 v30, v8, v20
	s_wait_alu 0xfffd
	v_div_fmas_f32 v8, v30, v9, v20
	v_fma_f32 v9, v6, v4, v5
	v_fma_f32 v6, v6, v5, -v4
	s_delay_alu instid0(VALU_DEP_3) | instskip(NEXT) | instid1(VALU_DEP_1)
	v_div_fixup_f32 v7, v8, v7, 1.0
	v_mul_f32_e32 v8, v9, v7
	s_delay_alu instid0(VALU_DEP_3)
	v_mul_f32_e32 v9, v6, v7
.LBB162_126:                            ;   in Loop: Header=BB162_118 Depth=2
	s_wait_alu 0xfffe
	s_and_not1_b32 vcc_lo, exec_lo, s36
	s_wait_alu 0xfffe
	s_cbranch_vccnz .LBB162_128
; %bb.127:                              ;   in Loop: Header=BB162_118 Depth=2
	v_div_scale_f32 v6, null, v10, v10, v11
	v_div_scale_f32 v9, vcc_lo, v11, v10, v11
	s_delay_alu instid0(VALU_DEP_2)
	v_rcp_f32_e32 v7, v6
	v_xor_b32_e32 v6, 0x80000000, v6
	s_delay_alu instid0(TRANS32_DEP_1) | instid1(VALU_DEP_1)
	v_fma_f32 v8, v6, v7, 1.0
	s_delay_alu instid0(VALU_DEP_1) | instskip(NEXT) | instid1(VALU_DEP_1)
	v_fmac_f32_e32 v7, v8, v7
	v_mul_f32_e32 v8, v9, v7
	s_delay_alu instid0(VALU_DEP_1) | instskip(NEXT) | instid1(VALU_DEP_1)
	v_fma_f32 v20, v6, v8, v9
	v_fmac_f32_e32 v8, v20, v7
	s_delay_alu instid0(VALU_DEP_1) | instskip(SKIP_1) | instid1(VALU_DEP_1)
	v_fmac_f32_e32 v9, v6, v8
	s_wait_alu 0xfffd
	v_div_fmas_f32 v6, v9, v7, v8
	s_delay_alu instid0(VALU_DEP_1) | instskip(NEXT) | instid1(VALU_DEP_1)
	v_div_fixup_f32 v6, v6, v10, v11
	v_fmac_f32_e32 v10, v11, v6
	s_delay_alu instid0(VALU_DEP_1) | instskip(SKIP_1) | instid1(VALU_DEP_2)
	v_div_scale_f32 v7, null, v10, v10, 1.0
	v_div_scale_f32 v11, vcc_lo, 1.0, v10, 1.0
	v_rcp_f32_e32 v8, v7
	v_xor_b32_e32 v7, 0x80000000, v7
	s_delay_alu instid0(TRANS32_DEP_1) | instid1(VALU_DEP_1)
	v_fma_f32 v9, v7, v8, 1.0
	s_delay_alu instid0(VALU_DEP_1) | instskip(NEXT) | instid1(VALU_DEP_1)
	v_fmac_f32_e32 v8, v9, v8
	v_mul_f32_e32 v9, v11, v8
	s_delay_alu instid0(VALU_DEP_1) | instskip(NEXT) | instid1(VALU_DEP_1)
	v_fma_f32 v20, v7, v9, v11
	v_fmac_f32_e32 v9, v20, v8
	s_delay_alu instid0(VALU_DEP_1) | instskip(SKIP_1) | instid1(VALU_DEP_1)
	v_fmac_f32_e32 v11, v7, v9
	s_wait_alu 0xfffd
	v_div_fmas_f32 v7, v11, v8, v9
	v_fma_f32 v8, v6, v5, v4
	v_fma_f32 v4, -v6, v4, v5
	s_delay_alu instid0(VALU_DEP_3) | instskip(NEXT) | instid1(VALU_DEP_1)
	v_div_fixup_f32 v7, v7, v10, 1.0
	v_mul_f32_e32 v8, v8, v7
	s_delay_alu instid0(VALU_DEP_3)
	v_mul_f32_e32 v9, v4, v7
.LBB162_128:                            ;   in Loop: Header=BB162_118 Depth=2
	s_addk_co_i32 s35, 0xc0
	s_wait_alu 0xfffe
	s_add_co_i32 s34, s35, s34
	s_mov_b32 s35, -1
	s_wait_alu 0xfffe
	v_mov_b32_e32 v4, s34
	ds_load_b128 v[30:33], v4
	ds_load_b64 v[4:5], v4 offset:16
	ds_store_b64 v19, v[8:9] offset:192
	s_wait_dscnt 0x2
	v_dual_mul_f32 v6, v18, v31 :: v_dual_mul_f32 v11, v8, v33
	v_mul_f32_e32 v7, v17, v31
	v_mul_f32_e32 v10, v9, v33
	s_delay_alu instid0(VALU_DEP_3) | instskip(NEXT) | instid1(VALU_DEP_4)
	v_fma_f32 v6, v17, v30, -v6
	v_fmac_f32_e32 v11, v9, v32
	s_wait_dscnt 0x1
	v_dual_fmac_f32 v7, v18, v30 :: v_dual_and_b32 v20, 0x7fffffff, v4
	v_and_b32_e32 v30, 0x7fffffff, v5
	v_fma_f32 v10, v8, v32, -v10
	s_delay_alu instid0(VALU_DEP_3) | instskip(NEXT) | instid1(VALU_DEP_3)
	v_dual_sub_f32 v1, v1, v7 :: v_dual_sub_f32 v0, v0, v6
	v_cmp_ngt_f32_e32 vcc_lo, v20, v30
	s_delay_alu instid0(VALU_DEP_2)
	v_dual_sub_f32 v7, v1, v11 :: v_dual_sub_f32 v6, v0, v10
                                        ; implicit-def: $vgpr1
	s_cbranch_vccz .LBB162_130
; %bb.129:                              ;   in Loop: Header=BB162_118 Depth=2
	v_div_scale_f32 v0, null, v5, v5, v4
	v_div_scale_f32 v11, vcc_lo, v4, v5, v4
	s_mov_b32 s35, 0
	v_rcp_f32_e32 v1, v0
	v_xor_b32_e32 v0, 0x80000000, v0
	s_delay_alu instid0(TRANS32_DEP_1) | instid1(VALU_DEP_1)
	v_fma_f32 v10, v0, v1, 1.0
	s_delay_alu instid0(VALU_DEP_1) | instskip(NEXT) | instid1(VALU_DEP_1)
	v_fmac_f32_e32 v1, v10, v1
	v_mul_f32_e32 v10, v11, v1
	s_delay_alu instid0(VALU_DEP_1) | instskip(NEXT) | instid1(VALU_DEP_1)
	v_fma_f32 v20, v0, v10, v11
	v_fmac_f32_e32 v10, v20, v1
	s_delay_alu instid0(VALU_DEP_1) | instskip(SKIP_1) | instid1(VALU_DEP_1)
	v_fmac_f32_e32 v11, v0, v10
	s_wait_alu 0xfffd
	v_div_fmas_f32 v0, v11, v1, v10
	s_delay_alu instid0(VALU_DEP_1) | instskip(NEXT) | instid1(VALU_DEP_1)
	v_div_fixup_f32 v0, v0, v5, v4
	v_fma_f32 v1, v4, v0, v5
	s_delay_alu instid0(VALU_DEP_1) | instskip(SKIP_1) | instid1(VALU_DEP_2)
	v_div_scale_f32 v10, null, v1, v1, 1.0
	v_div_scale_f32 v30, vcc_lo, 1.0, v1, 1.0
	v_rcp_f32_e32 v11, v10
	v_xor_b32_e32 v10, 0x80000000, v10
	s_delay_alu instid0(TRANS32_DEP_1) | instid1(VALU_DEP_1)
	v_fma_f32 v20, v10, v11, 1.0
	s_delay_alu instid0(VALU_DEP_1) | instskip(NEXT) | instid1(VALU_DEP_1)
	v_fmac_f32_e32 v11, v20, v11
	v_mul_f32_e32 v20, v30, v11
	s_delay_alu instid0(VALU_DEP_1) | instskip(NEXT) | instid1(VALU_DEP_1)
	v_fma_f32 v31, v10, v20, v30
	v_fmac_f32_e32 v20, v31, v11
	s_delay_alu instid0(VALU_DEP_1) | instskip(SKIP_1) | instid1(VALU_DEP_1)
	v_fmac_f32_e32 v30, v10, v20
	s_wait_alu 0xfffd
	v_div_fmas_f32 v10, v30, v11, v20
	v_fma_f32 v11, v0, v6, v7
	s_delay_alu instid0(VALU_DEP_2) | instskip(SKIP_1) | instid1(VALU_DEP_2)
	v_div_fixup_f32 v1, v10, v1, 1.0
	v_fma_f32 v10, v0, v7, -v6
	v_mul_f32_e32 v0, v11, v1
	s_delay_alu instid0(VALU_DEP_2)
	v_mul_f32_e32 v1, v10, v1
.LBB162_130:                            ;   in Loop: Header=BB162_118 Depth=2
	s_wait_alu 0xfffe
	s_and_not1_b32 vcc_lo, exec_lo, s35
	s_wait_alu 0xfffe
	s_cbranch_vccnz .LBB162_132
; %bb.131:                              ;   in Loop: Header=BB162_118 Depth=2
	v_div_scale_f32 v0, null, v4, v4, v5
	v_div_scale_f32 v11, vcc_lo, v5, v4, v5
	s_delay_alu instid0(VALU_DEP_2)
	v_rcp_f32_e32 v1, v0
	v_xor_b32_e32 v0, 0x80000000, v0
	s_delay_alu instid0(TRANS32_DEP_1) | instid1(VALU_DEP_1)
	v_fma_f32 v10, v0, v1, 1.0
	s_delay_alu instid0(VALU_DEP_1) | instskip(NEXT) | instid1(VALU_DEP_1)
	v_fmac_f32_e32 v1, v10, v1
	v_mul_f32_e32 v10, v11, v1
	s_delay_alu instid0(VALU_DEP_1) | instskip(NEXT) | instid1(VALU_DEP_1)
	v_fma_f32 v20, v0, v10, v11
	v_fmac_f32_e32 v10, v20, v1
	s_delay_alu instid0(VALU_DEP_1) | instskip(SKIP_1) | instid1(VALU_DEP_1)
	v_fmac_f32_e32 v11, v0, v10
	s_wait_alu 0xfffd
	v_div_fmas_f32 v0, v11, v1, v10
	s_delay_alu instid0(VALU_DEP_1) | instskip(NEXT) | instid1(VALU_DEP_1)
	v_div_fixup_f32 v0, v0, v4, v5
	v_fmac_f32_e32 v4, v5, v0
	s_delay_alu instid0(VALU_DEP_1) | instskip(SKIP_1) | instid1(VALU_DEP_2)
	v_div_scale_f32 v1, null, v4, v4, 1.0
	v_div_scale_f32 v11, vcc_lo, 1.0, v4, 1.0
	v_rcp_f32_e32 v5, v1
	v_xor_b32_e32 v1, 0x80000000, v1
	s_delay_alu instid0(TRANS32_DEP_1) | instid1(VALU_DEP_1)
	v_fma_f32 v10, v1, v5, 1.0
	s_delay_alu instid0(VALU_DEP_1) | instskip(NEXT) | instid1(VALU_DEP_1)
	v_fmac_f32_e32 v5, v10, v5
	v_mul_f32_e32 v10, v11, v5
	s_delay_alu instid0(VALU_DEP_1) | instskip(NEXT) | instid1(VALU_DEP_1)
	v_fma_f32 v20, v1, v10, v11
	v_fmac_f32_e32 v10, v20, v5
	s_delay_alu instid0(VALU_DEP_1) | instskip(SKIP_1) | instid1(VALU_DEP_1)
	v_fmac_f32_e32 v11, v1, v10
	s_wait_alu 0xfffd
	v_div_fmas_f32 v1, v11, v5, v10
	v_fma_f32 v5, v0, v7, v6
	s_delay_alu instid0(VALU_DEP_2) | instskip(SKIP_1) | instid1(VALU_DEP_2)
	v_div_fixup_f32 v1, v1, v4, 1.0
	v_fma_f32 v4, -v0, v6, v7
	v_mul_f32_e32 v0, v5, v1
	s_delay_alu instid0(VALU_DEP_2)
	v_mul_f32_e32 v1, v4, v1
.LBB162_132:                            ;   in Loop: Header=BB162_118 Depth=2
	v_mov_b32_e32 v4, s34
	s_mov_b32 s34, -1
	ds_load_b128 v[30:33], v4 offset:192
	ds_load_b128 v[4:7], v4 offset:208
	ds_store_b64 v19, v[0:1] offset:384
	s_wait_dscnt 0x2
	v_mul_f32_e32 v10, v18, v31
	v_mul_f32_e32 v11, v17, v31
	;; [unrolled: 1-line block ×4, first 2 shown]
	s_delay_alu instid0(VALU_DEP_4)
	v_fma_f32 v10, v17, v30, -v10
	s_wait_dscnt 0x1
	v_mul_f32_e32 v33, v1, v5
	v_fmac_f32_e32 v11, v18, v30
	v_fma_f32 v8, v8, v32, -v20
	v_and_b32_e32 v17, 0x7fffffff, v6
	v_dual_sub_f32 v2, v2, v10 :: v_dual_mul_f32 v5, v0, v5
	s_delay_alu instid0(VALU_DEP_4) | instskip(SKIP_1) | instid1(VALU_DEP_3)
	v_sub_f32_e32 v3, v3, v11
	v_fma_f32 v10, v0, v4, -v33
	v_sub_f32_e32 v2, v2, v8
	v_fmac_f32_e32 v31, v9, v32
	v_and_b32_e32 v9, 0x7fffffff, v7
	v_fmac_f32_e32 v5, v1, v4
                                        ; implicit-def: $vgpr1
	s_delay_alu instid0(VALU_DEP_3) | instskip(NEXT) | instid1(VALU_DEP_3)
	v_dual_sub_f32 v2, v2, v10 :: v_dual_sub_f32 v3, v3, v31
	v_cmp_ngt_f32_e32 vcc_lo, v17, v9
	s_delay_alu instid0(VALU_DEP_2)
	v_sub_f32_e32 v3, v3, v5
	s_cbranch_vccz .LBB162_134
; %bb.133:                              ;   in Loop: Header=BB162_118 Depth=2
	v_div_scale_f32 v0, null, v7, v7, v6
	v_div_scale_f32 v5, vcc_lo, v6, v7, v6
	s_mov_b32 s34, 0
	v_rcp_f32_e32 v1, v0
	v_xor_b32_e32 v0, 0x80000000, v0
	s_delay_alu instid0(TRANS32_DEP_1) | instid1(VALU_DEP_1)
	v_fma_f32 v4, v0, v1, 1.0
	s_delay_alu instid0(VALU_DEP_1) | instskip(NEXT) | instid1(VALU_DEP_1)
	v_fmac_f32_e32 v1, v4, v1
	v_mul_f32_e32 v4, v5, v1
	s_delay_alu instid0(VALU_DEP_1) | instskip(NEXT) | instid1(VALU_DEP_1)
	v_fma_f32 v8, v0, v4, v5
	v_fmac_f32_e32 v4, v8, v1
	s_delay_alu instid0(VALU_DEP_1) | instskip(SKIP_1) | instid1(VALU_DEP_1)
	v_fmac_f32_e32 v5, v0, v4
	s_wait_alu 0xfffd
	v_div_fmas_f32 v0, v5, v1, v4
	s_delay_alu instid0(VALU_DEP_1) | instskip(NEXT) | instid1(VALU_DEP_1)
	v_div_fixup_f32 v0, v0, v7, v6
	v_fma_f32 v1, v6, v0, v7
	s_delay_alu instid0(VALU_DEP_1) | instskip(SKIP_1) | instid1(VALU_DEP_2)
	v_div_scale_f32 v4, null, v1, v1, 1.0
	v_div_scale_f32 v9, vcc_lo, 1.0, v1, 1.0
	v_rcp_f32_e32 v5, v4
	v_xor_b32_e32 v4, 0x80000000, v4
	s_delay_alu instid0(TRANS32_DEP_1) | instid1(VALU_DEP_1)
	v_fma_f32 v8, v4, v5, 1.0
	s_delay_alu instid0(VALU_DEP_1) | instskip(NEXT) | instid1(VALU_DEP_1)
	v_fmac_f32_e32 v5, v8, v5
	v_mul_f32_e32 v8, v9, v5
	s_delay_alu instid0(VALU_DEP_1) | instskip(NEXT) | instid1(VALU_DEP_1)
	v_fma_f32 v10, v4, v8, v9
	v_fmac_f32_e32 v8, v10, v5
	s_delay_alu instid0(VALU_DEP_1) | instskip(SKIP_1) | instid1(VALU_DEP_1)
	v_fmac_f32_e32 v9, v4, v8
	s_wait_alu 0xfffd
	v_div_fmas_f32 v4, v9, v5, v8
	v_fma_f32 v5, v0, v2, v3
	s_delay_alu instid0(VALU_DEP_2) | instskip(SKIP_1) | instid1(VALU_DEP_2)
	v_div_fixup_f32 v1, v4, v1, 1.0
	v_fma_f32 v4, v0, v3, -v2
	v_mul_f32_e32 v0, v5, v1
	s_delay_alu instid0(VALU_DEP_2)
	v_mul_f32_e32 v1, v4, v1
.LBB162_134:                            ;   in Loop: Header=BB162_118 Depth=2
	s_wait_alu 0xfffe
	s_and_not1_b32 vcc_lo, exec_lo, s34
	s_wait_alu 0xfffe
	s_cbranch_vccnz .LBB162_136
; %bb.135:                              ;   in Loop: Header=BB162_118 Depth=2
	v_div_scale_f32 v0, null, v6, v6, v7
	v_div_scale_f32 v5, vcc_lo, v7, v6, v7
	s_delay_alu instid0(VALU_DEP_2)
	v_rcp_f32_e32 v1, v0
	v_xor_b32_e32 v0, 0x80000000, v0
	s_delay_alu instid0(TRANS32_DEP_1) | instid1(VALU_DEP_1)
	v_fma_f32 v4, v0, v1, 1.0
	s_delay_alu instid0(VALU_DEP_1) | instskip(NEXT) | instid1(VALU_DEP_1)
	v_fmac_f32_e32 v1, v4, v1
	v_mul_f32_e32 v4, v5, v1
	s_delay_alu instid0(VALU_DEP_1) | instskip(NEXT) | instid1(VALU_DEP_1)
	v_fma_f32 v8, v0, v4, v5
	v_fmac_f32_e32 v4, v8, v1
	s_delay_alu instid0(VALU_DEP_1) | instskip(SKIP_1) | instid1(VALU_DEP_1)
	v_fmac_f32_e32 v5, v0, v4
	s_wait_alu 0xfffd
	v_div_fmas_f32 v0, v5, v1, v4
	s_delay_alu instid0(VALU_DEP_1) | instskip(NEXT) | instid1(VALU_DEP_1)
	v_div_fixup_f32 v0, v0, v6, v7
	v_fmac_f32_e32 v6, v7, v0
	s_delay_alu instid0(VALU_DEP_1) | instskip(SKIP_1) | instid1(VALU_DEP_2)
	v_div_scale_f32 v1, null, v6, v6, 1.0
	v_div_scale_f32 v7, vcc_lo, 1.0, v6, 1.0
	v_rcp_f32_e32 v4, v1
	v_xor_b32_e32 v1, 0x80000000, v1
	s_delay_alu instid0(TRANS32_DEP_1) | instid1(VALU_DEP_1)
	v_fma_f32 v5, v1, v4, 1.0
	s_delay_alu instid0(VALU_DEP_1) | instskip(NEXT) | instid1(VALU_DEP_1)
	v_fmac_f32_e32 v4, v5, v4
	v_mul_f32_e32 v5, v7, v4
	s_delay_alu instid0(VALU_DEP_1) | instskip(NEXT) | instid1(VALU_DEP_1)
	v_fma_f32 v8, v1, v5, v7
	v_fmac_f32_e32 v5, v8, v4
	s_delay_alu instid0(VALU_DEP_1) | instskip(SKIP_1) | instid1(VALU_DEP_1)
	v_fmac_f32_e32 v7, v1, v5
	s_wait_alu 0xfffd
	v_div_fmas_f32 v1, v7, v4, v5
	v_fma_f32 v4, v0, v3, v2
	v_fma_f32 v2, -v0, v2, v3
	s_delay_alu instid0(VALU_DEP_3) | instskip(NEXT) | instid1(VALU_DEP_1)
	v_div_fixup_f32 v1, v1, v6, 1.0
	v_mul_f32_e32 v0, v4, v1
	s_delay_alu instid0(VALU_DEP_3)
	v_mul_f32_e32 v1, v2, v1
.LBB162_136:                            ;   in Loop: Header=BB162_118 Depth=2
	s_add_co_i32 s34, s21, 4
	s_add_co_i32 s21, s21, 7
	s_addk_co_i32 s20, 0x300
	s_wait_alu 0xfffe
	s_cmp_ge_i32 s21, s24
	ds_store_b64 v19, v[0:1] offset:576
	s_cbranch_scc1 .LBB162_138
; %bb.137:                              ;   in Loop: Header=BB162_118 Depth=2
	s_mov_b32 s21, s34
	s_branch .LBB162_118
.LBB162_138:                            ;   in Loop: Header=BB162_3 Depth=1
	s_cmp_ge_i32 s34, s24
	s_cbranch_scc1 .LBB162_147
; %bb.139:                              ;   in Loop: Header=BB162_3 Depth=1
	s_mul_i32 s20, s34, 0xc0
	s_branch .LBB162_141
.LBB162_140:                            ;   in Loop: Header=BB162_141 Depth=2
	s_add_co_i32 s34, s34, 1
	s_addk_co_i32 s20, 0xc0
	s_wait_alu 0xfffe
	s_cmp_ge_i32 s34, s24
	ds_store_b64 v0, v[5:6]
	s_cbranch_scc1 .LBB162_147
.LBB162_141:                            ;   Parent Loop BB162_3 Depth=1
                                        ; =>  This Loop Header: Depth=2
                                        ;       Child Loop BB162_142 Depth 3
	v_mad_co_u64_u32 v[0:1], null, 0xc0, s34, v[14:15]
	v_mov_b32_e32 v3, v14
	s_cmp_eq_u32 s34, 0
	s_wait_alu 0xfffe
	s_mov_b32 s21, s20
	s_mov_b32 s35, s34
	ds_load_b64 v[1:2], v0
	s_cbranch_scc1 .LBB162_143
.LBB162_142:                            ;   Parent Loop BB162_3 Depth=1
                                        ;     Parent Loop BB162_141 Depth=2
                                        ; =>    This Inner Loop Header: Depth=3
	s_wait_alu 0xfffe
	v_mov_b32_e32 v6, s21
	s_add_co_i32 s35, s35, -1
	s_add_co_i32 s21, s21, 8
	s_wait_alu 0xfffe
	s_cmp_eq_u32 s35, 0
	ds_load_b64 v[4:5], v3
	ds_load_b64 v[6:7], v6
	s_wait_dscnt 0x0
	v_dual_mul_f32 v8, v7, v5 :: v_dual_add_nc_u32 v3, 0xc0, v3
	v_mul_f32_e32 v5, v6, v5
	s_delay_alu instid0(VALU_DEP_2) | instskip(NEXT) | instid1(VALU_DEP_2)
	v_fma_f32 v6, v6, v4, -v8
	v_fmac_f32_e32 v5, v7, v4
	s_delay_alu instid0(VALU_DEP_1)
	v_dual_sub_f32 v1, v1, v6 :: v_dual_sub_f32 v2, v2, v5
	s_cbranch_scc0 .LBB162_142
.LBB162_143:                            ;   in Loop: Header=BB162_141 Depth=2
	s_mul_i32 s21, s34, 0xc8
	s_wait_alu 0xfffe
	v_mov_b32_e32 v3, s21
	s_mov_b32 s21, -1
	ds_load_b64 v[3:4], v3
	s_wait_dscnt 0x0
	v_and_b32_e32 v5, 0x7fffffff, v3
	v_and_b32_e32 v6, 0x7fffffff, v4
	s_delay_alu instid0(VALU_DEP_1)
	v_cmp_ngt_f32_e32 vcc_lo, v5, v6
                                        ; implicit-def: $vgpr5
	s_cbranch_vccz .LBB162_145
; %bb.144:                              ;   in Loop: Header=BB162_141 Depth=2
	v_div_scale_f32 v5, null, v4, v4, v3
	v_div_scale_f32 v8, vcc_lo, v3, v4, v3
	s_mov_b32 s21, 0
	v_rcp_f32_e32 v6, v5
	v_xor_b32_e32 v5, 0x80000000, v5
	s_delay_alu instid0(TRANS32_DEP_1) | instid1(VALU_DEP_1)
	v_fma_f32 v7, v5, v6, 1.0
	s_delay_alu instid0(VALU_DEP_1) | instskip(NEXT) | instid1(VALU_DEP_1)
	v_fmac_f32_e32 v6, v7, v6
	v_mul_f32_e32 v7, v8, v6
	s_delay_alu instid0(VALU_DEP_1) | instskip(NEXT) | instid1(VALU_DEP_1)
	v_fma_f32 v9, v5, v7, v8
	v_fmac_f32_e32 v7, v9, v6
	s_delay_alu instid0(VALU_DEP_1) | instskip(SKIP_1) | instid1(VALU_DEP_1)
	v_fmac_f32_e32 v8, v5, v7
	s_wait_alu 0xfffd
	v_div_fmas_f32 v5, v8, v6, v7
	s_delay_alu instid0(VALU_DEP_1) | instskip(NEXT) | instid1(VALU_DEP_1)
	v_div_fixup_f32 v5, v5, v4, v3
	v_fma_f32 v6, v3, v5, v4
	s_delay_alu instid0(VALU_DEP_1) | instskip(SKIP_1) | instid1(VALU_DEP_2)
	v_div_scale_f32 v7, null, v6, v6, 1.0
	v_div_scale_f32 v10, vcc_lo, 1.0, v6, 1.0
	v_rcp_f32_e32 v8, v7
	v_xor_b32_e32 v7, 0x80000000, v7
	s_delay_alu instid0(TRANS32_DEP_1) | instid1(VALU_DEP_1)
	v_fma_f32 v9, v7, v8, 1.0
	s_delay_alu instid0(VALU_DEP_1) | instskip(NEXT) | instid1(VALU_DEP_1)
	v_fmac_f32_e32 v8, v9, v8
	v_mul_f32_e32 v9, v10, v8
	s_delay_alu instid0(VALU_DEP_1) | instskip(NEXT) | instid1(VALU_DEP_1)
	v_fma_f32 v11, v7, v9, v10
	v_fmac_f32_e32 v9, v11, v8
	s_delay_alu instid0(VALU_DEP_1) | instskip(SKIP_1) | instid1(VALU_DEP_1)
	v_fmac_f32_e32 v10, v7, v9
	s_wait_alu 0xfffd
	v_div_fmas_f32 v7, v10, v8, v9
	v_fma_f32 v8, v1, v5, v2
	s_delay_alu instid0(VALU_DEP_2) | instskip(SKIP_1) | instid1(VALU_DEP_2)
	v_div_fixup_f32 v6, v7, v6, 1.0
	v_fma_f32 v7, v2, v5, -v1
	v_mul_f32_e32 v5, v8, v6
	s_delay_alu instid0(VALU_DEP_2)
	v_mul_f32_e32 v6, v7, v6
.LBB162_145:                            ;   in Loop: Header=BB162_141 Depth=2
	s_wait_alu 0xfffe
	s_and_not1_b32 vcc_lo, exec_lo, s21
	s_wait_alu 0xfffe
	s_cbranch_vccnz .LBB162_140
; %bb.146:                              ;   in Loop: Header=BB162_141 Depth=2
	v_div_scale_f32 v5, null, v3, v3, v4
	v_div_scale_f32 v8, vcc_lo, v4, v3, v4
	s_delay_alu instid0(VALU_DEP_2)
	v_rcp_f32_e32 v6, v5
	v_xor_b32_e32 v5, 0x80000000, v5
	s_delay_alu instid0(TRANS32_DEP_1) | instid1(VALU_DEP_1)
	v_fma_f32 v7, v5, v6, 1.0
	s_delay_alu instid0(VALU_DEP_1) | instskip(NEXT) | instid1(VALU_DEP_1)
	v_fmac_f32_e32 v6, v7, v6
	v_mul_f32_e32 v7, v8, v6
	s_delay_alu instid0(VALU_DEP_1) | instskip(NEXT) | instid1(VALU_DEP_1)
	v_fma_f32 v9, v5, v7, v8
	v_fmac_f32_e32 v7, v9, v6
	s_delay_alu instid0(VALU_DEP_1) | instskip(SKIP_1) | instid1(VALU_DEP_1)
	v_fmac_f32_e32 v8, v5, v7
	s_wait_alu 0xfffd
	v_div_fmas_f32 v5, v8, v6, v7
	s_delay_alu instid0(VALU_DEP_1) | instskip(NEXT) | instid1(VALU_DEP_1)
	v_div_fixup_f32 v5, v5, v3, v4
	v_fmac_f32_e32 v3, v4, v5
	s_delay_alu instid0(VALU_DEP_1) | instskip(SKIP_1) | instid1(VALU_DEP_2)
	v_div_scale_f32 v4, null, v3, v3, 1.0
	v_div_scale_f32 v8, vcc_lo, 1.0, v3, 1.0
	v_rcp_f32_e32 v6, v4
	v_xor_b32_e32 v4, 0x80000000, v4
	s_delay_alu instid0(TRANS32_DEP_1) | instid1(VALU_DEP_1)
	v_fma_f32 v7, v4, v6, 1.0
	s_delay_alu instid0(VALU_DEP_1) | instskip(NEXT) | instid1(VALU_DEP_1)
	v_fmac_f32_e32 v6, v7, v6
	v_mul_f32_e32 v7, v8, v6
	s_delay_alu instid0(VALU_DEP_1) | instskip(NEXT) | instid1(VALU_DEP_1)
	v_fma_f32 v9, v4, v7, v8
	v_fmac_f32_e32 v7, v9, v6
	s_delay_alu instid0(VALU_DEP_1) | instskip(SKIP_1) | instid1(VALU_DEP_1)
	v_fmac_f32_e32 v8, v4, v7
	s_wait_alu 0xfffd
	v_div_fmas_f32 v4, v8, v6, v7
	v_fma_f32 v6, v2, v5, v1
	v_fma_f32 v1, -v1, v5, v2
	s_delay_alu instid0(VALU_DEP_3) | instskip(NEXT) | instid1(VALU_DEP_1)
	v_div_fixup_f32 v3, v4, v3, 1.0
	v_mul_f32_e32 v5, v6, v3
	s_delay_alu instid0(VALU_DEP_3)
	v_mul_f32_e32 v6, v1, v3
	s_branch .LBB162_140
.LBB162_147:                            ;   in Loop: Header=BB162_3 Depth=1
	s_and_saveexec_b32 s20, s23
	s_cbranch_execz .LBB162_2
; %bb.148:                              ;   in Loop: Header=BB162_3 Depth=1
	v_add_co_u32 v0, vcc_lo, v15, s6
	s_wait_alu 0xfffd
	v_add_co_ci_u32_e64 v1, null, s7, v16, vcc_lo
	v_mov_b32_e32 v2, v14
	s_delay_alu instid0(VALU_DEP_3) | instskip(SKIP_1) | instid1(VALU_DEP_3)
	v_add_co_u32 v0, vcc_lo, v0, s12
	s_wait_alu 0xfffd
	v_add_co_ci_u32_e64 v1, null, s13, v1, vcc_lo
	s_mov_b32 s21, s16
	v_add_co_u32 v0, vcc_lo, v0, v29
	s_wait_alu 0xfffd
	v_add_co_ci_u32_e64 v1, null, 0, v1, vcc_lo
.LBB162_149:                            ;   Parent Loop BB162_3 Depth=1
                                        ; =>  This Inner Loop Header: Depth=2
	ds_load_b64 v[3:4], v2
	v_add_nc_u32_e32 v2, 0xc0, v2
	s_wait_alu 0xfffe
	s_add_co_i32 s21, s21, -1
	s_wait_alu 0xfffe
	s_cmp_lg_u32 s21, 0
	s_wait_dscnt 0x0
	flat_store_b64 v[0:1], v[3:4]
	v_add_co_u32 v0, vcc_lo, v0, s14
	s_wait_alu 0xfffd
	v_add_co_ci_u32_e64 v1, null, s15, v1, vcc_lo
	s_cbranch_scc1 .LBB162_149
	s_branch .LBB162_2
.LBB162_150:
	s_endpgm
	.section	.rodata,"a",@progbits
	.p2align	6, 0x0
	.amdhsa_kernel _ZL31rocblas_trsm_small_right_deviceI19rocblas_complex_numIfES1_PKPKS1_PKPS1_Li24EEv13rocblas_fill_18rocblas_operation_17rocblas_diagonal_iiT0_T1_lilT2_lili
		.amdhsa_group_segment_fixed_size 9216
		.amdhsa_private_segment_fixed_size 0
		.amdhsa_kernarg_size 360
		.amdhsa_user_sgpr_count 2
		.amdhsa_user_sgpr_dispatch_ptr 0
		.amdhsa_user_sgpr_queue_ptr 0
		.amdhsa_user_sgpr_kernarg_segment_ptr 1
		.amdhsa_user_sgpr_dispatch_id 0
		.amdhsa_user_sgpr_private_segment_size 0
		.amdhsa_wavefront_size32 1
		.amdhsa_uses_dynamic_stack 0
		.amdhsa_enable_private_segment 0
		.amdhsa_system_sgpr_workgroup_id_x 1
		.amdhsa_system_sgpr_workgroup_id_y 0
		.amdhsa_system_sgpr_workgroup_id_z 1
		.amdhsa_system_sgpr_workgroup_info 0
		.amdhsa_system_vgpr_workitem_id 0
		.amdhsa_next_free_vgpr 241
		.amdhsa_next_free_sgpr 40
		.amdhsa_reserve_vcc 1
		.amdhsa_float_round_mode_32 0
		.amdhsa_float_round_mode_16_64 0
		.amdhsa_float_denorm_mode_32 3
		.amdhsa_float_denorm_mode_16_64 3
		.amdhsa_fp16_overflow 0
		.amdhsa_workgroup_processor_mode 1
		.amdhsa_memory_ordered 1
		.amdhsa_forward_progress 1
		.amdhsa_inst_pref_size 123
		.amdhsa_round_robin_scheduling 0
		.amdhsa_exception_fp_ieee_invalid_op 0
		.amdhsa_exception_fp_denorm_src 0
		.amdhsa_exception_fp_ieee_div_zero 0
		.amdhsa_exception_fp_ieee_overflow 0
		.amdhsa_exception_fp_ieee_underflow 0
		.amdhsa_exception_fp_ieee_inexact 0
		.amdhsa_exception_int_div_zero 0
	.end_amdhsa_kernel
	.section	.text._ZL31rocblas_trsm_small_right_deviceI19rocblas_complex_numIfES1_PKPKS1_PKPS1_Li24EEv13rocblas_fill_18rocblas_operation_17rocblas_diagonal_iiT0_T1_lilT2_lili,"axG",@progbits,_ZL31rocblas_trsm_small_right_deviceI19rocblas_complex_numIfES1_PKPKS1_PKPS1_Li24EEv13rocblas_fill_18rocblas_operation_17rocblas_diagonal_iiT0_T1_lilT2_lili,comdat
.Lfunc_end162:
	.size	_ZL31rocblas_trsm_small_right_deviceI19rocblas_complex_numIfES1_PKPKS1_PKPS1_Li24EEv13rocblas_fill_18rocblas_operation_17rocblas_diagonal_iiT0_T1_lilT2_lili, .Lfunc_end162-_ZL31rocblas_trsm_small_right_deviceI19rocblas_complex_numIfES1_PKPKS1_PKPS1_Li24EEv13rocblas_fill_18rocblas_operation_17rocblas_diagonal_iiT0_T1_lilT2_lili
                                        ; -- End function
	.set _ZL31rocblas_trsm_small_right_deviceI19rocblas_complex_numIfES1_PKPKS1_PKPS1_Li24EEv13rocblas_fill_18rocblas_operation_17rocblas_diagonal_iiT0_T1_lilT2_lili.num_vgpr, 42
	.set _ZL31rocblas_trsm_small_right_deviceI19rocblas_complex_numIfES1_PKPKS1_PKPS1_Li24EEv13rocblas_fill_18rocblas_operation_17rocblas_diagonal_iiT0_T1_lilT2_lili.num_agpr, 0
	.set _ZL31rocblas_trsm_small_right_deviceI19rocblas_complex_numIfES1_PKPKS1_PKPS1_Li24EEv13rocblas_fill_18rocblas_operation_17rocblas_diagonal_iiT0_T1_lilT2_lili.numbered_sgpr, 40
	.set _ZL31rocblas_trsm_small_right_deviceI19rocblas_complex_numIfES1_PKPKS1_PKPS1_Li24EEv13rocblas_fill_18rocblas_operation_17rocblas_diagonal_iiT0_T1_lilT2_lili.num_named_barrier, 0
	.set _ZL31rocblas_trsm_small_right_deviceI19rocblas_complex_numIfES1_PKPKS1_PKPS1_Li24EEv13rocblas_fill_18rocblas_operation_17rocblas_diagonal_iiT0_T1_lilT2_lili.private_seg_size, 0
	.set _ZL31rocblas_trsm_small_right_deviceI19rocblas_complex_numIfES1_PKPKS1_PKPS1_Li24EEv13rocblas_fill_18rocblas_operation_17rocblas_diagonal_iiT0_T1_lilT2_lili.uses_vcc, 1
	.set _ZL31rocblas_trsm_small_right_deviceI19rocblas_complex_numIfES1_PKPKS1_PKPS1_Li24EEv13rocblas_fill_18rocblas_operation_17rocblas_diagonal_iiT0_T1_lilT2_lili.uses_flat_scratch, 0
	.set _ZL31rocblas_trsm_small_right_deviceI19rocblas_complex_numIfES1_PKPKS1_PKPS1_Li24EEv13rocblas_fill_18rocblas_operation_17rocblas_diagonal_iiT0_T1_lilT2_lili.has_dyn_sized_stack, 0
	.set _ZL31rocblas_trsm_small_right_deviceI19rocblas_complex_numIfES1_PKPKS1_PKPS1_Li24EEv13rocblas_fill_18rocblas_operation_17rocblas_diagonal_iiT0_T1_lilT2_lili.has_recursion, 0
	.set _ZL31rocblas_trsm_small_right_deviceI19rocblas_complex_numIfES1_PKPKS1_PKPS1_Li24EEv13rocblas_fill_18rocblas_operation_17rocblas_diagonal_iiT0_T1_lilT2_lili.has_indirect_call, 0
	.section	.AMDGPU.csdata,"",@progbits
; Kernel info:
; codeLenInByte = 15732
; TotalNumSgprs: 42
; NumVgprs: 42
; ScratchSize: 0
; MemoryBound: 0
; FloatMode: 240
; IeeeMode: 1
; LDSByteSize: 9216 bytes/workgroup (compile time only)
; SGPRBlocks: 0
; VGPRBlocks: 30
; NumSGPRsForWavesPerEU: 42
; NumVGPRsForWavesPerEU: 241
; Occupancy: 4
; WaveLimiterHint : 0
; COMPUTE_PGM_RSRC2:SCRATCH_EN: 0
; COMPUTE_PGM_RSRC2:USER_SGPR: 2
; COMPUTE_PGM_RSRC2:TRAP_HANDLER: 0
; COMPUTE_PGM_RSRC2:TGID_X_EN: 1
; COMPUTE_PGM_RSRC2:TGID_Y_EN: 0
; COMPUTE_PGM_RSRC2:TGID_Z_EN: 1
; COMPUTE_PGM_RSRC2:TIDIG_COMP_CNT: 0
	.section	.text._ZL38rocblas_trsm_small_left_device_sharedBILi28ELi28ELb0E19rocblas_complex_numIfES1_PKPKS1_PKPS1_Ev13rocblas_fill_18rocblas_operation_17rocblas_diagonal_iiT3_T4_lilT5_lili,"axG",@progbits,_ZL38rocblas_trsm_small_left_device_sharedBILi28ELi28ELb0E19rocblas_complex_numIfES1_PKPKS1_PKPS1_Ev13rocblas_fill_18rocblas_operation_17rocblas_diagonal_iiT3_T4_lilT5_lili,comdat
	.globl	_ZL38rocblas_trsm_small_left_device_sharedBILi28ELi28ELb0E19rocblas_complex_numIfES1_PKPKS1_PKPS1_Ev13rocblas_fill_18rocblas_operation_17rocblas_diagonal_iiT3_T4_lilT5_lili ; -- Begin function _ZL38rocblas_trsm_small_left_device_sharedBILi28ELi28ELb0E19rocblas_complex_numIfES1_PKPKS1_PKPS1_Ev13rocblas_fill_18rocblas_operation_17rocblas_diagonal_iiT3_T4_lilT5_lili
	.p2align	8
	.type	_ZL38rocblas_trsm_small_left_device_sharedBILi28ELi28ELb0E19rocblas_complex_numIfES1_PKPKS1_PKPS1_Ev13rocblas_fill_18rocblas_operation_17rocblas_diagonal_iiT3_T4_lilT5_lili,@function
_ZL38rocblas_trsm_small_left_device_sharedBILi28ELi28ELb0E19rocblas_complex_numIfES1_PKPKS1_PKPS1_Ev13rocblas_fill_18rocblas_operation_17rocblas_diagonal_iiT3_T4_lilT5_lili: ; @_ZL38rocblas_trsm_small_left_device_sharedBILi28ELi28ELb0E19rocblas_complex_numIfES1_PKPKS1_PKPS1_Ev13rocblas_fill_18rocblas_operation_17rocblas_diagonal_iiT3_T4_lilT5_lili
; %bb.0:
	s_load_b32 s22, s[0:1], 0x60
	s_lshr_b32 s2, ttmp7, 16
	s_wait_kmcnt 0x0
	s_cmp_ge_u32 s2, s22
	s_cbranch_scc1 .LBB163_66
; %bb.1:
	s_clause 0x6
	s_load_b32 s20, s[0:1], 0x30
	s_load_b32 s28, s[0:1], 0x50
	s_load_b128 s[12:15], s[0:1], 0x4
	s_load_b32 s3, s[0:1], 0x68
	s_load_b128 s[4:7], s[0:1], 0x20
	s_load_b128 s[8:11], s[0:1], 0x40
	s_load_b64 s[16:17], s[0:1], 0x14
	s_mul_i32 s0, ttmp9, 0xffffffe4
	s_mul_i32 s30, ttmp9, 28
	v_lshlrev_b32_e32 v12, 3, v0
	v_mul_u32_u24_e32 v2, 0xe0, v0
	s_mov_b32 s19, 0
	s_wait_kmcnt 0x0
	s_ashr_i32 s21, s20, 31
	s_ashr_i32 s29, s28, 31
	s_cmp_lg_u32 s12, 0x71
	v_mad_co_i64_i32 v[4:5], null, s28, v0, 0
	s_cselect_b32 s1, -1, 0
	s_min_i32 s23, s14, 28
	s_add_co_i32 s3, s3, -1
	s_add_co_i32 s0, s15, s0
	s_add_co_i32 s24, s23, -1
	s_cmp_ge_u32 ttmp9, s3
	v_lshlrev_b64_e32 v[4:5], 3, v[4:5]
	s_cselect_b32 s3, s0, 28
	s_ashr_i32 s31, s30, 31
	s_cmp_lg_u32 s13, 0x84
	v_cmp_gt_i32_e64 s0, s23, v0
	s_cselect_b32 s25, -1, 0
	s_cmp_gt_i32 s14, 0
	v_cmp_gt_i32_e32 vcc_lo, s3, v0
	s_cselect_b32 s18, -1, 0
	s_cmp_lg_u32 s12, 0x6f
	s_mul_u64 s[14:15], s[28:29], s[30:31]
	s_cselect_b32 s26, -1, 0
	s_lshl_b64 s[12:13], s[30:31], 3
	s_and_b32 s27, vcc_lo, s18
	v_add_co_u32 v0, s3, s12, v12
	s_wait_alu 0xf1ff
	v_add_co_ci_u32_e64 v3, null, s13, 0, s3
	s_lshl_b64 s[12:13], s[6:7], 3
	s_lshl_b64 s[6:7], s[10:11], 3
	v_mul_lo_u32 v8, v0, s29
	v_mul_lo_u32 v9, v3, s28
	v_mad_co_u64_u32 v[6:7], null, v0, s28, s[6:7]
	v_mov_b32_e32 v3, 0
	s_wait_alu 0xfffe
	v_add_co_u32 v10, s3, s12, v12
	v_add_nc_u32_e32 v1, 0x1880, v12
	s_wait_alu 0xf1ff
	v_add_co_ci_u32_e64 v0, null, s13, 0, s3
	s_delay_alu instid0(VALU_DEP_3)
	v_or_b32_e32 v13, 4, v10
	v_add3_u32 v14, v9, v7, v8
	v_or_b32_e32 v15, 4, v6
	v_add_nc_u32_e32 v16, v12, v2
	v_mov_b32_e32 v2, 1.0
	s_mul_i32 s3, s23, 0xe0
	s_or_b32 s28, 0, 4
	s_lshl_b64 s[10:11], s[20:21], 3
	s_wait_alu 0xfffe
	s_add_co_i32 s20, s3, 0xffffff20
	s_lshl_b64 s[12:13], s[14:15], 3
	s_branch .LBB163_3
.LBB163_2:                              ;   in Loop: Header=BB163_3 Depth=1
	s_wait_alu 0xfffe
	s_or_b32 exec_lo, exec_lo, s3
	s_add_co_i32 s2, s2, 0x10000
	s_wait_alu 0xfffe
	s_cmp_lt_u32 s2, s22
	s_cbranch_scc0 .LBB163_66
.LBB163_3:                              ; =>This Loop Header: Depth=1
                                        ;     Child Loop BB163_6 Depth 2
                                        ;     Child Loop BB163_20 Depth 2
	;; [unrolled: 1-line block ×3, first 2 shown]
                                        ;       Child Loop BB163_27 Depth 3
                                        ;         Child Loop BB163_28 Depth 4
                                        ;         Child Loop BB163_31 Depth 4
                                        ;           Child Loop BB163_32 Depth 5
                                        ;         Child Loop BB163_36 Depth 4
                                        ;           Child Loop BB163_38 Depth 5
                                        ;     Child Loop BB163_46 Depth 2
                                        ;       Child Loop BB163_49 Depth 3
                                        ;         Child Loop BB163_50 Depth 4
                                        ;         Child Loop BB163_52 Depth 4
                                        ;           Child Loop BB163_53 Depth 5
                                        ;         Child Loop BB163_57 Depth 4
                                        ;           Child Loop BB163_59 Depth 5
                                        ;     Child Loop BB163_65 Depth 2
	s_mov_b32 s3, s19
	s_wait_alu 0xfffe
	s_lshl_b64 s[14:15], s[2:3], 3
	s_delay_alu instid0(SALU_CYCLE_1)
	s_add_nc_u64 s[30:31], s[8:9], s[14:15]
	global_load_b64 v[6:7], v3, s[30:31]
	s_and_saveexec_b32 s3, s0
	s_cbranch_execz .LBB163_18
; %bb.4:                                ;   in Loop: Header=BB163_3 Depth=1
	s_add_nc_u64 s[14:15], s[4:5], s[14:15]
	v_mov_b32_e32 v17, v12
	global_load_b64 v[8:9], v3, s[14:15]
	s_mov_b32 s14, s23
	s_wait_loadcnt 0x0
	v_add_co_u32 v8, vcc_lo, v8, v13
	s_wait_alu 0xfffd
	v_add_co_ci_u32_e64 v9, null, v9, v0, vcc_lo
	s_branch .LBB163_6
.LBB163_5:                              ;   in Loop: Header=BB163_6 Depth=2
	flat_load_b32 v10, v[8:9] offset:-4
	v_add_co_u32 v8, vcc_lo, v8, s10
	s_wait_alu 0xfffd
	v_add_co_ci_u32_e64 v9, null, s11, v9, vcc_lo
	s_add_co_i32 s14, s14, -1
	s_delay_alu instid0(SALU_CYCLE_1)
	s_cmp_eq_u32 s14, 0
	s_wait_loadcnt_dscnt 0x0
	ds_store_b64 v17, v[10:11]
	v_add_nc_u32_e32 v17, 0xe0, v17
	s_cbranch_scc1 .LBB163_10
.LBB163_6:                              ;   Parent Loop BB163_3 Depth=1
                                        ; =>  This Inner Loop Header: Depth=2
	s_and_b32 vcc_lo, exec_lo, s1
	s_mov_b32 s15, -1
                                        ; implicit-def: $vgpr11
	s_wait_alu 0xfffe
	s_cbranch_vccz .LBB163_8
; %bb.7:                                ;   in Loop: Header=BB163_6 Depth=2
	flat_load_b32 v11, v[8:9]
	s_mov_b32 s15, 0
.LBB163_8:                              ;   in Loop: Header=BB163_6 Depth=2
	s_delay_alu instid0(SALU_CYCLE_1)
	s_and_not1_b32 vcc_lo, exec_lo, s15
	s_wait_alu 0xfffe
	s_cbranch_vccnz .LBB163_5
; %bb.9:                                ;   in Loop: Header=BB163_6 Depth=2
	flat_load_b32 v10, v[8:9]
	s_wait_loadcnt_dscnt 0x0
	v_xor_b32_e32 v11, 0x80000000, v10
	s_branch .LBB163_5
.LBB163_10:                             ;   in Loop: Header=BB163_3 Depth=1
	s_and_b32 vcc_lo, exec_lo, s25
	s_mov_b32 s14, -1
	s_wait_alu 0xfffe
	s_cbranch_vccz .LBB163_16
; %bb.11:                               ;   in Loop: Header=BB163_3 Depth=1
	ds_load_b64 v[8:9], v16
                                        ; implicit-def: $vgpr10
	s_wait_dscnt 0x0
	v_cmp_ngt_f32_e64 s14, |v8|, |v9|
	s_and_saveexec_b32 s15, s14
	s_delay_alu instid0(SALU_CYCLE_1)
	s_xor_b32 s14, exec_lo, s15
	s_cbranch_execz .LBB163_13
; %bb.12:                               ;   in Loop: Header=BB163_3 Depth=1
	v_div_scale_f32 v10, null, v9, v9, v8
	v_div_scale_f32 v18, vcc_lo, v8, v9, v8
	s_delay_alu instid0(VALU_DEP_2) | instskip(NEXT) | instid1(TRANS32_DEP_1)
	v_rcp_f32_e32 v11, v10
	v_fma_f32 v17, -v10, v11, 1.0
	s_delay_alu instid0(VALU_DEP_1) | instskip(NEXT) | instid1(VALU_DEP_1)
	v_fmac_f32_e32 v11, v17, v11
	v_mul_f32_e32 v17, v18, v11
	s_delay_alu instid0(VALU_DEP_1) | instskip(NEXT) | instid1(VALU_DEP_1)
	v_fma_f32 v19, -v10, v17, v18
	v_fmac_f32_e32 v17, v19, v11
	s_delay_alu instid0(VALU_DEP_1) | instskip(SKIP_1) | instid1(VALU_DEP_1)
	v_fma_f32 v10, -v10, v17, v18
	s_wait_alu 0xfffd
	v_div_fmas_f32 v10, v10, v11, v17
	s_delay_alu instid0(VALU_DEP_1) | instskip(NEXT) | instid1(VALU_DEP_1)
	v_div_fixup_f32 v10, v10, v9, v8
	v_fmac_f32_e32 v9, v8, v10
	s_delay_alu instid0(VALU_DEP_1) | instskip(SKIP_1) | instid1(VALU_DEP_2)
	v_div_scale_f32 v8, null, v9, v9, 1.0
	v_div_scale_f32 v18, vcc_lo, 1.0, v9, 1.0
	v_rcp_f32_e32 v11, v8
	s_delay_alu instid0(TRANS32_DEP_1) | instskip(NEXT) | instid1(VALU_DEP_1)
	v_fma_f32 v17, -v8, v11, 1.0
	v_fmac_f32_e32 v11, v17, v11
	s_delay_alu instid0(VALU_DEP_1) | instskip(NEXT) | instid1(VALU_DEP_1)
	v_mul_f32_e32 v17, v18, v11
	v_fma_f32 v19, -v8, v17, v18
	s_delay_alu instid0(VALU_DEP_1) | instskip(NEXT) | instid1(VALU_DEP_1)
	v_fmac_f32_e32 v17, v19, v11
	v_fma_f32 v8, -v8, v17, v18
	s_wait_alu 0xfffd
	s_delay_alu instid0(VALU_DEP_1) | instskip(SKIP_1) | instid1(VALU_DEP_2)
	v_div_fmas_f32 v8, v8, v11, v17
	v_add_f32_e32 v11, 0, v10
	v_div_fixup_f32 v8, v8, v9, 1.0
	v_fma_f32 v9, v10, 0, -1.0
	s_delay_alu instid0(VALU_DEP_2) | instskip(NEXT) | instid1(VALU_DEP_2)
	v_mul_f32_e32 v10, v11, v8
	v_mul_f32_e32 v11, v9, v8
                                        ; implicit-def: $vgpr8_vgpr9
.LBB163_13:                             ;   in Loop: Header=BB163_3 Depth=1
	s_and_not1_saveexec_b32 s14, s14
	s_cbranch_execz .LBB163_15
; %bb.14:                               ;   in Loop: Header=BB163_3 Depth=1
	v_div_scale_f32 v10, null, v8, v8, v9
	v_div_scale_f32 v18, vcc_lo, v9, v8, v9
	s_delay_alu instid0(VALU_DEP_2) | instskip(NEXT) | instid1(TRANS32_DEP_1)
	v_rcp_f32_e32 v11, v10
	v_fma_f32 v17, -v10, v11, 1.0
	s_delay_alu instid0(VALU_DEP_1) | instskip(NEXT) | instid1(VALU_DEP_1)
	v_fmac_f32_e32 v11, v17, v11
	v_mul_f32_e32 v17, v18, v11
	s_delay_alu instid0(VALU_DEP_1) | instskip(NEXT) | instid1(VALU_DEP_1)
	v_fma_f32 v19, -v10, v17, v18
	v_fmac_f32_e32 v17, v19, v11
	s_delay_alu instid0(VALU_DEP_1) | instskip(SKIP_1) | instid1(VALU_DEP_1)
	v_fma_f32 v10, -v10, v17, v18
	s_wait_alu 0xfffd
	v_div_fmas_f32 v10, v10, v11, v17
	s_delay_alu instid0(VALU_DEP_1) | instskip(NEXT) | instid1(VALU_DEP_1)
	v_div_fixup_f32 v11, v10, v8, v9
	v_fmac_f32_e32 v8, v9, v11
	s_delay_alu instid0(VALU_DEP_1) | instskip(SKIP_1) | instid1(VALU_DEP_2)
	v_div_scale_f32 v9, null, v8, v8, 1.0
	v_div_scale_f32 v18, vcc_lo, 1.0, v8, 1.0
	v_rcp_f32_e32 v10, v9
	s_delay_alu instid0(TRANS32_DEP_1) | instskip(NEXT) | instid1(VALU_DEP_1)
	v_fma_f32 v17, -v9, v10, 1.0
	v_fmac_f32_e32 v10, v17, v10
	s_delay_alu instid0(VALU_DEP_1) | instskip(NEXT) | instid1(VALU_DEP_1)
	v_mul_f32_e32 v17, v18, v10
	v_fma_f32 v19, -v9, v17, v18
	s_delay_alu instid0(VALU_DEP_1) | instskip(NEXT) | instid1(VALU_DEP_1)
	v_fmac_f32_e32 v17, v19, v10
	v_fma_f32 v9, -v9, v17, v18
	s_wait_alu 0xfffd
	s_delay_alu instid0(VALU_DEP_1) | instskip(SKIP_1) | instid1(VALU_DEP_2)
	v_div_fmas_f32 v9, v9, v10, v17
	v_fma_f32 v10, v11, 0, 1.0
	v_div_fixup_f32 v8, v9, v8, 1.0
	s_delay_alu instid0(VALU_DEP_1)
	v_mul_f32_e32 v10, v10, v8
	v_mul_f32_e64 v11, -v11, v8
.LBB163_15:                             ;   in Loop: Header=BB163_3 Depth=1
	s_or_b32 exec_lo, exec_lo, s14
	s_mov_b32 s14, 0
	ds_store_b64 v16, v[10:11]
.LBB163_16:                             ;   in Loop: Header=BB163_3 Depth=1
	s_and_b32 vcc_lo, exec_lo, s14
	s_wait_alu 0xfffe
	s_cbranch_vccz .LBB163_18
; %bb.17:                               ;   in Loop: Header=BB163_3 Depth=1
	ds_store_b64 v16, v[2:3]
.LBB163_18:                             ;   in Loop: Header=BB163_3 Depth=1
	s_wait_alu 0xfffe
	s_or_b32 exec_lo, exec_lo, s3
	s_and_saveexec_b32 s3, s27
	s_cbranch_execz .LBB163_21
; %bb.19:                               ;   in Loop: Header=BB163_3 Depth=1
	s_wait_loadcnt 0x0
	v_add_co_u32 v8, vcc_lo, v6, v15
	s_wait_alu 0xfffd
	v_add_co_ci_u32_e64 v9, null, v7, v14, vcc_lo
	v_mov_b32_e32 v10, v1
	s_mov_b32 s14, s23
.LBB163_20:                             ;   Parent Loop BB163_3 Depth=1
                                        ; =>  This Inner Loop Header: Depth=2
	flat_load_b64 v[17:18], v[8:9] offset:-4
	v_add_co_u32 v8, vcc_lo, v8, 8
	s_wait_alu 0xfffd
	v_add_co_ci_u32_e64 v9, null, 0, v9, vcc_lo
	s_add_co_i32 s14, s14, -1
	s_delay_alu instid0(SALU_CYCLE_1) | instskip(SKIP_3) | instid1(VALU_DEP_2)
	s_cmp_lg_u32 s14, 0
	s_wait_loadcnt_dscnt 0x0
	v_mul_f32_e32 v11, s17, v18
	v_mul_f32_e32 v19, s16, v18
	v_fma_f32 v18, s16, v17, -v11
	s_delay_alu instid0(VALU_DEP_2)
	v_fmac_f32_e32 v19, s17, v17
	ds_store_b64 v10, v[18:19]
	v_add_nc_u32_e32 v10, 0xe0, v10
	s_cbranch_scc1 .LBB163_20
.LBB163_21:                             ;   in Loop: Header=BB163_3 Depth=1
	s_wait_alu 0xfffe
	s_or_b32 exec_lo, exec_lo, s3
	s_delay_alu instid0(SALU_CYCLE_1)
	s_and_not1_b32 vcc_lo, exec_lo, s26
	s_mov_b32 s3, -1
	; wave barrier
	s_wait_loadcnt_dscnt 0x0
	global_inv scope:SCOPE_SE
	s_wait_alu 0xfffe
	s_cbranch_vccnz .LBB163_43
; %bb.22:                               ;   in Loop: Header=BB163_3 Depth=1
	s_mov_b32 s18, 0
	s_delay_alu instid0(SALU_CYCLE_1)
	s_mov_b32 s3, s18
	s_branch .LBB163_24
.LBB163_23:                             ;   in Loop: Header=BB163_24 Depth=2
	s_cmp_lt_i32 s3, s23
	s_cselect_b32 s14, -1, 0
	s_add_co_i32 s15, s18, 1
	s_cmp_lt_u32 s18, 2
	s_cselect_b32 s18, -1, 0
	s_delay_alu instid0(SALU_CYCLE_1)
	s_and_b32 s14, s14, s18
	s_mov_b32 s18, s15
	s_and_b32 vcc_lo, exec_lo, s14
	s_wait_alu 0xfffe
	s_cbranch_vccz .LBB163_42
.LBB163_24:                             ;   Parent Loop BB163_3 Depth=1
                                        ; =>  This Loop Header: Depth=2
                                        ;       Child Loop BB163_27 Depth 3
                                        ;         Child Loop BB163_28 Depth 4
                                        ;         Child Loop BB163_31 Depth 4
                                        ;           Child Loop BB163_32 Depth 5
                                        ;         Child Loop BB163_36 Depth 4
                                        ;           Child Loop BB163_38 Depth 5
	s_getpc_b64 s[14:15]
	s_sext_i32_i16 s15, s15
	s_add_co_u32 s14, s14, __const._ZL38rocblas_trsm_small_left_device_sharedBILi28ELi28ELb0E19rocblas_complex_numIfES1_PKPKS1_PKPS1_Ev13rocblas_fill_18rocblas_operation_17rocblas_diagonal_iiT3_T4_lilT5_lili.step_sizes@rel32@lo+8
	s_add_co_ci_u32 s15, s15, __const._ZL38rocblas_trsm_small_left_device_sharedBILi28ELi28ELb0E19rocblas_complex_numIfES1_PKPKS1_PKPS1_Ev13rocblas_fill_18rocblas_operation_17rocblas_diagonal_iiT3_T4_lilT5_lili.step_sizes@rel32@hi+16
	s_lshl_b64 s[30:31], s[18:19], 2
	s_wait_alu 0xfffe
	s_add_nc_u64 s[14:15], s[14:15], s[30:31]
	s_load_b32 s14, s[14:15], 0x0
	s_wait_kmcnt 0x0
	s_add_co_i32 s15, s14, -1
	s_delay_alu instid0(SALU_CYCLE_1)
	s_add_co_i32 s21, s15, s3
	s_wait_alu 0xfffe
	s_cmp_ge_i32 s21, s23
	s_cbranch_scc1 .LBB163_23
; %bb.25:                               ;   in Loop: Header=BB163_24 Depth=2
	s_mul_i32 s21, s3, 0xe0
	s_max_i32 s29, s14, 1
	s_wait_alu 0xfffe
	v_add_nc_u32_e32 v10, s21, v1
	s_mul_i32 s30, s14, 0xe0
	s_mul_i32 s31, s3, 0xe8
	;; [unrolled: 1-line block ×3, first 2 shown]
	s_branch .LBB163_27
.LBB163_26:                             ;   in Loop: Header=BB163_27 Depth=3
	s_add_co_i32 s3, s3, s14
	v_add_nc_u32_e32 v10, s30, v10
	s_wait_alu 0xfffe
	s_add_co_i32 s34, s15, s3
	s_add_co_i32 s21, s21, s30
	;; [unrolled: 1-line block ×3, first 2 shown]
	s_wait_alu 0xfffe
	s_cmp_ge_i32 s34, s23
	s_cbranch_scc1 .LBB163_23
.LBB163_27:                             ;   Parent Loop BB163_3 Depth=1
                                        ;     Parent Loop BB163_24 Depth=2
                                        ; =>    This Loop Header: Depth=3
                                        ;         Child Loop BB163_28 Depth 4
                                        ;         Child Loop BB163_31 Depth 4
                                        ;           Child Loop BB163_32 Depth 5
                                        ;         Child Loop BB163_36 Depth 4
                                        ;           Child Loop BB163_38 Depth 5
	v_mov_b32_e32 v8, v10
	s_mov_b32 s34, 0
	s_wait_alu 0xfffe
	s_mov_b32 s35, s29
.LBB163_28:                             ;   Parent Loop BB163_3 Depth=1
                                        ;     Parent Loop BB163_24 Depth=2
                                        ;       Parent Loop BB163_27 Depth=3
                                        ; =>      This Inner Loop Header: Depth=4
	ds_load_b64 v[17:18], v8
	v_add_nc_u32_e32 v8, 0xe0, v8
	s_wait_alu 0xfffe
	s_add_co_i32 s35, s35, -1
	s_wait_dscnt 0x0
	scratch_store_b64 off, v[17:18], s34
	s_add_co_i32 s34, s34, 8
	s_wait_alu 0xfffe
	s_cmp_eq_u32 s35, 0
	s_cbranch_scc0 .LBB163_28
; %bb.29:                               ;   in Loop: Header=BB163_27 Depth=3
	s_cmp_lt_i32 s3, 1
	s_cbranch_scc1 .LBB163_34
; %bb.30:                               ;   in Loop: Header=BB163_27 Depth=3
	s_mov_b32 s34, 0
	s_mov_b32 s35, s21
.LBB163_31:                             ;   Parent Loop BB163_3 Depth=1
                                        ;     Parent Loop BB163_24 Depth=2
                                        ;       Parent Loop BB163_27 Depth=3
                                        ; =>      This Loop Header: Depth=4
                                        ;           Child Loop BB163_32 Depth 5
	s_wait_alu 0xfffe
	v_mad_co_u64_u32 v[8:9], null, 0xe0, s34, v[1:2]
	s_mov_b32 s36, s28
	s_mov_b32 s37, s35
	;; [unrolled: 1-line block ×3, first 2 shown]
	ds_load_b64 v[8:9], v8
.LBB163_32:                             ;   Parent Loop BB163_3 Depth=1
                                        ;     Parent Loop BB163_24 Depth=2
                                        ;       Parent Loop BB163_27 Depth=3
                                        ;         Parent Loop BB163_31 Depth=4
                                        ; =>        This Inner Loop Header: Depth=5
	scratch_load_b64 v[17:18], off, s36 offset:-4
	s_wait_alu 0xfffe
	v_mov_b32_e32 v11, s37
	s_add_co_i32 s38, s38, -1
	s_addk_co_i32 s37, 0xe0
	ds_load_b64 v[19:20], v11
	s_wait_dscnt 0x0
	v_mul_f32_e32 v11, v20, v9
	v_mul_f32_e32 v20, v20, v8
	s_delay_alu instid0(VALU_DEP_1) | instskip(SKIP_1) | instid1(VALU_DEP_1)
	v_fmac_f32_e32 v20, v19, v9
	s_wait_loadcnt 0x0
	v_sub_f32_e32 v18, v18, v20
	v_fma_f32 v11, v19, v8, -v11
	s_delay_alu instid0(VALU_DEP_1)
	v_sub_f32_e32 v17, v17, v11
	scratch_store_b64 off, v[17:18], s36 offset:-4
	s_add_co_i32 s36, s36, 8
	s_wait_alu 0xfffe
	s_cmp_eq_u32 s38, 0
	s_cbranch_scc0 .LBB163_32
; %bb.33:                               ;   in Loop: Header=BB163_31 Depth=4
	s_add_co_i32 s34, s34, 1
	s_add_co_i32 s35, s35, 8
	s_wait_alu 0xfffe
	s_cmp_eq_u32 s34, s3
	s_cbranch_scc0 .LBB163_31
.LBB163_34:                             ;   in Loop: Header=BB163_27 Depth=3
	s_mul_i32 s34, s3, 0xe0
	s_mov_b32 s35, 0
	s_mov_b32 s36, s31
	s_branch .LBB163_36
.LBB163_35:                             ;   in Loop: Header=BB163_36 Depth=4
	s_wait_alu 0xfffe
	s_mulk_i32 s38, 0xe8
	s_addk_co_i32 s36, 0xe0
	s_wait_alu 0xfffe
	v_mov_b32_e32 v11, s38
	s_lshl_b32 s38, s35, 3
	s_add_co_i32 s35, s35, 1
	s_wait_alu 0xfffe
	s_cmp_eq_u32 s35, s29
	ds_load_b64 v[17:18], v11
	s_wait_loadcnt_dscnt 0x0
	v_mul_f32_e32 v11, v18, v9
	v_mul_f32_e32 v20, v17, v9
	v_add_nc_u32_e32 v9, s37, v1
	s_delay_alu instid0(VALU_DEP_3) | instskip(NEXT) | instid1(VALU_DEP_3)
	v_fma_f32 v19, v17, v8, -v11
	v_fmac_f32_e32 v20, v18, v8
	scratch_store_b64 off, v[19:20], s38
	ds_store_b64 v9, v[19:20]
	s_cbranch_scc1 .LBB163_26
.LBB163_36:                             ;   Parent Loop BB163_3 Depth=1
                                        ;     Parent Loop BB163_24 Depth=2
                                        ;       Parent Loop BB163_27 Depth=3
                                        ; =>      This Loop Header: Depth=4
                                        ;           Child Loop BB163_38 Depth 5
	s_wait_alu 0xfffe
	s_cmp_lg_u32 s35, 0
	s_cbranch_scc0 .LBB163_40
; %bb.37:                               ;   in Loop: Header=BB163_36 Depth=4
	s_lshl_b32 s39, s35, 3
	s_add_co_i32 s38, s35, s3
	scratch_load_b64 v[8:9], off, s39
	s_wait_alu 0xfffe
	s_mul_i32 s37, s38, 0xe0
	s_mov_b32 s40, 0
	s_mov_b32 s41, s36
	;; [unrolled: 1-line block ×3, first 2 shown]
.LBB163_38:                             ;   Parent Loop BB163_3 Depth=1
                                        ;     Parent Loop BB163_24 Depth=2
                                        ;       Parent Loop BB163_27 Depth=3
                                        ;         Parent Loop BB163_36 Depth=4
                                        ; =>        This Inner Loop Header: Depth=5
	scratch_load_b64 v[17:18], off, s40
	s_wait_alu 0xfffe
	v_mov_b32_e32 v11, s41
	s_add_co_i32 s42, s42, -1
	s_add_co_i32 s40, s40, 8
	s_add_co_i32 s41, s41, 8
	s_cmp_eq_u32 s42, 0
	ds_load_b64 v[19:20], v11
	s_wait_loadcnt_dscnt 0x0
	v_mul_f32_e32 v11, v20, v18
	v_mul_f32_e32 v18, v19, v18
	s_delay_alu instid0(VALU_DEP_2) | instskip(NEXT) | instid1(VALU_DEP_2)
	v_fma_f32 v11, v19, v17, -v11
	v_fmac_f32_e32 v18, v20, v17
	s_delay_alu instid0(VALU_DEP_1)
	v_dual_sub_f32 v8, v8, v11 :: v_dual_sub_f32 v9, v9, v18
	scratch_store_b64 off, v[8:9], s39
	s_cbranch_scc0 .LBB163_38
; %bb.39:                               ;   in Loop: Header=BB163_36 Depth=4
	s_branch .LBB163_35
.LBB163_40:                             ;   in Loop: Header=BB163_36 Depth=4
                                        ; implicit-def: $vgpr8
                                        ; implicit-def: $sgpr38
                                        ; implicit-def: $sgpr37
	s_cbranch_execz .LBB163_35
; %bb.41:                               ;   in Loop: Header=BB163_36 Depth=4
	scratch_load_b64 v[8:9], off, off
	s_mov_b32 s37, s34
	s_mov_b32 s38, s3
	s_branch .LBB163_35
.LBB163_42:                             ;   in Loop: Header=BB163_3 Depth=1
	s_mov_b32 s3, 0
.LBB163_43:                             ;   in Loop: Header=BB163_3 Depth=1
	s_wait_alu 0xfffe
	s_and_b32 vcc_lo, exec_lo, s3
	s_wait_alu 0xfffe
	s_cbranch_vccz .LBB163_63
; %bb.44:                               ;   in Loop: Header=BB163_3 Depth=1
	s_mov_b32 s18, 0
	s_mov_b32 s3, s24
	s_branch .LBB163_46
.LBB163_45:                             ;   in Loop: Header=BB163_46 Depth=2
	s_cmp_gt_i32 s3, -1
	s_cselect_b32 s14, -1, 0
	s_add_co_i32 s15, s18, 1
	s_cmp_lt_u32 s18, 2
	s_cselect_b32 s18, -1, 0
	s_delay_alu instid0(SALU_CYCLE_1)
	s_and_b32 s14, s14, s18
	s_mov_b32 s18, s15
	s_and_not1_b32 vcc_lo, exec_lo, s14
	s_wait_alu 0xfffe
	s_cbranch_vccnz .LBB163_63
.LBB163_46:                             ;   Parent Loop BB163_3 Depth=1
                                        ; =>  This Loop Header: Depth=2
                                        ;       Child Loop BB163_49 Depth 3
                                        ;         Child Loop BB163_50 Depth 4
                                        ;         Child Loop BB163_52 Depth 4
                                        ;           Child Loop BB163_53 Depth 5
                                        ;         Child Loop BB163_57 Depth 4
                                        ;           Child Loop BB163_59 Depth 5
	s_getpc_b64 s[14:15]
	s_sext_i32_i16 s15, s15
	s_add_co_u32 s14, s14, __const._ZL38rocblas_trsm_small_left_device_sharedBILi28ELi28ELb0E19rocblas_complex_numIfES1_PKPKS1_PKPS1_Ev13rocblas_fill_18rocblas_operation_17rocblas_diagonal_iiT3_T4_lilT5_lili.step_sizes@rel32@lo+8
	s_add_co_ci_u32 s15, s15, __const._ZL38rocblas_trsm_small_left_device_sharedBILi28ELi28ELb0E19rocblas_complex_numIfES1_PKPKS1_PKPS1_Ev13rocblas_fill_18rocblas_operation_17rocblas_diagonal_iiT3_T4_lilT5_lili.step_sizes@rel32@hi+16
	s_lshl_b64 s[30:31], s[18:19], 2
	s_wait_alu 0xfffe
	s_add_nc_u64 s[14:15], s[14:15], s[30:31]
	s_load_b32 s14, s[14:15], 0x0
	s_wait_kmcnt 0x0
	s_add_co_i32 s15, s14, -1
	s_delay_alu instid0(SALU_CYCLE_1)
	s_cmp_lt_i32 s3, s15
	s_cbranch_scc1 .LBB163_45
; %bb.47:                               ;   in Loop: Header=BB163_46 Depth=2
	v_mad_co_u64_u32 v[8:9], null, 0xe0, s3, v[1:2]
	s_lshl_b32 s30, s3, 3
	s_lshl_b32 s31, s14, 3
	s_max_i32 s21, s14, 1
	s_mul_i32 s29, s14, 0xffffff20
	s_wait_alu 0xfffe
	s_add_co_i32 s30, s20, s30
	s_sub_co_i32 s31, 0, s31
	s_mul_i32 s33, s3, 0xe8
	s_mul_i32 s34, s14, 0xffffff18
	s_branch .LBB163_49
.LBB163_48:                             ;   in Loop: Header=BB163_49 Depth=3
	v_add_nc_u32_e32 v8, s29, v8
	s_sub_co_i32 s3, s3, s14
	s_add_co_i32 s30, s30, s31
	s_add_co_i32 s33, s33, s34
	s_wait_alu 0xfffe
	s_cmp_lt_i32 s3, s15
	s_cbranch_scc1 .LBB163_45
.LBB163_49:                             ;   Parent Loop BB163_3 Depth=1
                                        ;     Parent Loop BB163_46 Depth=2
                                        ; =>    This Loop Header: Depth=3
                                        ;         Child Loop BB163_50 Depth 4
                                        ;         Child Loop BB163_52 Depth 4
                                        ;           Child Loop BB163_53 Depth 5
                                        ;         Child Loop BB163_57 Depth 4
                                        ;           Child Loop BB163_59 Depth 5
	v_mov_b32_e32 v9, v8
	s_mov_b32 s35, 0
	s_mov_b32 s36, s21
.LBB163_50:                             ;   Parent Loop BB163_3 Depth=1
                                        ;     Parent Loop BB163_46 Depth=2
                                        ;       Parent Loop BB163_49 Depth=3
                                        ; =>      This Inner Loop Header: Depth=4
	ds_load_b64 v[10:11], v9
	v_add_nc_u32_e32 v9, 0xffffff20, v9
	s_wait_alu 0xfffe
	s_add_co_i32 s36, s36, -1
	s_wait_dscnt 0x0
	scratch_store_b64 off, v[10:11], s35
	s_add_co_i32 s35, s35, 8
	s_wait_alu 0xfffe
	s_cmp_eq_u32 s36, 0
	s_cbranch_scc0 .LBB163_50
; %bb.51:                               ;   in Loop: Header=BB163_49 Depth=3
	s_cmp_le_i32 s24, s3
	s_mov_b32 s35, s30
	s_mov_b32 s36, s24
	s_cbranch_scc1 .LBB163_55
.LBB163_52:                             ;   Parent Loop BB163_3 Depth=1
                                        ;     Parent Loop BB163_46 Depth=2
                                        ;       Parent Loop BB163_49 Depth=3
                                        ; =>      This Loop Header: Depth=4
                                        ;           Child Loop BB163_53 Depth 5
	s_wait_alu 0xfffe
	v_mad_co_u64_u32 v[9:10], null, 0xe0, s36, v[1:2]
	s_mov_b32 s37, s28
	s_mov_b32 s38, s35
	;; [unrolled: 1-line block ×3, first 2 shown]
	ds_load_b64 v[9:10], v9
.LBB163_53:                             ;   Parent Loop BB163_3 Depth=1
                                        ;     Parent Loop BB163_46 Depth=2
                                        ;       Parent Loop BB163_49 Depth=3
                                        ;         Parent Loop BB163_52 Depth=4
                                        ; =>        This Inner Loop Header: Depth=5
	scratch_load_b64 v[17:18], off, s37 offset:-4
	s_wait_alu 0xfffe
	v_mov_b32_e32 v11, s38
	s_add_co_i32 s39, s39, -1
	s_add_co_i32 s38, s38, -8
	ds_load_b64 v[19:20], v11
	s_wait_dscnt 0x0
	v_mul_f32_e32 v11, v20, v10
	v_mul_f32_e32 v20, v20, v9
	s_delay_alu instid0(VALU_DEP_1) | instskip(SKIP_1) | instid1(VALU_DEP_1)
	v_fmac_f32_e32 v20, v19, v10
	s_wait_loadcnt 0x0
	v_sub_f32_e32 v18, v18, v20
	v_fma_f32 v11, v19, v9, -v11
	s_delay_alu instid0(VALU_DEP_1)
	v_sub_f32_e32 v17, v17, v11
	scratch_store_b64 off, v[17:18], s37 offset:-4
	s_add_co_i32 s37, s37, 8
	s_wait_alu 0xfffe
	s_cmp_eq_u32 s39, 0
	s_cbranch_scc0 .LBB163_53
; %bb.54:                               ;   in Loop: Header=BB163_52 Depth=4
	s_add_co_i32 s36, s36, -1
	s_addk_co_i32 s35, 0xff20
	s_wait_alu 0xfffe
	s_cmp_le_i32 s36, s3
	s_cbranch_scc0 .LBB163_52
.LBB163_55:                             ;   in Loop: Header=BB163_49 Depth=3
	s_mov_b32 s35, 0
	s_mov_b32 s36, s33
	s_branch .LBB163_57
.LBB163_56:                             ;   in Loop: Header=BB163_57 Depth=4
	s_wait_alu 0xfffe
	s_mul_i32 s38, s37, 0xe8
	v_mad_co_u64_u32 v[19:20], null, 0xe0, s37, v[1:2]
	s_wait_alu 0xfffe
	v_mov_b32_e32 v11, s38
	s_lshl_b32 s38, s35, 3
	s_add_co_i32 s35, s35, 1
	s_add_co_i32 s36, s36, -8
	s_wait_alu 0xfffe
	s_cmp_eq_u32 s35, s21
	ds_load_b64 v[17:18], v11
	s_wait_loadcnt_dscnt 0x0
	v_mul_f32_e32 v21, v18, v10
	v_mul_f32_e32 v11, v17, v10
	s_delay_alu instid0(VALU_DEP_2) | instskip(NEXT) | instid1(VALU_DEP_2)
	v_fma_f32 v10, v17, v9, -v21
	v_fmac_f32_e32 v11, v18, v9
	scratch_store_b64 off, v[10:11], s38
	ds_store_b64 v19, v[10:11]
	s_cbranch_scc1 .LBB163_48
.LBB163_57:                             ;   Parent Loop BB163_3 Depth=1
                                        ;     Parent Loop BB163_46 Depth=2
                                        ;       Parent Loop BB163_49 Depth=3
                                        ; =>      This Loop Header: Depth=4
                                        ;           Child Loop BB163_59 Depth 5
	s_wait_alu 0xfffe
	s_cmp_lg_u32 s35, 0
	s_cbranch_scc0 .LBB163_61
; %bb.58:                               ;   in Loop: Header=BB163_57 Depth=4
	s_lshl_b32 s38, s35, 3
	s_sub_co_i32 s37, s3, s35
	scratch_load_b64 v[9:10], off, s38
	s_mov_b32 s39, 0
	s_mov_b32 s40, s36
	;; [unrolled: 1-line block ×3, first 2 shown]
.LBB163_59:                             ;   Parent Loop BB163_3 Depth=1
                                        ;     Parent Loop BB163_46 Depth=2
                                        ;       Parent Loop BB163_49 Depth=3
                                        ;         Parent Loop BB163_57 Depth=4
                                        ; =>        This Inner Loop Header: Depth=5
	scratch_load_b64 v[17:18], off, s39
	s_wait_alu 0xfffe
	v_mov_b32_e32 v11, s40
	s_add_co_i32 s41, s41, -1
	s_addk_co_i32 s40, 0xff20
	s_add_co_i32 s39, s39, 8
	s_wait_alu 0xfffe
	s_cmp_eq_u32 s41, 0
	ds_load_b64 v[19:20], v11
	s_wait_loadcnt_dscnt 0x0
	v_mul_f32_e32 v11, v20, v18
	v_mul_f32_e32 v18, v19, v18
	s_delay_alu instid0(VALU_DEP_2) | instskip(NEXT) | instid1(VALU_DEP_1)
	v_fma_f32 v11, v19, v17, -v11
	v_dual_fmac_f32 v18, v20, v17 :: v_dual_sub_f32 v9, v9, v11
	s_delay_alu instid0(VALU_DEP_1)
	v_sub_f32_e32 v10, v10, v18
	scratch_store_b64 off, v[9:10], s38
	s_cbranch_scc0 .LBB163_59
; %bb.60:                               ;   in Loop: Header=BB163_57 Depth=4
	s_branch .LBB163_56
.LBB163_61:                             ;   in Loop: Header=BB163_57 Depth=4
                                        ; implicit-def: $vgpr9
                                        ; implicit-def: $sgpr37
	s_cbranch_execz .LBB163_56
; %bb.62:                               ;   in Loop: Header=BB163_57 Depth=4
	scratch_load_b64 v[9:10], off, off
	s_mov_b32 s37, s3
	s_branch .LBB163_56
.LBB163_63:                             ;   in Loop: Header=BB163_3 Depth=1
	s_wait_storecnt 0x0
	; wave barrier
	s_wait_loadcnt_dscnt 0x0
	global_inv scope:SCOPE_SE
	s_and_saveexec_b32 s3, s27
	s_cbranch_execz .LBB163_2
; %bb.64:                               ;   in Loop: Header=BB163_3 Depth=1
	v_add_co_u32 v6, vcc_lo, v6, s6
	s_wait_alu 0xfffd
	v_add_co_ci_u32_e64 v7, null, s7, v7, vcc_lo
	v_mov_b32_e32 v8, v1
	s_delay_alu instid0(VALU_DEP_3) | instskip(SKIP_1) | instid1(VALU_DEP_3)
	v_add_co_u32 v6, vcc_lo, v6, s12
	s_wait_alu 0xfffd
	v_add_co_ci_u32_e64 v7, null, s13, v7, vcc_lo
	s_mov_b32 s14, s23
	v_add_co_u32 v6, vcc_lo, v6, v4
	s_wait_alu 0xfffd
	v_add_co_ci_u32_e64 v7, null, v7, v5, vcc_lo
.LBB163_65:                             ;   Parent Loop BB163_3 Depth=1
                                        ; =>  This Inner Loop Header: Depth=2
	ds_load_b64 v[9:10], v8
	v_add_nc_u32_e32 v8, 0xe0, v8
	s_add_co_i32 s14, s14, -1
	s_delay_alu instid0(SALU_CYCLE_1)
	s_cmp_lg_u32 s14, 0
	s_wait_dscnt 0x0
	flat_store_b64 v[6:7], v[9:10]
	v_add_co_u32 v6, vcc_lo, v6, 8
	s_wait_alu 0xfffd
	v_add_co_ci_u32_e64 v7, null, 0, v7, vcc_lo
	s_cbranch_scc1 .LBB163_65
	s_branch .LBB163_2
.LBB163_66:
	s_endpgm
	.section	.rodata,"a",@progbits
	.p2align	6, 0x0
	.amdhsa_kernel _ZL38rocblas_trsm_small_left_device_sharedBILi28ELi28ELb0E19rocblas_complex_numIfES1_PKPKS1_PKPS1_Ev13rocblas_fill_18rocblas_operation_17rocblas_diagonal_iiT3_T4_lilT5_lili
		.amdhsa_group_segment_fixed_size 12544
		.amdhsa_private_segment_fixed_size 240
		.amdhsa_kernarg_size 360
		.amdhsa_user_sgpr_count 2
		.amdhsa_user_sgpr_dispatch_ptr 0
		.amdhsa_user_sgpr_queue_ptr 0
		.amdhsa_user_sgpr_kernarg_segment_ptr 1
		.amdhsa_user_sgpr_dispatch_id 0
		.amdhsa_user_sgpr_private_segment_size 0
		.amdhsa_wavefront_size32 1
		.amdhsa_uses_dynamic_stack 0
		.amdhsa_enable_private_segment 1
		.amdhsa_system_sgpr_workgroup_id_x 1
		.amdhsa_system_sgpr_workgroup_id_y 0
		.amdhsa_system_sgpr_workgroup_id_z 1
		.amdhsa_system_sgpr_workgroup_info 0
		.amdhsa_system_vgpr_workitem_id 0
		.amdhsa_next_free_vgpr 241
		.amdhsa_next_free_sgpr 43
		.amdhsa_reserve_vcc 1
		.amdhsa_float_round_mode_32 0
		.amdhsa_float_round_mode_16_64 0
		.amdhsa_float_denorm_mode_32 3
		.amdhsa_float_denorm_mode_16_64 3
		.amdhsa_fp16_overflow 0
		.amdhsa_workgroup_processor_mode 1
		.amdhsa_memory_ordered 1
		.amdhsa_forward_progress 1
		.amdhsa_inst_pref_size 25
		.amdhsa_round_robin_scheduling 0
		.amdhsa_exception_fp_ieee_invalid_op 0
		.amdhsa_exception_fp_denorm_src 0
		.amdhsa_exception_fp_ieee_div_zero 0
		.amdhsa_exception_fp_ieee_overflow 0
		.amdhsa_exception_fp_ieee_underflow 0
		.amdhsa_exception_fp_ieee_inexact 0
		.amdhsa_exception_int_div_zero 0
	.end_amdhsa_kernel
	.section	.text._ZL38rocblas_trsm_small_left_device_sharedBILi28ELi28ELb0E19rocblas_complex_numIfES1_PKPKS1_PKPS1_Ev13rocblas_fill_18rocblas_operation_17rocblas_diagonal_iiT3_T4_lilT5_lili,"axG",@progbits,_ZL38rocblas_trsm_small_left_device_sharedBILi28ELi28ELb0E19rocblas_complex_numIfES1_PKPKS1_PKPS1_Ev13rocblas_fill_18rocblas_operation_17rocblas_diagonal_iiT3_T4_lilT5_lili,comdat
.Lfunc_end163:
	.size	_ZL38rocblas_trsm_small_left_device_sharedBILi28ELi28ELb0E19rocblas_complex_numIfES1_PKPKS1_PKPS1_Ev13rocblas_fill_18rocblas_operation_17rocblas_diagonal_iiT3_T4_lilT5_lili, .Lfunc_end163-_ZL38rocblas_trsm_small_left_device_sharedBILi28ELi28ELb0E19rocblas_complex_numIfES1_PKPKS1_PKPS1_Ev13rocblas_fill_18rocblas_operation_17rocblas_diagonal_iiT3_T4_lilT5_lili
                                        ; -- End function
	.set _ZL38rocblas_trsm_small_left_device_sharedBILi28ELi28ELb0E19rocblas_complex_numIfES1_PKPKS1_PKPS1_Ev13rocblas_fill_18rocblas_operation_17rocblas_diagonal_iiT3_T4_lilT5_lili.num_vgpr, 22
	.set _ZL38rocblas_trsm_small_left_device_sharedBILi28ELi28ELb0E19rocblas_complex_numIfES1_PKPKS1_PKPS1_Ev13rocblas_fill_18rocblas_operation_17rocblas_diagonal_iiT3_T4_lilT5_lili.num_agpr, 0
	.set _ZL38rocblas_trsm_small_left_device_sharedBILi28ELi28ELb0E19rocblas_complex_numIfES1_PKPKS1_PKPS1_Ev13rocblas_fill_18rocblas_operation_17rocblas_diagonal_iiT3_T4_lilT5_lili.numbered_sgpr, 43
	.set _ZL38rocblas_trsm_small_left_device_sharedBILi28ELi28ELb0E19rocblas_complex_numIfES1_PKPKS1_PKPS1_Ev13rocblas_fill_18rocblas_operation_17rocblas_diagonal_iiT3_T4_lilT5_lili.num_named_barrier, 0
	.set _ZL38rocblas_trsm_small_left_device_sharedBILi28ELi28ELb0E19rocblas_complex_numIfES1_PKPKS1_PKPS1_Ev13rocblas_fill_18rocblas_operation_17rocblas_diagonal_iiT3_T4_lilT5_lili.private_seg_size, 240
	.set _ZL38rocblas_trsm_small_left_device_sharedBILi28ELi28ELb0E19rocblas_complex_numIfES1_PKPKS1_PKPS1_Ev13rocblas_fill_18rocblas_operation_17rocblas_diagonal_iiT3_T4_lilT5_lili.uses_vcc, 1
	.set _ZL38rocblas_trsm_small_left_device_sharedBILi28ELi28ELb0E19rocblas_complex_numIfES1_PKPKS1_PKPS1_Ev13rocblas_fill_18rocblas_operation_17rocblas_diagonal_iiT3_T4_lilT5_lili.uses_flat_scratch, 0
	.set _ZL38rocblas_trsm_small_left_device_sharedBILi28ELi28ELb0E19rocblas_complex_numIfES1_PKPKS1_PKPS1_Ev13rocblas_fill_18rocblas_operation_17rocblas_diagonal_iiT3_T4_lilT5_lili.has_dyn_sized_stack, 0
	.set _ZL38rocblas_trsm_small_left_device_sharedBILi28ELi28ELb0E19rocblas_complex_numIfES1_PKPKS1_PKPS1_Ev13rocblas_fill_18rocblas_operation_17rocblas_diagonal_iiT3_T4_lilT5_lili.has_recursion, 0
	.set _ZL38rocblas_trsm_small_left_device_sharedBILi28ELi28ELb0E19rocblas_complex_numIfES1_PKPKS1_PKPS1_Ev13rocblas_fill_18rocblas_operation_17rocblas_diagonal_iiT3_T4_lilT5_lili.has_indirect_call, 0
	.section	.AMDGPU.csdata,"",@progbits
; Kernel info:
; codeLenInByte = 3100
; TotalNumSgprs: 45
; NumVgprs: 22
; ScratchSize: 240
; MemoryBound: 0
; FloatMode: 240
; IeeeMode: 1
; LDSByteSize: 12544 bytes/workgroup (compile time only)
; SGPRBlocks: 0
; VGPRBlocks: 30
; NumSGPRsForWavesPerEU: 45
; NumVGPRsForWavesPerEU: 241
; Occupancy: 3
; WaveLimiterHint : 0
; COMPUTE_PGM_RSRC2:SCRATCH_EN: 1
; COMPUTE_PGM_RSRC2:USER_SGPR: 2
; COMPUTE_PGM_RSRC2:TRAP_HANDLER: 0
; COMPUTE_PGM_RSRC2:TGID_X_EN: 1
; COMPUTE_PGM_RSRC2:TGID_Y_EN: 0
; COMPUTE_PGM_RSRC2:TGID_Z_EN: 1
; COMPUTE_PGM_RSRC2:TIDIG_COMP_CNT: 0
	.section	.text._ZL30rocblas_trsm_small_left_deviceILi28ELi28ELb0E19rocblas_complex_numIfES1_PKPKS1_PKPS1_Ev13rocblas_fill_18rocblas_operation_17rocblas_diagonal_iiT3_T4_lilT5_lili,"axG",@progbits,_ZL30rocblas_trsm_small_left_deviceILi28ELi28ELb0E19rocblas_complex_numIfES1_PKPKS1_PKPS1_Ev13rocblas_fill_18rocblas_operation_17rocblas_diagonal_iiT3_T4_lilT5_lili,comdat
	.globl	_ZL30rocblas_trsm_small_left_deviceILi28ELi28ELb0E19rocblas_complex_numIfES1_PKPKS1_PKPS1_Ev13rocblas_fill_18rocblas_operation_17rocblas_diagonal_iiT3_T4_lilT5_lili ; -- Begin function _ZL30rocblas_trsm_small_left_deviceILi28ELi28ELb0E19rocblas_complex_numIfES1_PKPKS1_PKPS1_Ev13rocblas_fill_18rocblas_operation_17rocblas_diagonal_iiT3_T4_lilT5_lili
	.p2align	8
	.type	_ZL30rocblas_trsm_small_left_deviceILi28ELi28ELb0E19rocblas_complex_numIfES1_PKPKS1_PKPS1_Ev13rocblas_fill_18rocblas_operation_17rocblas_diagonal_iiT3_T4_lilT5_lili,@function
_ZL30rocblas_trsm_small_left_deviceILi28ELi28ELb0E19rocblas_complex_numIfES1_PKPKS1_PKPS1_Ev13rocblas_fill_18rocblas_operation_17rocblas_diagonal_iiT3_T4_lilT5_lili: ; @_ZL30rocblas_trsm_small_left_deviceILi28ELi28ELb0E19rocblas_complex_numIfES1_PKPKS1_PKPS1_Ev13rocblas_fill_18rocblas_operation_17rocblas_diagonal_iiT3_T4_lilT5_lili
; %bb.0:
	s_load_b32 s26, s[0:1], 0x60
	s_lshr_b32 s2, ttmp7, 16
	s_wait_kmcnt 0x0
	s_cmp_ge_u32 s2, s26
	s_cbranch_scc1 .LBB164_63
; %bb.1:
	s_clause 0x6
	s_load_b32 s18, s[0:1], 0x30
	s_load_b128 s[12:15], s[0:1], 0x4
	s_load_b32 s3, s[0:1], 0x50
	s_load_b32 s20, s[0:1], 0x68
	s_load_b128 s[4:7], s[0:1], 0x20
	s_load_b128 s[8:11], s[0:1], 0x40
	s_load_b64 s[16:17], s[0:1], 0x14
	v_mad_co_u64_u32 v[2:3], null, ttmp9, 28, v[0:1]
	s_mul_i32 s0, ttmp9, 0xffffffe4
	v_dual_mov_b32 v1, 0 :: v_dual_lshlrev_b32 v10, 3, v0
	v_mul_u32_u24_e32 v4, 0xe0, v0
	s_mov_b32 s35, 0
                                        ; implicit-def: $sgpr36
                                        ; implicit-def: $sgpr37
	s_delay_alu instid0(VALU_DEP_1)
	v_add_nc_u32_e32 v15, v10, v4
	s_wait_kmcnt 0x0
	s_ashr_i32 s19, s18, 31
	s_cmp_lg_u32 s12, 0x71
	v_mad_co_i64_i32 v[2:3], null, s3, v2, 0
	s_cselect_b32 s27, -1, 0
	s_min_i32 s28, s14, 28
	s_add_co_i32 s20, s20, -1
	s_wait_alu 0xfffe
	s_add_co_i32 s1, s15, s0
	s_add_co_i32 s29, s28, -1
	s_cmp_ge_u32 ttmp9, s20
	v_lshlrev_b64_e32 v[2:3], 3, v[2:3]
	s_wait_alu 0xfffe
	s_cselect_b32 s1, s1, 28
	s_cmp_lg_u32 s13, 0x84
	v_cmp_gt_i32_e64 s0, s28, v0
	s_cselect_b32 s30, -1, 0
	s_cmp_lg_u32 s12, 0x6f
	s_wait_alu 0xfffe
	v_cmp_gt_i32_e64 s1, s1, v0
	s_cselect_b32 s31, -1, 0
	s_lshl_b64 s[6:7], s[6:7], 3
	s_mul_i32 s34, s28, 0xe0
	v_add_co_u32 v0, s3, s6, v10
	s_wait_alu 0xf1ff
	v_add_co_ci_u32_e64 v11, null, s7, 0, s3
	s_lshl_b64 s[6:7], s[10:11], 3
	v_or_b32_e32 v12, 4, v0
	s_wait_alu 0xfffe
	v_add_co_u32 v5, vcc_lo, v2, s6
	s_delay_alu instid0(VALU_DEP_1) | instskip(SKIP_1) | instid1(VALU_DEP_3)
	v_add_co_ci_u32_e64 v13, null, s7, v3, vcc_lo
	v_mov_b32_e32 v0, 1.0
	v_or_b32_e32 v14, 4, v5
	s_or_b32 s33, 0, 4
	s_lshl_b64 s[10:11], s[18:19], 3
	s_addk_co_i32 s34, 0xff20
	s_mov_b32 s13, 0
	s_branch .LBB164_4
.LBB164_2:                              ;   in Loop: Header=BB164_4 Depth=1
	s_add_co_i32 s2, s2, 0x10000
	s_wait_alu 0xfffe
	s_cmp_ge_u32 s2, s26
	s_cselect_b32 s12, -1, 0
	s_and_not1_b32 s37, s37, exec_lo
	s_or_not1_b32 s12, s12, exec_lo
.LBB164_3:                              ;   in Loop: Header=BB164_4 Depth=1
	s_wait_alu 0xfffe
	s_or_b32 exec_lo, exec_lo, s3
	s_delay_alu instid0(SALU_CYCLE_1)
	s_and_b32 s3, exec_lo, s12
	s_wait_alu 0xfffe
	s_or_b32 s35, s3, s35
	s_and_not1_b32 s3, s36, exec_lo
	s_and_b32 s12, s37, exec_lo
	s_wait_alu 0xfffe
	s_or_b32 s36, s3, s12
	s_and_not1_b32 exec_lo, exec_lo, s35
	s_cbranch_execz .LBB164_62
.LBB164_4:                              ; =>This Loop Header: Depth=1
                                        ;     Child Loop BB164_7 Depth 2
                                        ;     Child Loop BB164_23 Depth 2
                                        ;       Child Loop BB164_26 Depth 3
                                        ;         Child Loop BB164_27 Depth 4
                                        ;         Child Loop BB164_30 Depth 4
                                        ;           Child Loop BB164_31 Depth 5
                                        ;         Child Loop BB164_35 Depth 4
                                        ;           Child Loop BB164_37 Depth 5
                                        ;     Child Loop BB164_45 Depth 2
                                        ;       Child Loop BB164_48 Depth 3
                                        ;         Child Loop BB164_49 Depth 4
                                        ;         Child Loop BB164_51 Depth 4
                                        ;           Child Loop BB164_52 Depth 5
                                        ;         Child Loop BB164_56 Depth 4
                                        ;           Child Loop BB164_58 Depth 5
	s_mov_b32 s3, s13
	s_wait_alu 0xfffe
	s_lshl_b64 s[14:15], s[2:3], 3
	s_delay_alu instid0(SALU_CYCLE_1)
	s_add_nc_u64 s[18:19], s[8:9], s[14:15]
	global_load_b64 v[4:5], v1, s[18:19]
	s_and_saveexec_b32 s3, s0
	s_cbranch_execz .LBB164_19
; %bb.5:                                ;   in Loop: Header=BB164_4 Depth=1
	s_add_nc_u64 s[14:15], s[4:5], s[14:15]
	v_mov_b32_e32 v16, v10
	global_load_b64 v[6:7], v1, s[14:15]
	s_mov_b32 s12, s28
	s_wait_loadcnt 0x0
	v_add_co_u32 v6, vcc_lo, v6, v12
	s_wait_alu 0xfffd
	v_add_co_ci_u32_e64 v7, null, v7, v11, vcc_lo
	s_branch .LBB164_7
.LBB164_6:                              ;   in Loop: Header=BB164_7 Depth=2
	flat_load_b32 v8, v[6:7] offset:-4
	v_add_co_u32 v6, vcc_lo, v6, s10
	s_wait_alu 0xfffd
	v_add_co_ci_u32_e64 v7, null, s11, v7, vcc_lo
	s_add_co_i32 s12, s12, -1
	s_delay_alu instid0(SALU_CYCLE_1)
	s_cmp_eq_u32 s12, 0
	s_wait_loadcnt_dscnt 0x0
	ds_store_b64 v16, v[8:9]
	v_add_nc_u32_e32 v16, 0xe0, v16
	s_cbranch_scc1 .LBB164_11
.LBB164_7:                              ;   Parent Loop BB164_4 Depth=1
                                        ; =>  This Inner Loop Header: Depth=2
	s_and_b32 vcc_lo, exec_lo, s27
	s_mov_b32 s14, -1
                                        ; implicit-def: $vgpr9
	s_wait_alu 0xfffe
	s_cbranch_vccz .LBB164_9
; %bb.8:                                ;   in Loop: Header=BB164_7 Depth=2
	flat_load_b32 v9, v[6:7]
	s_mov_b32 s14, 0
.LBB164_9:                              ;   in Loop: Header=BB164_7 Depth=2
	s_delay_alu instid0(SALU_CYCLE_1)
	s_and_not1_b32 vcc_lo, exec_lo, s14
	s_wait_alu 0xfffe
	s_cbranch_vccnz .LBB164_6
; %bb.10:                               ;   in Loop: Header=BB164_7 Depth=2
	flat_load_b32 v8, v[6:7]
	s_wait_loadcnt_dscnt 0x0
	v_xor_b32_e32 v9, 0x80000000, v8
	s_branch .LBB164_6
.LBB164_11:                             ;   in Loop: Header=BB164_4 Depth=1
	s_and_b32 vcc_lo, exec_lo, s30
	s_mov_b32 s12, -1
	s_wait_alu 0xfffe
	s_cbranch_vccz .LBB164_17
; %bb.12:                               ;   in Loop: Header=BB164_4 Depth=1
	ds_load_b64 v[6:7], v15
                                        ; implicit-def: $vgpr8
	s_wait_dscnt 0x0
	v_cmp_ngt_f32_e64 s12, |v6|, |v7|
	s_and_saveexec_b32 s14, s12
	s_delay_alu instid0(SALU_CYCLE_1)
	s_xor_b32 s12, exec_lo, s14
	s_cbranch_execz .LBB164_14
; %bb.13:                               ;   in Loop: Header=BB164_4 Depth=1
	v_div_scale_f32 v8, null, v7, v7, v6
	v_div_scale_f32 v17, vcc_lo, v6, v7, v6
	s_delay_alu instid0(VALU_DEP_2) | instskip(NEXT) | instid1(TRANS32_DEP_1)
	v_rcp_f32_e32 v9, v8
	v_fma_f32 v16, -v8, v9, 1.0
	s_delay_alu instid0(VALU_DEP_1) | instskip(NEXT) | instid1(VALU_DEP_1)
	v_fmac_f32_e32 v9, v16, v9
	v_mul_f32_e32 v16, v17, v9
	s_delay_alu instid0(VALU_DEP_1) | instskip(NEXT) | instid1(VALU_DEP_1)
	v_fma_f32 v18, -v8, v16, v17
	v_fmac_f32_e32 v16, v18, v9
	s_delay_alu instid0(VALU_DEP_1) | instskip(SKIP_1) | instid1(VALU_DEP_1)
	v_fma_f32 v8, -v8, v16, v17
	s_wait_alu 0xfffd
	v_div_fmas_f32 v8, v8, v9, v16
	s_delay_alu instid0(VALU_DEP_1) | instskip(NEXT) | instid1(VALU_DEP_1)
	v_div_fixup_f32 v8, v8, v7, v6
	v_fmac_f32_e32 v7, v6, v8
	s_delay_alu instid0(VALU_DEP_1) | instskip(SKIP_1) | instid1(VALU_DEP_2)
	v_div_scale_f32 v6, null, v7, v7, 1.0
	v_div_scale_f32 v17, vcc_lo, 1.0, v7, 1.0
	v_rcp_f32_e32 v9, v6
	s_delay_alu instid0(TRANS32_DEP_1) | instskip(NEXT) | instid1(VALU_DEP_1)
	v_fma_f32 v16, -v6, v9, 1.0
	v_fmac_f32_e32 v9, v16, v9
	s_delay_alu instid0(VALU_DEP_1) | instskip(NEXT) | instid1(VALU_DEP_1)
	v_mul_f32_e32 v16, v17, v9
	v_fma_f32 v18, -v6, v16, v17
	s_delay_alu instid0(VALU_DEP_1) | instskip(NEXT) | instid1(VALU_DEP_1)
	v_fmac_f32_e32 v16, v18, v9
	v_fma_f32 v6, -v6, v16, v17
	s_wait_alu 0xfffd
	s_delay_alu instid0(VALU_DEP_1) | instskip(SKIP_1) | instid1(VALU_DEP_2)
	v_div_fmas_f32 v6, v6, v9, v16
	v_add_f32_e32 v9, 0, v8
	v_div_fixup_f32 v6, v6, v7, 1.0
	v_fma_f32 v7, v8, 0, -1.0
	s_delay_alu instid0(VALU_DEP_2) | instskip(NEXT) | instid1(VALU_DEP_2)
	v_mul_f32_e32 v8, v9, v6
	v_mul_f32_e32 v9, v7, v6
                                        ; implicit-def: $vgpr6_vgpr7
.LBB164_14:                             ;   in Loop: Header=BB164_4 Depth=1
	s_and_not1_saveexec_b32 s12, s12
	s_cbranch_execz .LBB164_16
; %bb.15:                               ;   in Loop: Header=BB164_4 Depth=1
	v_div_scale_f32 v8, null, v6, v6, v7
	v_div_scale_f32 v17, vcc_lo, v7, v6, v7
	s_delay_alu instid0(VALU_DEP_2) | instskip(NEXT) | instid1(TRANS32_DEP_1)
	v_rcp_f32_e32 v9, v8
	v_fma_f32 v16, -v8, v9, 1.0
	s_delay_alu instid0(VALU_DEP_1) | instskip(NEXT) | instid1(VALU_DEP_1)
	v_fmac_f32_e32 v9, v16, v9
	v_mul_f32_e32 v16, v17, v9
	s_delay_alu instid0(VALU_DEP_1) | instskip(NEXT) | instid1(VALU_DEP_1)
	v_fma_f32 v18, -v8, v16, v17
	v_fmac_f32_e32 v16, v18, v9
	s_delay_alu instid0(VALU_DEP_1) | instskip(SKIP_1) | instid1(VALU_DEP_1)
	v_fma_f32 v8, -v8, v16, v17
	s_wait_alu 0xfffd
	v_div_fmas_f32 v8, v8, v9, v16
	s_delay_alu instid0(VALU_DEP_1) | instskip(NEXT) | instid1(VALU_DEP_1)
	v_div_fixup_f32 v9, v8, v6, v7
	v_fmac_f32_e32 v6, v7, v9
	s_delay_alu instid0(VALU_DEP_1) | instskip(SKIP_1) | instid1(VALU_DEP_2)
	v_div_scale_f32 v7, null, v6, v6, 1.0
	v_div_scale_f32 v17, vcc_lo, 1.0, v6, 1.0
	v_rcp_f32_e32 v8, v7
	s_delay_alu instid0(TRANS32_DEP_1) | instskip(NEXT) | instid1(VALU_DEP_1)
	v_fma_f32 v16, -v7, v8, 1.0
	v_fmac_f32_e32 v8, v16, v8
	s_delay_alu instid0(VALU_DEP_1) | instskip(NEXT) | instid1(VALU_DEP_1)
	v_mul_f32_e32 v16, v17, v8
	v_fma_f32 v18, -v7, v16, v17
	s_delay_alu instid0(VALU_DEP_1) | instskip(NEXT) | instid1(VALU_DEP_1)
	v_fmac_f32_e32 v16, v18, v8
	v_fma_f32 v7, -v7, v16, v17
	s_wait_alu 0xfffd
	s_delay_alu instid0(VALU_DEP_1) | instskip(SKIP_1) | instid1(VALU_DEP_2)
	v_div_fmas_f32 v7, v7, v8, v16
	v_fma_f32 v8, v9, 0, 1.0
	v_div_fixup_f32 v6, v7, v6, 1.0
	s_delay_alu instid0(VALU_DEP_1)
	v_mul_f32_e32 v8, v8, v6
	v_mul_f32_e64 v9, -v9, v6
.LBB164_16:                             ;   in Loop: Header=BB164_4 Depth=1
	s_or_b32 exec_lo, exec_lo, s12
	s_mov_b32 s12, 0
	ds_store_b64 v15, v[8:9]
.LBB164_17:                             ;   in Loop: Header=BB164_4 Depth=1
	s_and_b32 vcc_lo, exec_lo, s12
	s_wait_alu 0xfffe
	s_cbranch_vccz .LBB164_19
; %bb.18:                               ;   in Loop: Header=BB164_4 Depth=1
	ds_store_b64 v15, v[0:1]
.LBB164_19:                             ;   in Loop: Header=BB164_4 Depth=1
	s_wait_alu 0xfffe
	s_or_b32 exec_lo, exec_lo, s3
	s_mov_b32 s12, -1
	s_or_b32 s37, s37, exec_lo
	; wave barrier
	s_wait_loadcnt_dscnt 0x0
	global_inv scope:SCOPE_SE
	s_and_saveexec_b32 s3, s1
	s_cbranch_execz .LBB164_3
; %bb.20:                               ;   in Loop: Header=BB164_4 Depth=1
	v_add_co_u32 v6, vcc_lo, v4, s6
	s_wait_alu 0xfffd
	v_add_co_ci_u32_e64 v7, null, s7, v5, vcc_lo
	s_delay_alu instid0(VALU_DEP_2) | instskip(SKIP_1) | instid1(VALU_DEP_2)
	v_add_co_u32 v16, vcc_lo, v6, v2
	s_wait_alu 0xfffd
	v_add_co_ci_u32_e64 v17, null, v7, v3, vcc_lo
	s_and_not1_b32 vcc_lo, exec_lo, s31
	s_wait_alu 0xfffe
	s_cbranch_vccnz .LBB164_42
; %bb.21:                               ;   in Loop: Header=BB164_4 Depth=1
	v_add_co_u32 v18, vcc_lo, v4, v14
	s_wait_alu 0xfffd
	v_add_co_ci_u32_e64 v19, null, v5, v13, vcc_lo
	s_mov_b32 s18, 0
	s_mov_b32 s14, 0
	s_branch .LBB164_23
.LBB164_22:                             ;   in Loop: Header=BB164_23 Depth=2
	s_cmp_lt_i32 s14, s28
	s_cselect_b32 s12, -1, 0
	s_add_co_i32 s15, s18, 1
	s_cmp_lt_u32 s18, 2
	s_cselect_b32 s18, -1, 0
	s_wait_alu 0xfffe
	s_and_b32 s12, s12, s18
	s_mov_b32 s18, s15
	s_and_b32 vcc_lo, exec_lo, s12
	s_wait_alu 0xfffe
	s_cbranch_vccz .LBB164_41
.LBB164_23:                             ;   Parent Loop BB164_4 Depth=1
                                        ; =>  This Loop Header: Depth=2
                                        ;       Child Loop BB164_26 Depth 3
                                        ;         Child Loop BB164_27 Depth 4
                                        ;         Child Loop BB164_30 Depth 4
                                        ;           Child Loop BB164_31 Depth 5
                                        ;         Child Loop BB164_35 Depth 4
                                        ;           Child Loop BB164_37 Depth 5
	s_mov_b32 s19, s13
	s_getpc_b64 s[20:21]
	s_wait_alu 0xfffe
	s_sext_i32_i16 s21, s21
	s_add_co_u32 s20, s20, __const._ZL30rocblas_trsm_small_left_deviceILi28ELi28ELb0E19rocblas_complex_numIfES1_PKPKS1_PKPS1_Ev13rocblas_fill_18rocblas_operation_17rocblas_diagonal_iiT3_T4_lilT5_lili.step_sizes@rel32@lo+12
	s_wait_alu 0xfffe
	s_add_co_ci_u32 s21, s21, __const._ZL30rocblas_trsm_small_left_deviceILi28ELi28ELb0E19rocblas_complex_numIfES1_PKPKS1_PKPS1_Ev13rocblas_fill_18rocblas_operation_17rocblas_diagonal_iiT3_T4_lilT5_lili.step_sizes@rel32@hi+24
	s_lshl_b64 s[22:23], s[18:19], 2
	s_wait_alu 0xfffe
	s_add_nc_u64 s[20:21], s[20:21], s[22:23]
	s_load_b32 s20, s[20:21], 0x0
	s_wait_kmcnt 0x0
	s_add_co_i32 s19, s20, -1
	s_wait_alu 0xfffe
	s_add_co_i32 s12, s19, s14
	s_delay_alu instid0(SALU_CYCLE_1)
	s_cmp_ge_i32 s12, s28
	s_cbranch_scc1 .LBB164_22
; %bb.24:                               ;   in Loop: Header=BB164_23 Depth=2
	s_ashr_i32 s15, s14, 31
	s_ashr_i32 s21, s20, 31
	s_lshl_b64 s[22:23], s[14:15], 3
	s_max_i32 s38, s20, 1
	s_wait_alu 0xfffe
	v_add_co_u32 v6, vcc_lo, v18, s22
	s_wait_alu 0xfffd
	v_add_co_ci_u32_e64 v7, null, s23, v19, vcc_lo
	s_lshl_b64 s[22:23], s[20:21], 3
	s_mul_i32 s15, s14, 0xe0
	s_mul_i32 s21, s20, 0xe0
	;; [unrolled: 1-line block ×4, first 2 shown]
	s_branch .LBB164_26
.LBB164_25:                             ;   in Loop: Header=BB164_26 Depth=3
	v_add_co_u32 v6, vcc_lo, v6, s22
	s_add_co_i32 s14, s14, s20
	s_wait_alu 0xfffd
	v_add_co_ci_u32_e64 v7, null, s23, v7, vcc_lo
	s_add_co_i32 s12, s19, s14
	s_add_co_i32 s15, s15, s21
	;; [unrolled: 1-line block ×3, first 2 shown]
	s_cmp_ge_i32 s12, s28
	s_cbranch_scc1 .LBB164_22
.LBB164_26:                             ;   Parent Loop BB164_4 Depth=1
                                        ;     Parent Loop BB164_23 Depth=2
                                        ; =>    This Loop Header: Depth=3
                                        ;         Child Loop BB164_27 Depth 4
                                        ;         Child Loop BB164_30 Depth 4
                                        ;           Child Loop BB164_31 Depth 5
                                        ;         Child Loop BB164_35 Depth 4
                                        ;           Child Loop BB164_37 Depth 5
	v_dual_mov_b32 v9, v7 :: v_dual_mov_b32 v8, v6
	s_mov_b32 s12, 4
	s_mov_b32 s24, s38
.LBB164_27:                             ;   Parent Loop BB164_4 Depth=1
                                        ;     Parent Loop BB164_23 Depth=2
                                        ;       Parent Loop BB164_26 Depth=3
                                        ; =>      This Inner Loop Header: Depth=4
	flat_load_b64 v[20:21], v[8:9] offset:-4
	v_add_co_u32 v8, vcc_lo, v8, 8
	s_wait_alu 0xfffd
	v_add_co_ci_u32_e64 v9, null, 0, v9, vcc_lo
	s_wait_alu 0xfffe
	s_add_co_i32 s24, s24, -1
	s_mov_b32 s25, s12
	s_add_co_i32 s12, s12, 8
	s_wait_alu 0xfffe
	s_cmp_eq_u32 s24, 0
	s_wait_loadcnt_dscnt 0x0
	v_mul_f32_e32 v22, s16, v21
	s_delay_alu instid0(VALU_DEP_1) | instskip(NEXT) | instid1(VALU_DEP_1)
	v_dual_mul_f32 v23, s17, v21 :: v_dual_fmac_f32 v22, s17, v20
	v_fma_f32 v21, v20, s16, -v23
	scratch_store_b64 off, v[21:22], s25 offset:-4
	s_cbranch_scc0 .LBB164_27
; %bb.28:                               ;   in Loop: Header=BB164_26 Depth=3
	s_cmp_lt_i32 s14, 1
	s_cbranch_scc1 .LBB164_33
; %bb.29:                               ;   in Loop: Header=BB164_26 Depth=3
	s_mov_b32 s12, 0
	s_mov_b32 s24, s15
.LBB164_30:                             ;   Parent Loop BB164_4 Depth=1
                                        ;     Parent Loop BB164_23 Depth=2
                                        ;       Parent Loop BB164_26 Depth=3
                                        ; =>      This Loop Header: Depth=4
                                        ;           Child Loop BB164_31 Depth 5
	s_lshl_b64 s[42:43], s[12:13], 3
	s_mov_b32 s25, s33
	s_wait_alu 0xfffe
	v_add_co_u32 v8, vcc_lo, v16, s42
	s_wait_alu 0xfffd
	v_add_co_ci_u32_e64 v9, null, s43, v17, vcc_lo
	s_mov_b32 s41, s24
	s_mov_b32 s42, s38
	flat_load_b64 v[8:9], v[8:9]
.LBB164_31:                             ;   Parent Loop BB164_4 Depth=1
                                        ;     Parent Loop BB164_23 Depth=2
                                        ;       Parent Loop BB164_26 Depth=3
                                        ;         Parent Loop BB164_30 Depth=4
                                        ; =>        This Inner Loop Header: Depth=5
	scratch_load_b64 v[20:21], off, s25 offset:-4
	s_wait_alu 0xfffe
	v_mov_b32_e32 v22, s41
	s_add_co_i32 s42, s42, -1
	s_addk_co_i32 s41, 0xe0
	ds_load_b64 v[22:23], v22
	s_wait_loadcnt_dscnt 0x100
	v_mul_f32_e32 v24, v23, v9
	v_mul_f32_e32 v23, v23, v8
	s_delay_alu instid0(VALU_DEP_1) | instskip(SKIP_1) | instid1(VALU_DEP_1)
	v_fmac_f32_e32 v23, v22, v9
	s_wait_loadcnt 0x0
	v_sub_f32_e32 v21, v21, v23
	v_fma_f32 v24, v22, v8, -v24
	s_delay_alu instid0(VALU_DEP_1)
	v_sub_f32_e32 v20, v20, v24
	scratch_store_b64 off, v[20:21], s25 offset:-4
	s_add_co_i32 s25, s25, 8
	s_wait_alu 0xfffe
	s_cmp_eq_u32 s42, 0
	s_cbranch_scc0 .LBB164_31
; %bb.32:                               ;   in Loop: Header=BB164_30 Depth=4
	s_add_co_i32 s12, s12, 1
	s_add_co_i32 s24, s24, 8
	s_cmp_eq_u32 s12, s14
	s_cbranch_scc0 .LBB164_30
.LBB164_33:                             ;   in Loop: Header=BB164_26 Depth=3
	s_mov_b32 s12, 0
	s_mov_b32 s41, s39
	s_branch .LBB164_35
.LBB164_34:                             ;   in Loop: Header=BB164_35 Depth=4
	s_wait_alu 0xfffe
	s_mul_i32 s25, s24, 0xe8
	s_lshl_b32 s42, s12, 3
	s_wait_alu 0xfffe
	v_mov_b32_e32 v20, s25
	s_ashr_i32 s25, s24, 31
	s_add_co_i32 s12, s12, 1
	s_wait_alu 0xfffe
	s_lshl_b64 s[24:25], s[24:25], 3
	s_addk_co_i32 s41, 0xe0
	ds_load_b64 v[20:21], v20
	s_cmp_eq_u32 s12, s38
	s_wait_loadcnt_dscnt 0x0
	v_mul_f32_e32 v22, v21, v9
	v_mul_f32_e32 v23, v20, v9
	s_delay_alu instid0(VALU_DEP_2) | instskip(NEXT) | instid1(VALU_DEP_2)
	v_fma_f32 v22, v20, v8, -v22
	v_fmac_f32_e32 v23, v21, v8
	s_wait_alu 0xfffe
	v_add_co_u32 v8, vcc_lo, v16, s24
	s_wait_alu 0xfffd
	v_add_co_ci_u32_e64 v9, null, s25, v17, vcc_lo
	scratch_store_b64 off, v[22:23], s42
	flat_store_b64 v[8:9], v[22:23]
	s_cbranch_scc1 .LBB164_25
.LBB164_35:                             ;   Parent Loop BB164_4 Depth=1
                                        ;     Parent Loop BB164_23 Depth=2
                                        ;       Parent Loop BB164_26 Depth=3
                                        ; =>      This Loop Header: Depth=4
                                        ;           Child Loop BB164_37 Depth 5
	s_cmp_lg_u32 s12, 0
	s_cbranch_scc0 .LBB164_39
; %bb.36:                               ;   in Loop: Header=BB164_35 Depth=4
	s_lshl_b32 s25, s12, 3
	s_add_co_i32 s24, s12, s14
	scratch_load_b64 v[8:9], off, s25
	s_mov_b32 s42, 0
	s_wait_alu 0xfffe
	s_mov_b32 s43, s41
	s_mov_b32 s44, s12
.LBB164_37:                             ;   Parent Loop BB164_4 Depth=1
                                        ;     Parent Loop BB164_23 Depth=2
                                        ;       Parent Loop BB164_26 Depth=3
                                        ;         Parent Loop BB164_35 Depth=4
                                        ; =>        This Inner Loop Header: Depth=5
	scratch_load_b64 v[20:21], off, s42
	s_wait_alu 0xfffe
	v_mov_b32_e32 v22, s43
	s_add_co_i32 s44, s44, -1
	s_add_co_i32 s42, s42, 8
	s_add_co_i32 s43, s43, 8
	s_cmp_eq_u32 s44, 0
	ds_load_b64 v[22:23], v22
	s_wait_loadcnt_dscnt 0x0
	v_mul_f32_e32 v24, v23, v21
	v_mul_f32_e32 v21, v22, v21
	s_delay_alu instid0(VALU_DEP_2) | instskip(NEXT) | instid1(VALU_DEP_1)
	v_fma_f32 v22, v22, v20, -v24
	v_dual_sub_f32 v8, v8, v22 :: v_dual_fmac_f32 v21, v23, v20
	s_delay_alu instid0(VALU_DEP_1)
	v_sub_f32_e32 v9, v9, v21
	scratch_store_b64 off, v[8:9], s25
	s_cbranch_scc0 .LBB164_37
; %bb.38:                               ;   in Loop: Header=BB164_35 Depth=4
	s_branch .LBB164_34
.LBB164_39:                             ;   in Loop: Header=BB164_35 Depth=4
                                        ; implicit-def: $vgpr8
                                        ; implicit-def: $sgpr24
	s_cbranch_execz .LBB164_34
; %bb.40:                               ;   in Loop: Header=BB164_35 Depth=4
	scratch_load_b64 v[8:9], off, off
	s_mov_b32 s24, s14
	s_branch .LBB164_34
.LBB164_41:                             ;   in Loop: Header=BB164_4 Depth=1
	s_mov_b32 s12, 0
.LBB164_42:                             ;   in Loop: Header=BB164_4 Depth=1
	s_delay_alu instid0(SALU_CYCLE_1)
	s_and_b32 vcc_lo, exec_lo, s12
	s_wait_alu 0xfffe
	s_cbranch_vccz .LBB164_2
; %bb.43:                               ;   in Loop: Header=BB164_4 Depth=1
	v_add_co_u32 v6, vcc_lo, v4, v14
	s_wait_alu 0xfffd
	v_add_co_ci_u32_e64 v7, null, v5, v13, vcc_lo
	s_mov_b32 s12, 0
	s_mov_b32 s14, s29
	s_branch .LBB164_45
.LBB164_44:                             ;   in Loop: Header=BB164_45 Depth=2
	s_cmp_gt_i32 s14, -1
	s_cselect_b32 s15, -1, 0
	s_add_co_i32 s18, s12, 1
	s_cmp_lt_u32 s12, 2
	s_cselect_b32 s12, -1, 0
	s_delay_alu instid0(SALU_CYCLE_1) | instskip(NEXT) | instid1(SALU_CYCLE_1)
	s_and_b32 s12, s15, s12
	s_and_not1_b32 vcc_lo, exec_lo, s12
	s_wait_alu 0xfffe
	s_mov_b32 s12, s18
	s_cbranch_vccnz .LBB164_2
.LBB164_45:                             ;   Parent Loop BB164_4 Depth=1
                                        ; =>  This Loop Header: Depth=2
                                        ;       Child Loop BB164_48 Depth 3
                                        ;         Child Loop BB164_49 Depth 4
                                        ;         Child Loop BB164_51 Depth 4
                                        ;           Child Loop BB164_52 Depth 5
                                        ;         Child Loop BB164_56 Depth 4
                                        ;           Child Loop BB164_58 Depth 5
	s_getpc_b64 s[18:19]
	s_wait_alu 0xfffe
	s_sext_i32_i16 s19, s19
	s_add_co_u32 s18, s18, __const._ZL30rocblas_trsm_small_left_deviceILi28ELi28ELb0E19rocblas_complex_numIfES1_PKPKS1_PKPS1_Ev13rocblas_fill_18rocblas_operation_17rocblas_diagonal_iiT3_T4_lilT5_lili.step_sizes@rel32@lo+12
	s_wait_alu 0xfffe
	s_add_co_ci_u32 s19, s19, __const._ZL30rocblas_trsm_small_left_deviceILi28ELi28ELb0E19rocblas_complex_numIfES1_PKPKS1_PKPS1_Ev13rocblas_fill_18rocblas_operation_17rocblas_diagonal_iiT3_T4_lilT5_lili.step_sizes@rel32@hi+24
	s_lshl_b64 s[20:21], s[12:13], 2
	s_wait_alu 0xfffe
	s_add_nc_u64 s[18:19], s[18:19], s[20:21]
	s_load_b32 s22, s[18:19], 0x0
	s_wait_kmcnt 0x0
	s_add_co_i32 s23, s22, -1
	s_wait_alu 0xfffe
	s_cmp_lt_i32 s14, s23
	s_cbranch_scc1 .LBB164_44
; %bb.46:                               ;   in Loop: Header=BB164_45 Depth=2
	s_lshl_b32 s15, s14, 3
	s_lshl_b32 s18, s22, 3
	s_max_i32 s24, s22, 1
	s_add_co_i32 s25, s34, s15
	s_wait_alu 0xfffe
	s_sub_co_i32 s38, 0, s18
	s_mul_i32 s39, s14, 0xe8
	s_mul_i32 s40, s22, 0xffffff18
	s_branch .LBB164_48
.LBB164_47:                             ;   in Loop: Header=BB164_48 Depth=3
	s_sub_co_i32 s14, s14, s22
	s_add_co_i32 s25, s25, s38
	s_add_co_i32 s39, s39, s40
	s_cmp_lt_i32 s14, s23
	s_cbranch_scc1 .LBB164_44
.LBB164_48:                             ;   Parent Loop BB164_4 Depth=1
                                        ;     Parent Loop BB164_45 Depth=2
                                        ; =>    This Loop Header: Depth=3
                                        ;         Child Loop BB164_49 Depth 4
                                        ;         Child Loop BB164_51 Depth 4
                                        ;           Child Loop BB164_52 Depth 5
                                        ;         Child Loop BB164_56 Depth 4
                                        ;           Child Loop BB164_58 Depth 5
	s_ashr_i32 s15, s14, 31
	s_delay_alu instid0(SALU_CYCLE_1)
	s_lshl_b64 s[18:19], s[14:15], 3
	s_wait_alu 0xfffe
	v_add_co_u32 v4, vcc_lo, v6, s18
	s_wait_alu 0xfffd
	v_add_co_ci_u32_e64 v5, null, s19, v7, vcc_lo
	s_mov_b32 s18, 4
	s_mov_b32 s19, s24
.LBB164_49:                             ;   Parent Loop BB164_4 Depth=1
                                        ;     Parent Loop BB164_45 Depth=2
                                        ;       Parent Loop BB164_48 Depth=3
                                        ; =>      This Inner Loop Header: Depth=4
	flat_load_b64 v[8:9], v[4:5] offset:-4
	v_add_co_u32 v4, vcc_lo, v4, -8
	s_wait_alu 0xfffd
	v_add_co_ci_u32_e64 v5, null, -1, v5, vcc_lo
	s_wait_alu 0xfffe
	s_add_co_i32 s19, s19, -1
	s_mov_b32 s20, s18
	s_add_co_i32 s18, s18, 8
	s_wait_alu 0xfffe
	s_cmp_eq_u32 s19, 0
	s_wait_loadcnt_dscnt 0x0
	v_mul_f32_e32 v19, s16, v9
	s_delay_alu instid0(VALU_DEP_1) | instskip(NEXT) | instid1(VALU_DEP_1)
	v_dual_mul_f32 v18, s17, v9 :: v_dual_fmac_f32 v19, s17, v8
	v_fma_f32 v18, v8, s16, -v18
	scratch_store_b64 off, v[18:19], s20 offset:-4
	s_cbranch_scc0 .LBB164_49
; %bb.50:                               ;   in Loop: Header=BB164_48 Depth=3
	s_cmp_le_i32 s29, s14
	s_mov_b32 s20, s25
	s_mov_b32 s18, s29
	s_cbranch_scc1 .LBB164_54
.LBB164_51:                             ;   Parent Loop BB164_4 Depth=1
                                        ;     Parent Loop BB164_45 Depth=2
                                        ;       Parent Loop BB164_48 Depth=3
                                        ; =>      This Loop Header: Depth=4
                                        ;           Child Loop BB164_52 Depth 5
	s_wait_alu 0xfffe
	s_ashr_i32 s19, s18, 31
	s_mov_b32 s21, s20
	s_wait_alu 0xfffe
	s_lshl_b64 s[42:43], s[18:19], 3
	s_mov_b32 s19, s33
	s_wait_alu 0xfffe
	v_add_co_u32 v4, vcc_lo, v16, s42
	s_wait_alu 0xfffd
	v_add_co_ci_u32_e64 v5, null, s43, v17, vcc_lo
	s_mov_b32 s41, s24
	flat_load_b64 v[4:5], v[4:5]
.LBB164_52:                             ;   Parent Loop BB164_4 Depth=1
                                        ;     Parent Loop BB164_45 Depth=2
                                        ;       Parent Loop BB164_48 Depth=3
                                        ;         Parent Loop BB164_51 Depth=4
                                        ; =>        This Inner Loop Header: Depth=5
	scratch_load_b64 v[8:9], off, s19 offset:-4
	v_mov_b32_e32 v18, s21
	s_wait_alu 0xfffe
	s_add_co_i32 s41, s41, -1
	s_add_co_i32 s21, s21, -8
	ds_load_b64 v[18:19], v18
	s_wait_loadcnt_dscnt 0x100
	v_mul_f32_e32 v20, v19, v5
	v_mul_f32_e32 v19, v19, v4
	s_delay_alu instid0(VALU_DEP_1) | instskip(SKIP_1) | instid1(VALU_DEP_1)
	v_fmac_f32_e32 v19, v18, v5
	s_wait_loadcnt 0x0
	v_sub_f32_e32 v9, v9, v19
	v_fma_f32 v20, v18, v4, -v20
	s_delay_alu instid0(VALU_DEP_1)
	v_sub_f32_e32 v8, v8, v20
	scratch_store_b64 off, v[8:9], s19 offset:-4
	s_add_co_i32 s19, s19, 8
	s_wait_alu 0xfffe
	s_cmp_eq_u32 s41, 0
	s_cbranch_scc0 .LBB164_52
; %bb.53:                               ;   in Loop: Header=BB164_51 Depth=4
	s_add_co_i32 s18, s18, -1
	s_addk_co_i32 s20, 0xff20
	s_wait_alu 0xfffe
	s_cmp_le_i32 s18, s14
	s_cbranch_scc0 .LBB164_51
.LBB164_54:                             ;   in Loop: Header=BB164_48 Depth=3
	s_mov_b32 s41, 0
	s_mov_b32 s42, s39
	s_branch .LBB164_56
.LBB164_55:                             ;   in Loop: Header=BB164_56 Depth=4
	s_wait_alu 0xfffe
	s_mulk_i32 s20, 0xe8
	s_lshl_b64 s[18:19], s[18:19], 3
	s_wait_alu 0xfffe
	v_mov_b32_e32 v8, s20
	s_lshl_b32 s20, s41, 3
	s_add_co_i32 s41, s41, 1
	s_add_co_i32 s42, s42, -8
	s_wait_alu 0xfffe
	s_cmp_eq_u32 s41, s24
	ds_load_b64 v[8:9], v8
	s_wait_loadcnt_dscnt 0x0
	v_mul_f32_e32 v18, v9, v5
	v_mul_f32_e32 v19, v8, v5
	s_delay_alu instid0(VALU_DEP_2) | instskip(NEXT) | instid1(VALU_DEP_2)
	v_fma_f32 v18, v8, v4, -v18
	v_fmac_f32_e32 v19, v9, v4
	v_add_co_u32 v4, vcc_lo, v16, s18
	s_wait_alu 0xfffd
	v_add_co_ci_u32_e64 v5, null, s19, v17, vcc_lo
	scratch_store_b64 off, v[18:19], s20
	flat_store_b64 v[4:5], v[18:19]
	s_cbranch_scc1 .LBB164_47
.LBB164_56:                             ;   Parent Loop BB164_4 Depth=1
                                        ;     Parent Loop BB164_45 Depth=2
                                        ;       Parent Loop BB164_48 Depth=3
                                        ; =>      This Loop Header: Depth=4
                                        ;           Child Loop BB164_58 Depth 5
	s_wait_alu 0xfffe
	s_cmp_lg_u32 s41, 0
	s_cbranch_scc0 .LBB164_60
; %bb.57:                               ;   in Loop: Header=BB164_56 Depth=4
	s_lshl_b32 s18, s41, 3
	s_mov_b32 s19, 0
	scratch_load_b64 v[4:5], off, s18
	s_mov_b32 s20, s42
	s_mov_b32 s21, s41
.LBB164_58:                             ;   Parent Loop BB164_4 Depth=1
                                        ;     Parent Loop BB164_45 Depth=2
                                        ;       Parent Loop BB164_48 Depth=3
                                        ;         Parent Loop BB164_56 Depth=4
                                        ; =>        This Inner Loop Header: Depth=5
	scratch_load_b64 v[8:9], off, s19
	s_wait_alu 0xfffe
	v_mov_b32_e32 v18, s20
	s_add_co_i32 s21, s21, -1
	s_addk_co_i32 s20, 0xff20
	s_add_co_i32 s19, s19, 8
	s_wait_alu 0xfffe
	s_cmp_eq_u32 s21, 0
	ds_load_b64 v[18:19], v18
	s_wait_loadcnt_dscnt 0x0
	v_mul_f32_e32 v20, v19, v9
	v_mul_f32_e32 v9, v18, v9
	s_delay_alu instid0(VALU_DEP_2) | instskip(NEXT) | instid1(VALU_DEP_1)
	v_fma_f32 v18, v18, v8, -v20
	v_dual_sub_f32 v4, v4, v18 :: v_dual_fmac_f32 v9, v19, v8
	s_delay_alu instid0(VALU_DEP_1)
	v_sub_f32_e32 v5, v5, v9
	scratch_store_b64 off, v[4:5], s18
	s_cbranch_scc0 .LBB164_58
; %bb.59:                               ;   in Loop: Header=BB164_56 Depth=4
	s_sub_co_i32 s20, s14, s41
	s_wait_alu 0xfffe
	s_ashr_i32 s21, s20, 31
	s_wait_alu 0xfffe
	s_mov_b64 s[18:19], s[20:21]
	s_branch .LBB164_55
.LBB164_60:                             ;   in Loop: Header=BB164_56 Depth=4
                                        ; implicit-def: $vgpr4
                                        ; implicit-def: $sgpr20
                                        ; implicit-def: $sgpr18_sgpr19
	s_cbranch_execz .LBB164_55
; %bb.61:                               ;   in Loop: Header=BB164_56 Depth=4
	scratch_load_b64 v[4:5], off, off
	s_mov_b64 s[18:19], s[14:15]
	s_mov_b32 s20, s14
	s_branch .LBB164_55
.LBB164_62:
	s_or_b32 exec_lo, exec_lo, s35
	s_and_saveexec_b32 s0, s36
	s_wait_alu 0xfffe
	s_xor_b32 s0, exec_lo, s0
.LBB164_63:
	s_endpgm
	.section	.rodata,"a",@progbits
	.p2align	6, 0x0
	.amdhsa_kernel _ZL30rocblas_trsm_small_left_deviceILi28ELi28ELb0E19rocblas_complex_numIfES1_PKPKS1_PKPS1_Ev13rocblas_fill_18rocblas_operation_17rocblas_diagonal_iiT3_T4_lilT5_lili
		.amdhsa_group_segment_fixed_size 6272
		.amdhsa_private_segment_fixed_size 240
		.amdhsa_kernarg_size 360
		.amdhsa_user_sgpr_count 2
		.amdhsa_user_sgpr_dispatch_ptr 0
		.amdhsa_user_sgpr_queue_ptr 0
		.amdhsa_user_sgpr_kernarg_segment_ptr 1
		.amdhsa_user_sgpr_dispatch_id 0
		.amdhsa_user_sgpr_private_segment_size 0
		.amdhsa_wavefront_size32 1
		.amdhsa_uses_dynamic_stack 0
		.amdhsa_enable_private_segment 1
		.amdhsa_system_sgpr_workgroup_id_x 1
		.amdhsa_system_sgpr_workgroup_id_y 0
		.amdhsa_system_sgpr_workgroup_id_z 1
		.amdhsa_system_sgpr_workgroup_info 0
		.amdhsa_system_vgpr_workitem_id 0
		.amdhsa_next_free_vgpr 241
		.amdhsa_next_free_sgpr 45
		.amdhsa_reserve_vcc 1
		.amdhsa_float_round_mode_32 0
		.amdhsa_float_round_mode_16_64 0
		.amdhsa_float_denorm_mode_32 3
		.amdhsa_float_denorm_mode_16_64 3
		.amdhsa_fp16_overflow 0
		.amdhsa_workgroup_processor_mode 1
		.amdhsa_memory_ordered 1
		.amdhsa_forward_progress 1
		.amdhsa_inst_pref_size 25
		.amdhsa_round_robin_scheduling 0
		.amdhsa_exception_fp_ieee_invalid_op 0
		.amdhsa_exception_fp_denorm_src 0
		.amdhsa_exception_fp_ieee_div_zero 0
		.amdhsa_exception_fp_ieee_overflow 0
		.amdhsa_exception_fp_ieee_underflow 0
		.amdhsa_exception_fp_ieee_inexact 0
		.amdhsa_exception_int_div_zero 0
	.end_amdhsa_kernel
	.section	.text._ZL30rocblas_trsm_small_left_deviceILi28ELi28ELb0E19rocblas_complex_numIfES1_PKPKS1_PKPS1_Ev13rocblas_fill_18rocblas_operation_17rocblas_diagonal_iiT3_T4_lilT5_lili,"axG",@progbits,_ZL30rocblas_trsm_small_left_deviceILi28ELi28ELb0E19rocblas_complex_numIfES1_PKPKS1_PKPS1_Ev13rocblas_fill_18rocblas_operation_17rocblas_diagonal_iiT3_T4_lilT5_lili,comdat
.Lfunc_end164:
	.size	_ZL30rocblas_trsm_small_left_deviceILi28ELi28ELb0E19rocblas_complex_numIfES1_PKPKS1_PKPS1_Ev13rocblas_fill_18rocblas_operation_17rocblas_diagonal_iiT3_T4_lilT5_lili, .Lfunc_end164-_ZL30rocblas_trsm_small_left_deviceILi28ELi28ELb0E19rocblas_complex_numIfES1_PKPKS1_PKPS1_Ev13rocblas_fill_18rocblas_operation_17rocblas_diagonal_iiT3_T4_lilT5_lili
                                        ; -- End function
	.set _ZL30rocblas_trsm_small_left_deviceILi28ELi28ELb0E19rocblas_complex_numIfES1_PKPKS1_PKPS1_Ev13rocblas_fill_18rocblas_operation_17rocblas_diagonal_iiT3_T4_lilT5_lili.num_vgpr, 25
	.set _ZL30rocblas_trsm_small_left_deviceILi28ELi28ELb0E19rocblas_complex_numIfES1_PKPKS1_PKPS1_Ev13rocblas_fill_18rocblas_operation_17rocblas_diagonal_iiT3_T4_lilT5_lili.num_agpr, 0
	.set _ZL30rocblas_trsm_small_left_deviceILi28ELi28ELb0E19rocblas_complex_numIfES1_PKPKS1_PKPS1_Ev13rocblas_fill_18rocblas_operation_17rocblas_diagonal_iiT3_T4_lilT5_lili.numbered_sgpr, 45
	.set _ZL30rocblas_trsm_small_left_deviceILi28ELi28ELb0E19rocblas_complex_numIfES1_PKPKS1_PKPS1_Ev13rocblas_fill_18rocblas_operation_17rocblas_diagonal_iiT3_T4_lilT5_lili.num_named_barrier, 0
	.set _ZL30rocblas_trsm_small_left_deviceILi28ELi28ELb0E19rocblas_complex_numIfES1_PKPKS1_PKPS1_Ev13rocblas_fill_18rocblas_operation_17rocblas_diagonal_iiT3_T4_lilT5_lili.private_seg_size, 240
	.set _ZL30rocblas_trsm_small_left_deviceILi28ELi28ELb0E19rocblas_complex_numIfES1_PKPKS1_PKPS1_Ev13rocblas_fill_18rocblas_operation_17rocblas_diagonal_iiT3_T4_lilT5_lili.uses_vcc, 1
	.set _ZL30rocblas_trsm_small_left_deviceILi28ELi28ELb0E19rocblas_complex_numIfES1_PKPKS1_PKPS1_Ev13rocblas_fill_18rocblas_operation_17rocblas_diagonal_iiT3_T4_lilT5_lili.uses_flat_scratch, 0
	.set _ZL30rocblas_trsm_small_left_deviceILi28ELi28ELb0E19rocblas_complex_numIfES1_PKPKS1_PKPS1_Ev13rocblas_fill_18rocblas_operation_17rocblas_diagonal_iiT3_T4_lilT5_lili.has_dyn_sized_stack, 0
	.set _ZL30rocblas_trsm_small_left_deviceILi28ELi28ELb0E19rocblas_complex_numIfES1_PKPKS1_PKPS1_Ev13rocblas_fill_18rocblas_operation_17rocblas_diagonal_iiT3_T4_lilT5_lili.has_recursion, 0
	.set _ZL30rocblas_trsm_small_left_deviceILi28ELi28ELb0E19rocblas_complex_numIfES1_PKPKS1_PKPS1_Ev13rocblas_fill_18rocblas_operation_17rocblas_diagonal_iiT3_T4_lilT5_lili.has_indirect_call, 0
	.section	.AMDGPU.csdata,"",@progbits
; Kernel info:
; codeLenInByte = 3120
; TotalNumSgprs: 47
; NumVgprs: 25
; ScratchSize: 240
; MemoryBound: 0
; FloatMode: 240
; IeeeMode: 1
; LDSByteSize: 6272 bytes/workgroup (compile time only)
; SGPRBlocks: 0
; VGPRBlocks: 30
; NumSGPRsForWavesPerEU: 47
; NumVGPRsForWavesPerEU: 241
; Occupancy: 5
; WaveLimiterHint : 1
; COMPUTE_PGM_RSRC2:SCRATCH_EN: 1
; COMPUTE_PGM_RSRC2:USER_SGPR: 2
; COMPUTE_PGM_RSRC2:TRAP_HANDLER: 0
; COMPUTE_PGM_RSRC2:TGID_X_EN: 1
; COMPUTE_PGM_RSRC2:TGID_Y_EN: 0
; COMPUTE_PGM_RSRC2:TGID_Z_EN: 1
; COMPUTE_PGM_RSRC2:TIDIG_COMP_CNT: 0
	.section	.text._ZL38rocblas_trsm_small_left_device_sharedBILi28ELi28ELb1E19rocblas_complex_numIfES1_PKPKS1_PKPS1_Ev13rocblas_fill_18rocblas_operation_17rocblas_diagonal_iiT3_T4_lilT5_lili,"axG",@progbits,_ZL38rocblas_trsm_small_left_device_sharedBILi28ELi28ELb1E19rocblas_complex_numIfES1_PKPKS1_PKPS1_Ev13rocblas_fill_18rocblas_operation_17rocblas_diagonal_iiT3_T4_lilT5_lili,comdat
	.globl	_ZL38rocblas_trsm_small_left_device_sharedBILi28ELi28ELb1E19rocblas_complex_numIfES1_PKPKS1_PKPS1_Ev13rocblas_fill_18rocblas_operation_17rocblas_diagonal_iiT3_T4_lilT5_lili ; -- Begin function _ZL38rocblas_trsm_small_left_device_sharedBILi28ELi28ELb1E19rocblas_complex_numIfES1_PKPKS1_PKPS1_Ev13rocblas_fill_18rocblas_operation_17rocblas_diagonal_iiT3_T4_lilT5_lili
	.p2align	8
	.type	_ZL38rocblas_trsm_small_left_device_sharedBILi28ELi28ELb1E19rocblas_complex_numIfES1_PKPKS1_PKPS1_Ev13rocblas_fill_18rocblas_operation_17rocblas_diagonal_iiT3_T4_lilT5_lili,@function
_ZL38rocblas_trsm_small_left_device_sharedBILi28ELi28ELb1E19rocblas_complex_numIfES1_PKPKS1_PKPS1_Ev13rocblas_fill_18rocblas_operation_17rocblas_diagonal_iiT3_T4_lilT5_lili: ; @_ZL38rocblas_trsm_small_left_device_sharedBILi28ELi28ELb1E19rocblas_complex_numIfES1_PKPKS1_PKPS1_Ev13rocblas_fill_18rocblas_operation_17rocblas_diagonal_iiT3_T4_lilT5_lili
; %bb.0:
	s_load_b32 s22, s[0:1], 0x60
	s_lshr_b32 s2, ttmp7, 16
	s_wait_kmcnt 0x0
	s_cmp_ge_u32 s2, s22
	s_cbranch_scc1 .LBB165_66
; %bb.1:
	s_clause 0x6
	s_load_b32 s20, s[0:1], 0x30
	s_load_b32 s28, s[0:1], 0x50
	s_load_b128 s[12:15], s[0:1], 0x4
	s_load_b32 s3, s[0:1], 0x68
	s_load_b128 s[4:7], s[0:1], 0x20
	s_load_b128 s[8:11], s[0:1], 0x40
	s_load_b64 s[16:17], s[0:1], 0x14
	s_mul_i32 s0, ttmp9, 0xffffffe4
	s_mul_i32 s30, ttmp9, 28
	v_lshlrev_b32_e32 v12, 3, v0
	v_mul_u32_u24_e32 v2, 0xe0, v0
	s_mov_b32 s19, 0
	s_wait_kmcnt 0x0
	s_ashr_i32 s21, s20, 31
	s_ashr_i32 s29, s28, 31
	s_cmp_lg_u32 s12, 0x71
	v_mad_co_i64_i32 v[4:5], null, s28, v0, 0
	s_cselect_b32 s1, -1, 0
	s_min_i32 s23, s14, 28
	s_add_co_i32 s3, s3, -1
	s_add_co_i32 s0, s15, s0
	s_add_co_i32 s24, s23, -1
	s_cmp_ge_u32 ttmp9, s3
	v_lshlrev_b64_e32 v[4:5], 3, v[4:5]
	s_cselect_b32 s3, s0, 28
	s_ashr_i32 s31, s30, 31
	s_cmp_lg_u32 s13, 0x84
	v_cmp_gt_i32_e64 s0, s23, v0
	s_cselect_b32 s25, -1, 0
	s_cmp_gt_i32 s14, 0
	v_cmp_gt_i32_e32 vcc_lo, s3, v0
	s_cselect_b32 s18, -1, 0
	s_cmp_lg_u32 s12, 0x6f
	s_mul_u64 s[14:15], s[28:29], s[30:31]
	s_cselect_b32 s26, -1, 0
	s_lshl_b64 s[12:13], s[30:31], 3
	s_and_b32 s27, vcc_lo, s18
	v_add_co_u32 v0, s3, s12, v12
	s_wait_alu 0xf1ff
	v_add_co_ci_u32_e64 v3, null, s13, 0, s3
	s_lshl_b64 s[12:13], s[6:7], 3
	s_lshl_b64 s[6:7], s[10:11], 3
	v_mul_lo_u32 v8, v0, s29
	v_mul_lo_u32 v9, v3, s28
	v_mad_co_u64_u32 v[6:7], null, v0, s28, s[6:7]
	v_mov_b32_e32 v3, 0
	s_wait_alu 0xfffe
	v_add_co_u32 v10, s3, s12, v12
	v_add_nc_u32_e32 v1, 0x1880, v12
	s_wait_alu 0xf1ff
	v_add_co_ci_u32_e64 v0, null, s13, 0, s3
	s_delay_alu instid0(VALU_DEP_3)
	v_or_b32_e32 v13, 4, v10
	v_add3_u32 v14, v9, v7, v8
	v_or_b32_e32 v15, 4, v6
	v_add_nc_u32_e32 v16, v12, v2
	v_mov_b32_e32 v2, 1.0
	s_lshl_b32 s3, s23, 3
	s_or_b32 s28, 0, 4
	s_lshl_b64 s[10:11], s[20:21], 3
	s_wait_alu 0xfffe
	s_add_co_i32 s20, s3, -8
	s_lshl_b64 s[12:13], s[14:15], 3
	s_branch .LBB165_3
.LBB165_2:                              ;   in Loop: Header=BB165_3 Depth=1
	s_wait_alu 0xfffe
	s_or_b32 exec_lo, exec_lo, s3
	s_add_co_i32 s2, s2, 0x10000
	s_wait_alu 0xfffe
	s_cmp_lt_u32 s2, s22
	s_cbranch_scc0 .LBB165_66
.LBB165_3:                              ; =>This Loop Header: Depth=1
                                        ;     Child Loop BB165_6 Depth 2
                                        ;     Child Loop BB165_20 Depth 2
	;; [unrolled: 1-line block ×3, first 2 shown]
                                        ;       Child Loop BB165_27 Depth 3
                                        ;         Child Loop BB165_28 Depth 4
                                        ;         Child Loop BB165_30 Depth 4
                                        ;           Child Loop BB165_31 Depth 5
                                        ;         Child Loop BB165_35 Depth 4
                                        ;           Child Loop BB165_37 Depth 5
                                        ;     Child Loop BB165_45 Depth 2
                                        ;       Child Loop BB165_48 Depth 3
                                        ;         Child Loop BB165_49 Depth 4
                                        ;         Child Loop BB165_52 Depth 4
                                        ;           Child Loop BB165_53 Depth 5
                                        ;         Child Loop BB165_57 Depth 4
                                        ;           Child Loop BB165_59 Depth 5
                                        ;     Child Loop BB165_65 Depth 2
	s_mov_b32 s3, s19
	s_wait_alu 0xfffe
	s_lshl_b64 s[14:15], s[2:3], 3
	s_delay_alu instid0(SALU_CYCLE_1)
	s_add_nc_u64 s[30:31], s[8:9], s[14:15]
	global_load_b64 v[6:7], v3, s[30:31]
	s_and_saveexec_b32 s3, s0
	s_cbranch_execz .LBB165_18
; %bb.4:                                ;   in Loop: Header=BB165_3 Depth=1
	s_add_nc_u64 s[14:15], s[4:5], s[14:15]
	v_mov_b32_e32 v17, v12
	global_load_b64 v[8:9], v3, s[14:15]
	s_mov_b32 s14, s23
	s_wait_loadcnt 0x0
	v_add_co_u32 v8, vcc_lo, v8, v13
	s_wait_alu 0xfffd
	v_add_co_ci_u32_e64 v9, null, v9, v0, vcc_lo
	s_branch .LBB165_6
.LBB165_5:                              ;   in Loop: Header=BB165_6 Depth=2
	flat_load_b32 v10, v[8:9] offset:-4
	v_add_co_u32 v8, vcc_lo, v8, s10
	s_wait_alu 0xfffd
	v_add_co_ci_u32_e64 v9, null, s11, v9, vcc_lo
	s_add_co_i32 s14, s14, -1
	s_delay_alu instid0(SALU_CYCLE_1)
	s_cmp_eq_u32 s14, 0
	s_wait_loadcnt_dscnt 0x0
	ds_store_b64 v17, v[10:11]
	v_add_nc_u32_e32 v17, 0xe0, v17
	s_cbranch_scc1 .LBB165_10
.LBB165_6:                              ;   Parent Loop BB165_3 Depth=1
                                        ; =>  This Inner Loop Header: Depth=2
	s_and_b32 vcc_lo, exec_lo, s1
	s_mov_b32 s15, -1
                                        ; implicit-def: $vgpr11
	s_wait_alu 0xfffe
	s_cbranch_vccz .LBB165_8
; %bb.7:                                ;   in Loop: Header=BB165_6 Depth=2
	flat_load_b32 v11, v[8:9]
	s_mov_b32 s15, 0
.LBB165_8:                              ;   in Loop: Header=BB165_6 Depth=2
	s_delay_alu instid0(SALU_CYCLE_1)
	s_and_not1_b32 vcc_lo, exec_lo, s15
	s_wait_alu 0xfffe
	s_cbranch_vccnz .LBB165_5
; %bb.9:                                ;   in Loop: Header=BB165_6 Depth=2
	flat_load_b32 v10, v[8:9]
	s_wait_loadcnt_dscnt 0x0
	v_xor_b32_e32 v11, 0x80000000, v10
	s_branch .LBB165_5
.LBB165_10:                             ;   in Loop: Header=BB165_3 Depth=1
	s_and_b32 vcc_lo, exec_lo, s25
	s_mov_b32 s14, -1
	s_wait_alu 0xfffe
	s_cbranch_vccz .LBB165_16
; %bb.11:                               ;   in Loop: Header=BB165_3 Depth=1
	ds_load_b64 v[8:9], v16
                                        ; implicit-def: $vgpr10
	s_wait_dscnt 0x0
	v_cmp_ngt_f32_e64 s14, |v8|, |v9|
	s_and_saveexec_b32 s15, s14
	s_delay_alu instid0(SALU_CYCLE_1)
	s_xor_b32 s14, exec_lo, s15
	s_cbranch_execz .LBB165_13
; %bb.12:                               ;   in Loop: Header=BB165_3 Depth=1
	v_div_scale_f32 v10, null, v9, v9, v8
	v_div_scale_f32 v18, vcc_lo, v8, v9, v8
	s_delay_alu instid0(VALU_DEP_2) | instskip(NEXT) | instid1(TRANS32_DEP_1)
	v_rcp_f32_e32 v11, v10
	v_fma_f32 v17, -v10, v11, 1.0
	s_delay_alu instid0(VALU_DEP_1) | instskip(NEXT) | instid1(VALU_DEP_1)
	v_fmac_f32_e32 v11, v17, v11
	v_mul_f32_e32 v17, v18, v11
	s_delay_alu instid0(VALU_DEP_1) | instskip(NEXT) | instid1(VALU_DEP_1)
	v_fma_f32 v19, -v10, v17, v18
	v_fmac_f32_e32 v17, v19, v11
	s_delay_alu instid0(VALU_DEP_1) | instskip(SKIP_1) | instid1(VALU_DEP_1)
	v_fma_f32 v10, -v10, v17, v18
	s_wait_alu 0xfffd
	v_div_fmas_f32 v10, v10, v11, v17
	s_delay_alu instid0(VALU_DEP_1) | instskip(NEXT) | instid1(VALU_DEP_1)
	v_div_fixup_f32 v10, v10, v9, v8
	v_fmac_f32_e32 v9, v8, v10
	s_delay_alu instid0(VALU_DEP_1) | instskip(SKIP_1) | instid1(VALU_DEP_2)
	v_div_scale_f32 v8, null, v9, v9, 1.0
	v_div_scale_f32 v18, vcc_lo, 1.0, v9, 1.0
	v_rcp_f32_e32 v11, v8
	s_delay_alu instid0(TRANS32_DEP_1) | instskip(NEXT) | instid1(VALU_DEP_1)
	v_fma_f32 v17, -v8, v11, 1.0
	v_fmac_f32_e32 v11, v17, v11
	s_delay_alu instid0(VALU_DEP_1) | instskip(NEXT) | instid1(VALU_DEP_1)
	v_mul_f32_e32 v17, v18, v11
	v_fma_f32 v19, -v8, v17, v18
	s_delay_alu instid0(VALU_DEP_1) | instskip(NEXT) | instid1(VALU_DEP_1)
	v_fmac_f32_e32 v17, v19, v11
	v_fma_f32 v8, -v8, v17, v18
	s_wait_alu 0xfffd
	s_delay_alu instid0(VALU_DEP_1) | instskip(SKIP_1) | instid1(VALU_DEP_2)
	v_div_fmas_f32 v8, v8, v11, v17
	v_add_f32_e32 v11, 0, v10
	v_div_fixup_f32 v8, v8, v9, 1.0
	v_fma_f32 v9, v10, 0, -1.0
	s_delay_alu instid0(VALU_DEP_2) | instskip(NEXT) | instid1(VALU_DEP_2)
	v_mul_f32_e32 v10, v11, v8
	v_mul_f32_e32 v11, v9, v8
                                        ; implicit-def: $vgpr8_vgpr9
.LBB165_13:                             ;   in Loop: Header=BB165_3 Depth=1
	s_and_not1_saveexec_b32 s14, s14
	s_cbranch_execz .LBB165_15
; %bb.14:                               ;   in Loop: Header=BB165_3 Depth=1
	v_div_scale_f32 v10, null, v8, v8, v9
	v_div_scale_f32 v18, vcc_lo, v9, v8, v9
	s_delay_alu instid0(VALU_DEP_2) | instskip(NEXT) | instid1(TRANS32_DEP_1)
	v_rcp_f32_e32 v11, v10
	v_fma_f32 v17, -v10, v11, 1.0
	s_delay_alu instid0(VALU_DEP_1) | instskip(NEXT) | instid1(VALU_DEP_1)
	v_fmac_f32_e32 v11, v17, v11
	v_mul_f32_e32 v17, v18, v11
	s_delay_alu instid0(VALU_DEP_1) | instskip(NEXT) | instid1(VALU_DEP_1)
	v_fma_f32 v19, -v10, v17, v18
	v_fmac_f32_e32 v17, v19, v11
	s_delay_alu instid0(VALU_DEP_1) | instskip(SKIP_1) | instid1(VALU_DEP_1)
	v_fma_f32 v10, -v10, v17, v18
	s_wait_alu 0xfffd
	v_div_fmas_f32 v10, v10, v11, v17
	s_delay_alu instid0(VALU_DEP_1) | instskip(NEXT) | instid1(VALU_DEP_1)
	v_div_fixup_f32 v11, v10, v8, v9
	v_fmac_f32_e32 v8, v9, v11
	s_delay_alu instid0(VALU_DEP_1) | instskip(SKIP_1) | instid1(VALU_DEP_2)
	v_div_scale_f32 v9, null, v8, v8, 1.0
	v_div_scale_f32 v18, vcc_lo, 1.0, v8, 1.0
	v_rcp_f32_e32 v10, v9
	s_delay_alu instid0(TRANS32_DEP_1) | instskip(NEXT) | instid1(VALU_DEP_1)
	v_fma_f32 v17, -v9, v10, 1.0
	v_fmac_f32_e32 v10, v17, v10
	s_delay_alu instid0(VALU_DEP_1) | instskip(NEXT) | instid1(VALU_DEP_1)
	v_mul_f32_e32 v17, v18, v10
	v_fma_f32 v19, -v9, v17, v18
	s_delay_alu instid0(VALU_DEP_1) | instskip(NEXT) | instid1(VALU_DEP_1)
	v_fmac_f32_e32 v17, v19, v10
	v_fma_f32 v9, -v9, v17, v18
	s_wait_alu 0xfffd
	s_delay_alu instid0(VALU_DEP_1) | instskip(SKIP_1) | instid1(VALU_DEP_2)
	v_div_fmas_f32 v9, v9, v10, v17
	v_fma_f32 v10, v11, 0, 1.0
	v_div_fixup_f32 v8, v9, v8, 1.0
	s_delay_alu instid0(VALU_DEP_1)
	v_mul_f32_e32 v10, v10, v8
	v_mul_f32_e64 v11, -v11, v8
.LBB165_15:                             ;   in Loop: Header=BB165_3 Depth=1
	s_or_b32 exec_lo, exec_lo, s14
	s_mov_b32 s14, 0
	ds_store_b64 v16, v[10:11]
.LBB165_16:                             ;   in Loop: Header=BB165_3 Depth=1
	s_and_b32 vcc_lo, exec_lo, s14
	s_wait_alu 0xfffe
	s_cbranch_vccz .LBB165_18
; %bb.17:                               ;   in Loop: Header=BB165_3 Depth=1
	ds_store_b64 v16, v[2:3]
.LBB165_18:                             ;   in Loop: Header=BB165_3 Depth=1
	s_wait_alu 0xfffe
	s_or_b32 exec_lo, exec_lo, s3
	s_and_saveexec_b32 s3, s27
	s_cbranch_execz .LBB165_21
; %bb.19:                               ;   in Loop: Header=BB165_3 Depth=1
	s_wait_loadcnt 0x0
	v_add_co_u32 v8, vcc_lo, v6, v15
	s_wait_alu 0xfffd
	v_add_co_ci_u32_e64 v9, null, v7, v14, vcc_lo
	v_mov_b32_e32 v10, v1
	s_mov_b32 s14, s23
.LBB165_20:                             ;   Parent Loop BB165_3 Depth=1
                                        ; =>  This Inner Loop Header: Depth=2
	flat_load_b64 v[17:18], v[8:9] offset:-4
	v_add_co_u32 v8, vcc_lo, v8, 8
	s_wait_alu 0xfffd
	v_add_co_ci_u32_e64 v9, null, 0, v9, vcc_lo
	s_add_co_i32 s14, s14, -1
	s_delay_alu instid0(SALU_CYCLE_1) | instskip(SKIP_3) | instid1(VALU_DEP_2)
	s_cmp_lg_u32 s14, 0
	s_wait_loadcnt_dscnt 0x0
	v_mul_f32_e32 v11, s17, v18
	v_mul_f32_e32 v19, s16, v18
	v_fma_f32 v18, s16, v17, -v11
	s_delay_alu instid0(VALU_DEP_2)
	v_fmac_f32_e32 v19, s17, v17
	ds_store_b64 v10, v[18:19]
	v_add_nc_u32_e32 v10, 0xe0, v10
	s_cbranch_scc1 .LBB165_20
.LBB165_21:                             ;   in Loop: Header=BB165_3 Depth=1
	s_wait_alu 0xfffe
	s_or_b32 exec_lo, exec_lo, s3
	s_delay_alu instid0(SALU_CYCLE_1)
	s_and_not1_b32 vcc_lo, exec_lo, s26
	s_mov_b32 s3, -1
	; wave barrier
	s_wait_loadcnt_dscnt 0x0
	global_inv scope:SCOPE_SE
	s_wait_alu 0xfffe
	s_cbranch_vccnz .LBB165_42
; %bb.22:                               ;   in Loop: Header=BB165_3 Depth=1
	s_mov_b32 s18, 0
	s_mov_b32 s3, s24
	s_branch .LBB165_24
.LBB165_23:                             ;   in Loop: Header=BB165_24 Depth=2
	s_cmp_gt_i32 s3, -1
	s_cselect_b32 s14, -1, 0
	s_add_co_i32 s15, s18, 1
	s_cmp_lt_u32 s18, 2
	s_cselect_b32 s18, -1, 0
	s_delay_alu instid0(SALU_CYCLE_1)
	s_and_b32 s14, s14, s18
	s_mov_b32 s18, s15
	s_and_b32 vcc_lo, exec_lo, s14
	s_wait_alu 0xfffe
	s_cbranch_vccz .LBB165_41
.LBB165_24:                             ;   Parent Loop BB165_3 Depth=1
                                        ; =>  This Loop Header: Depth=2
                                        ;       Child Loop BB165_27 Depth 3
                                        ;         Child Loop BB165_28 Depth 4
                                        ;         Child Loop BB165_30 Depth 4
                                        ;           Child Loop BB165_31 Depth 5
                                        ;         Child Loop BB165_35 Depth 4
                                        ;           Child Loop BB165_37 Depth 5
	s_getpc_b64 s[14:15]
	s_sext_i32_i16 s15, s15
	s_add_co_u32 s14, s14, __const._ZL38rocblas_trsm_small_left_device_sharedBILi28ELi28ELb1E19rocblas_complex_numIfES1_PKPKS1_PKPS1_Ev13rocblas_fill_18rocblas_operation_17rocblas_diagonal_iiT3_T4_lilT5_lili.step_sizes@rel32@lo+8
	s_add_co_ci_u32 s15, s15, __const._ZL38rocblas_trsm_small_left_device_sharedBILi28ELi28ELb1E19rocblas_complex_numIfES1_PKPKS1_PKPS1_Ev13rocblas_fill_18rocblas_operation_17rocblas_diagonal_iiT3_T4_lilT5_lili.step_sizes@rel32@hi+16
	s_lshl_b64 s[30:31], s[18:19], 2
	s_wait_alu 0xfffe
	s_add_nc_u64 s[14:15], s[14:15], s[30:31]
	s_load_b32 s14, s[14:15], 0x0
	s_wait_kmcnt 0x0
	s_add_co_i32 s15, s14, -1
	s_delay_alu instid0(SALU_CYCLE_1)
	s_cmp_lt_i32 s3, s15
	s_cbranch_scc1 .LBB165_23
; %bb.25:                               ;   in Loop: Header=BB165_24 Depth=2
	s_mul_i32 s30, s3, 0xe0
	s_max_i32 s21, s14, 1
	s_wait_alu 0xfffe
	v_add_nc_u32_e32 v10, s30, v1
	s_mul_i32 s29, s14, 0xffffff20
	s_add_co_i32 s30, s20, s30
	s_mul_i32 s31, s3, 0xe8
	s_mul_i32 s33, s14, 0xffffff18
	s_branch .LBB165_27
.LBB165_26:                             ;   in Loop: Header=BB165_27 Depth=3
	v_add_nc_u32_e32 v10, s29, v10
	s_sub_co_i32 s3, s3, s14
	s_add_co_i32 s30, s30, s29
	s_add_co_i32 s31, s31, s33
	s_wait_alu 0xfffe
	s_cmp_lt_i32 s3, s15
	s_cbranch_scc1 .LBB165_23
.LBB165_27:                             ;   Parent Loop BB165_3 Depth=1
                                        ;     Parent Loop BB165_24 Depth=2
                                        ; =>    This Loop Header: Depth=3
                                        ;         Child Loop BB165_28 Depth 4
                                        ;         Child Loop BB165_30 Depth 4
                                        ;           Child Loop BB165_31 Depth 5
                                        ;         Child Loop BB165_35 Depth 4
                                        ;           Child Loop BB165_37 Depth 5
	v_mov_b32_e32 v8, v10
	s_mov_b32 s34, 0
	s_mov_b32 s35, s21
.LBB165_28:                             ;   Parent Loop BB165_3 Depth=1
                                        ;     Parent Loop BB165_24 Depth=2
                                        ;       Parent Loop BB165_27 Depth=3
                                        ; =>      This Inner Loop Header: Depth=4
	ds_load_b64 v[17:18], v8
	v_add_nc_u32_e32 v8, 0xffffff20, v8
	s_wait_alu 0xfffe
	s_add_co_i32 s35, s35, -1
	s_wait_dscnt 0x0
	scratch_store_b64 off, v[17:18], s34
	s_add_co_i32 s34, s34, 8
	s_wait_alu 0xfffe
	s_cmp_eq_u32 s35, 0
	s_cbranch_scc0 .LBB165_28
; %bb.29:                               ;   in Loop: Header=BB165_27 Depth=3
	s_cmp_le_i32 s24, s3
	s_mov_b32 s34, s30
	s_mov_b32 s35, s24
	s_cbranch_scc1 .LBB165_33
.LBB165_30:                             ;   Parent Loop BB165_3 Depth=1
                                        ;     Parent Loop BB165_24 Depth=2
                                        ;       Parent Loop BB165_27 Depth=3
                                        ; =>      This Loop Header: Depth=4
                                        ;           Child Loop BB165_31 Depth 5
	s_wait_alu 0xfffe
	v_mad_co_u64_u32 v[8:9], null, 0xe0, s35, v[1:2]
	s_mov_b32 s36, s28
	s_mov_b32 s37, s34
	;; [unrolled: 1-line block ×3, first 2 shown]
	ds_load_b64 v[8:9], v8
.LBB165_31:                             ;   Parent Loop BB165_3 Depth=1
                                        ;     Parent Loop BB165_24 Depth=2
                                        ;       Parent Loop BB165_27 Depth=3
                                        ;         Parent Loop BB165_30 Depth=4
                                        ; =>        This Inner Loop Header: Depth=5
	scratch_load_b64 v[17:18], off, s36 offset:-4
	s_wait_alu 0xfffe
	v_mov_b32_e32 v11, s37
	s_add_co_i32 s38, s38, -1
	s_addk_co_i32 s37, 0xff20
	ds_load_b64 v[19:20], v11
	s_wait_dscnt 0x0
	v_mul_f32_e32 v11, v20, v9
	v_mul_f32_e32 v20, v20, v8
	s_delay_alu instid0(VALU_DEP_1) | instskip(SKIP_1) | instid1(VALU_DEP_1)
	v_fmac_f32_e32 v20, v19, v9
	s_wait_loadcnt 0x0
	v_sub_f32_e32 v18, v18, v20
	v_fma_f32 v11, v19, v8, -v11
	s_delay_alu instid0(VALU_DEP_1)
	v_sub_f32_e32 v17, v17, v11
	scratch_store_b64 off, v[17:18], s36 offset:-4
	s_add_co_i32 s36, s36, 8
	s_wait_alu 0xfffe
	s_cmp_eq_u32 s38, 0
	s_cbranch_scc0 .LBB165_31
; %bb.32:                               ;   in Loop: Header=BB165_30 Depth=4
	s_add_co_i32 s35, s35, -1
	s_add_co_i32 s34, s34, -8
	s_wait_alu 0xfffe
	s_cmp_le_i32 s35, s3
	s_cbranch_scc0 .LBB165_30
.LBB165_33:                             ;   in Loop: Header=BB165_27 Depth=3
	s_mul_i32 s34, s3, 0xe0
	s_mov_b32 s35, 0
	s_mov_b32 s36, s31
	s_branch .LBB165_35
.LBB165_34:                             ;   in Loop: Header=BB165_35 Depth=4
	s_wait_alu 0xfffe
	s_mulk_i32 s38, 0xe8
	s_addk_co_i32 s36, 0xff20
	s_wait_alu 0xfffe
	v_mov_b32_e32 v11, s38
	s_lshl_b32 s38, s35, 3
	s_add_co_i32 s35, s35, 1
	s_wait_alu 0xfffe
	s_cmp_eq_u32 s35, s21
	ds_load_b64 v[17:18], v11
	s_wait_loadcnt_dscnt 0x0
	v_mul_f32_e32 v11, v18, v9
	v_mul_f32_e32 v20, v17, v9
	v_add_nc_u32_e32 v9, s37, v1
	s_delay_alu instid0(VALU_DEP_3) | instskip(NEXT) | instid1(VALU_DEP_3)
	v_fma_f32 v19, v17, v8, -v11
	v_fmac_f32_e32 v20, v18, v8
	scratch_store_b64 off, v[19:20], s38
	ds_store_b64 v9, v[19:20]
	s_cbranch_scc1 .LBB165_26
.LBB165_35:                             ;   Parent Loop BB165_3 Depth=1
                                        ;     Parent Loop BB165_24 Depth=2
                                        ;       Parent Loop BB165_27 Depth=3
                                        ; =>      This Loop Header: Depth=4
                                        ;           Child Loop BB165_37 Depth 5
	s_wait_alu 0xfffe
	s_cmp_lg_u32 s35, 0
	s_cbranch_scc0 .LBB165_39
; %bb.36:                               ;   in Loop: Header=BB165_35 Depth=4
	s_lshl_b32 s39, s35, 3
	s_sub_co_i32 s38, s3, s35
	scratch_load_b64 v[8:9], off, s39
	s_wait_alu 0xfffe
	s_mul_i32 s37, s38, 0xe0
	s_mov_b32 s40, 0
	s_mov_b32 s41, s36
	s_mov_b32 s42, s35
.LBB165_37:                             ;   Parent Loop BB165_3 Depth=1
                                        ;     Parent Loop BB165_24 Depth=2
                                        ;       Parent Loop BB165_27 Depth=3
                                        ;         Parent Loop BB165_35 Depth=4
                                        ; =>        This Inner Loop Header: Depth=5
	scratch_load_b64 v[17:18], off, s40
	s_wait_alu 0xfffe
	v_mov_b32_e32 v11, s41
	s_add_co_i32 s42, s42, -1
	s_add_co_i32 s41, s41, -8
	s_add_co_i32 s40, s40, 8
	s_cmp_eq_u32 s42, 0
	ds_load_b64 v[19:20], v11
	s_wait_loadcnt_dscnt 0x0
	v_mul_f32_e32 v11, v20, v18
	v_mul_f32_e32 v18, v19, v18
	s_delay_alu instid0(VALU_DEP_2) | instskip(NEXT) | instid1(VALU_DEP_2)
	v_fma_f32 v11, v19, v17, -v11
	v_fmac_f32_e32 v18, v20, v17
	s_delay_alu instid0(VALU_DEP_1)
	v_dual_sub_f32 v8, v8, v11 :: v_dual_sub_f32 v9, v9, v18
	scratch_store_b64 off, v[8:9], s39
	s_cbranch_scc0 .LBB165_37
; %bb.38:                               ;   in Loop: Header=BB165_35 Depth=4
	s_branch .LBB165_34
.LBB165_39:                             ;   in Loop: Header=BB165_35 Depth=4
                                        ; implicit-def: $vgpr8
                                        ; implicit-def: $sgpr38
                                        ; implicit-def: $sgpr37
	s_cbranch_execz .LBB165_34
; %bb.40:                               ;   in Loop: Header=BB165_35 Depth=4
	scratch_load_b64 v[8:9], off, off
	s_mov_b32 s37, s34
	s_mov_b32 s38, s3
	s_branch .LBB165_34
.LBB165_41:                             ;   in Loop: Header=BB165_3 Depth=1
	s_mov_b32 s3, 0
.LBB165_42:                             ;   in Loop: Header=BB165_3 Depth=1
	s_wait_alu 0xfffe
	s_and_b32 vcc_lo, exec_lo, s3
	s_wait_alu 0xfffe
	s_cbranch_vccz .LBB165_63
; %bb.43:                               ;   in Loop: Header=BB165_3 Depth=1
	s_mov_b32 s18, 0
	s_delay_alu instid0(SALU_CYCLE_1)
	s_mov_b32 s3, s18
	s_branch .LBB165_45
.LBB165_44:                             ;   in Loop: Header=BB165_45 Depth=2
	s_cmp_lt_i32 s3, s23
	s_cselect_b32 s14, -1, 0
	s_add_co_i32 s15, s18, 1
	s_cmp_lt_u32 s18, 2
	s_cselect_b32 s18, -1, 0
	s_delay_alu instid0(SALU_CYCLE_1)
	s_and_b32 s14, s14, s18
	s_mov_b32 s18, s15
	s_and_not1_b32 vcc_lo, exec_lo, s14
	s_wait_alu 0xfffe
	s_cbranch_vccnz .LBB165_63
.LBB165_45:                             ;   Parent Loop BB165_3 Depth=1
                                        ; =>  This Loop Header: Depth=2
                                        ;       Child Loop BB165_48 Depth 3
                                        ;         Child Loop BB165_49 Depth 4
                                        ;         Child Loop BB165_52 Depth 4
                                        ;           Child Loop BB165_53 Depth 5
                                        ;         Child Loop BB165_57 Depth 4
                                        ;           Child Loop BB165_59 Depth 5
	s_getpc_b64 s[14:15]
	s_sext_i32_i16 s15, s15
	s_add_co_u32 s14, s14, __const._ZL38rocblas_trsm_small_left_device_sharedBILi28ELi28ELb1E19rocblas_complex_numIfES1_PKPKS1_PKPS1_Ev13rocblas_fill_18rocblas_operation_17rocblas_diagonal_iiT3_T4_lilT5_lili.step_sizes@rel32@lo+8
	s_add_co_ci_u32 s15, s15, __const._ZL38rocblas_trsm_small_left_device_sharedBILi28ELi28ELb1E19rocblas_complex_numIfES1_PKPKS1_PKPS1_Ev13rocblas_fill_18rocblas_operation_17rocblas_diagonal_iiT3_T4_lilT5_lili.step_sizes@rel32@hi+16
	s_lshl_b64 s[30:31], s[18:19], 2
	s_wait_alu 0xfffe
	s_add_nc_u64 s[14:15], s[14:15], s[30:31]
	s_load_b32 s14, s[14:15], 0x0
	s_wait_kmcnt 0x0
	s_add_co_i32 s15, s14, -1
	s_delay_alu instid0(SALU_CYCLE_1) | instskip(NEXT) | instid1(SALU_CYCLE_1)
	s_add_co_i32 s21, s15, s3
	s_cmp_ge_i32 s21, s23
	s_cbranch_scc1 .LBB165_44
; %bb.46:                               ;   in Loop: Header=BB165_45 Depth=2
	v_mad_co_u64_u32 v[8:9], null, 0xe0, s3, v[1:2]
	s_max_i32 s21, s14, 1
	s_mul_i32 s29, s14, 0xe0
	s_lshl_b32 s30, s3, 3
	s_lshl_b32 s31, s14, 3
	s_mul_i32 s33, s3, 0xe8
	s_mul_i32 s34, s14, 0xe8
	s_branch .LBB165_48
.LBB165_47:                             ;   in Loop: Header=BB165_48 Depth=3
	s_add_co_i32 s3, s3, s14
	v_add_nc_u32_e32 v8, s29, v8
	s_wait_alu 0xfffe
	s_add_co_i32 s35, s15, s3
	s_add_co_i32 s30, s30, s31
	;; [unrolled: 1-line block ×3, first 2 shown]
	s_wait_alu 0xfffe
	s_cmp_ge_i32 s35, s23
	s_cbranch_scc1 .LBB165_44
.LBB165_48:                             ;   Parent Loop BB165_3 Depth=1
                                        ;     Parent Loop BB165_45 Depth=2
                                        ; =>    This Loop Header: Depth=3
                                        ;         Child Loop BB165_49 Depth 4
                                        ;         Child Loop BB165_52 Depth 4
                                        ;           Child Loop BB165_53 Depth 5
                                        ;         Child Loop BB165_57 Depth 4
                                        ;           Child Loop BB165_59 Depth 5
	v_mov_b32_e32 v9, v8
	s_mov_b32 s35, 0
	s_mov_b32 s36, s21
.LBB165_49:                             ;   Parent Loop BB165_3 Depth=1
                                        ;     Parent Loop BB165_45 Depth=2
                                        ;       Parent Loop BB165_48 Depth=3
                                        ; =>      This Inner Loop Header: Depth=4
	ds_load_b64 v[10:11], v9
	v_add_nc_u32_e32 v9, 0xe0, v9
	s_wait_alu 0xfffe
	s_add_co_i32 s36, s36, -1
	s_wait_dscnt 0x0
	scratch_store_b64 off, v[10:11], s35
	s_add_co_i32 s35, s35, 8
	s_wait_alu 0xfffe
	s_cmp_eq_u32 s36, 0
	s_cbranch_scc0 .LBB165_49
; %bb.50:                               ;   in Loop: Header=BB165_48 Depth=3
	s_cmp_lt_i32 s3, 1
	s_cbranch_scc1 .LBB165_55
; %bb.51:                               ;   in Loop: Header=BB165_48 Depth=3
	s_mov_b32 s35, 0
	s_mov_b32 s36, s30
.LBB165_52:                             ;   Parent Loop BB165_3 Depth=1
                                        ;     Parent Loop BB165_45 Depth=2
                                        ;       Parent Loop BB165_48 Depth=3
                                        ; =>      This Loop Header: Depth=4
                                        ;           Child Loop BB165_53 Depth 5
	s_wait_alu 0xfffe
	v_mad_co_u64_u32 v[9:10], null, 0xe0, s35, v[1:2]
	s_mov_b32 s37, s28
	s_mov_b32 s38, s36
	;; [unrolled: 1-line block ×3, first 2 shown]
	ds_load_b64 v[9:10], v9
.LBB165_53:                             ;   Parent Loop BB165_3 Depth=1
                                        ;     Parent Loop BB165_45 Depth=2
                                        ;       Parent Loop BB165_48 Depth=3
                                        ;         Parent Loop BB165_52 Depth=4
                                        ; =>        This Inner Loop Header: Depth=5
	scratch_load_b64 v[17:18], off, s37 offset:-4
	s_wait_alu 0xfffe
	v_mov_b32_e32 v11, s38
	s_add_co_i32 s39, s39, -1
	s_add_co_i32 s38, s38, 8
	ds_load_b64 v[19:20], v11
	s_wait_dscnt 0x0
	v_mul_f32_e32 v11, v20, v10
	v_mul_f32_e32 v20, v20, v9
	s_delay_alu instid0(VALU_DEP_1) | instskip(SKIP_1) | instid1(VALU_DEP_1)
	v_fmac_f32_e32 v20, v19, v10
	s_wait_loadcnt 0x0
	v_sub_f32_e32 v18, v18, v20
	v_fma_f32 v11, v19, v9, -v11
	s_delay_alu instid0(VALU_DEP_1)
	v_sub_f32_e32 v17, v17, v11
	scratch_store_b64 off, v[17:18], s37 offset:-4
	s_add_co_i32 s37, s37, 8
	s_wait_alu 0xfffe
	s_cmp_eq_u32 s39, 0
	s_cbranch_scc0 .LBB165_53
; %bb.54:                               ;   in Loop: Header=BB165_52 Depth=4
	s_add_co_i32 s35, s35, 1
	s_addk_co_i32 s36, 0xe0
	s_wait_alu 0xfffe
	s_cmp_eq_u32 s35, s3
	s_cbranch_scc0 .LBB165_52
.LBB165_55:                             ;   in Loop: Header=BB165_48 Depth=3
	s_mov_b32 s35, 0
	s_mov_b32 s36, s33
	s_branch .LBB165_57
.LBB165_56:                             ;   in Loop: Header=BB165_57 Depth=4
	s_add_co_i32 s37, s35, s3
	s_add_co_i32 s36, s36, 8
	s_wait_alu 0xfffe
	s_mul_i32 s38, s37, 0xe8
	v_mad_co_u64_u32 v[19:20], null, 0xe0, s37, v[1:2]
	s_wait_alu 0xfffe
	v_mov_b32_e32 v11, s38
	s_lshl_b32 s38, s35, 3
	s_add_co_i32 s35, s35, 1
	s_wait_alu 0xfffe
	s_cmp_eq_u32 s35, s21
	ds_load_b64 v[17:18], v11
	s_wait_loadcnt_dscnt 0x0
	v_mul_f32_e32 v21, v18, v10
	v_mul_f32_e32 v11, v17, v10
	s_delay_alu instid0(VALU_DEP_2) | instskip(NEXT) | instid1(VALU_DEP_2)
	v_fma_f32 v10, v17, v9, -v21
	v_fmac_f32_e32 v11, v18, v9
	scratch_store_b64 off, v[10:11], s38
	ds_store_b64 v19, v[10:11]
	s_cbranch_scc1 .LBB165_47
.LBB165_57:                             ;   Parent Loop BB165_3 Depth=1
                                        ;     Parent Loop BB165_45 Depth=2
                                        ;       Parent Loop BB165_48 Depth=3
                                        ; =>      This Loop Header: Depth=4
                                        ;           Child Loop BB165_59 Depth 5
	s_wait_alu 0xfffe
	s_cmp_lg_u32 s35, 0
	s_cbranch_scc0 .LBB165_61
; %bb.58:                               ;   in Loop: Header=BB165_57 Depth=4
	s_lshl_b32 s37, s35, 3
	s_mov_b32 s38, 0
	scratch_load_b64 v[9:10], off, s37
	s_mov_b32 s39, s36
	s_mov_b32 s40, s35
.LBB165_59:                             ;   Parent Loop BB165_3 Depth=1
                                        ;     Parent Loop BB165_45 Depth=2
                                        ;       Parent Loop BB165_48 Depth=3
                                        ;         Parent Loop BB165_57 Depth=4
                                        ; =>        This Inner Loop Header: Depth=5
	scratch_load_b64 v[17:18], off, s38
	s_wait_alu 0xfffe
	v_mov_b32_e32 v11, s39
	s_add_co_i32 s40, s40, -1
	s_addk_co_i32 s39, 0xe0
	s_add_co_i32 s38, s38, 8
	s_wait_alu 0xfffe
	s_cmp_eq_u32 s40, 0
	ds_load_b64 v[19:20], v11
	s_wait_loadcnt_dscnt 0x0
	v_mul_f32_e32 v11, v20, v18
	v_mul_f32_e32 v18, v19, v18
	s_delay_alu instid0(VALU_DEP_2) | instskip(NEXT) | instid1(VALU_DEP_1)
	v_fma_f32 v11, v19, v17, -v11
	v_dual_fmac_f32 v18, v20, v17 :: v_dual_sub_f32 v9, v9, v11
	s_delay_alu instid0(VALU_DEP_1)
	v_sub_f32_e32 v10, v10, v18
	scratch_store_b64 off, v[9:10], s37
	s_cbranch_scc0 .LBB165_59
; %bb.60:                               ;   in Loop: Header=BB165_57 Depth=4
	s_branch .LBB165_56
.LBB165_61:                             ;   in Loop: Header=BB165_57 Depth=4
                                        ; implicit-def: $vgpr9
	s_cbranch_execz .LBB165_56
; %bb.62:                               ;   in Loop: Header=BB165_57 Depth=4
	scratch_load_b64 v[9:10], off, off
	s_branch .LBB165_56
.LBB165_63:                             ;   in Loop: Header=BB165_3 Depth=1
	s_wait_storecnt 0x0
	; wave barrier
	s_wait_loadcnt_dscnt 0x0
	global_inv scope:SCOPE_SE
	s_and_saveexec_b32 s3, s27
	s_cbranch_execz .LBB165_2
; %bb.64:                               ;   in Loop: Header=BB165_3 Depth=1
	v_add_co_u32 v6, vcc_lo, v6, s6
	s_wait_alu 0xfffd
	v_add_co_ci_u32_e64 v7, null, s7, v7, vcc_lo
	v_mov_b32_e32 v8, v1
	s_delay_alu instid0(VALU_DEP_3) | instskip(SKIP_1) | instid1(VALU_DEP_3)
	v_add_co_u32 v6, vcc_lo, v6, s12
	s_wait_alu 0xfffd
	v_add_co_ci_u32_e64 v7, null, s13, v7, vcc_lo
	s_mov_b32 s14, s23
	v_add_co_u32 v6, vcc_lo, v6, v4
	s_wait_alu 0xfffd
	v_add_co_ci_u32_e64 v7, null, v7, v5, vcc_lo
.LBB165_65:                             ;   Parent Loop BB165_3 Depth=1
                                        ; =>  This Inner Loop Header: Depth=2
	ds_load_b64 v[9:10], v8
	v_add_nc_u32_e32 v8, 0xe0, v8
	s_add_co_i32 s14, s14, -1
	s_delay_alu instid0(SALU_CYCLE_1)
	s_cmp_lg_u32 s14, 0
	s_wait_dscnt 0x0
	flat_store_b64 v[6:7], v[9:10]
	v_add_co_u32 v6, vcc_lo, v6, 8
	s_wait_alu 0xfffd
	v_add_co_ci_u32_e64 v7, null, 0, v7, vcc_lo
	s_cbranch_scc1 .LBB165_65
	s_branch .LBB165_2
.LBB165_66:
	s_endpgm
	.section	.rodata,"a",@progbits
	.p2align	6, 0x0
	.amdhsa_kernel _ZL38rocblas_trsm_small_left_device_sharedBILi28ELi28ELb1E19rocblas_complex_numIfES1_PKPKS1_PKPS1_Ev13rocblas_fill_18rocblas_operation_17rocblas_diagonal_iiT3_T4_lilT5_lili
		.amdhsa_group_segment_fixed_size 12544
		.amdhsa_private_segment_fixed_size 240
		.amdhsa_kernarg_size 360
		.amdhsa_user_sgpr_count 2
		.amdhsa_user_sgpr_dispatch_ptr 0
		.amdhsa_user_sgpr_queue_ptr 0
		.amdhsa_user_sgpr_kernarg_segment_ptr 1
		.amdhsa_user_sgpr_dispatch_id 0
		.amdhsa_user_sgpr_private_segment_size 0
		.amdhsa_wavefront_size32 1
		.amdhsa_uses_dynamic_stack 0
		.amdhsa_enable_private_segment 1
		.amdhsa_system_sgpr_workgroup_id_x 1
		.amdhsa_system_sgpr_workgroup_id_y 0
		.amdhsa_system_sgpr_workgroup_id_z 1
		.amdhsa_system_sgpr_workgroup_info 0
		.amdhsa_system_vgpr_workitem_id 0
		.amdhsa_next_free_vgpr 241
		.amdhsa_next_free_sgpr 43
		.amdhsa_reserve_vcc 1
		.amdhsa_float_round_mode_32 0
		.amdhsa_float_round_mode_16_64 0
		.amdhsa_float_denorm_mode_32 3
		.amdhsa_float_denorm_mode_16_64 3
		.amdhsa_fp16_overflow 0
		.amdhsa_workgroup_processor_mode 1
		.amdhsa_memory_ordered 1
		.amdhsa_forward_progress 1
		.amdhsa_inst_pref_size 24
		.amdhsa_round_robin_scheduling 0
		.amdhsa_exception_fp_ieee_invalid_op 0
		.amdhsa_exception_fp_denorm_src 0
		.amdhsa_exception_fp_ieee_div_zero 0
		.amdhsa_exception_fp_ieee_overflow 0
		.amdhsa_exception_fp_ieee_underflow 0
		.amdhsa_exception_fp_ieee_inexact 0
		.amdhsa_exception_int_div_zero 0
	.end_amdhsa_kernel
	.section	.text._ZL38rocblas_trsm_small_left_device_sharedBILi28ELi28ELb1E19rocblas_complex_numIfES1_PKPKS1_PKPS1_Ev13rocblas_fill_18rocblas_operation_17rocblas_diagonal_iiT3_T4_lilT5_lili,"axG",@progbits,_ZL38rocblas_trsm_small_left_device_sharedBILi28ELi28ELb1E19rocblas_complex_numIfES1_PKPKS1_PKPS1_Ev13rocblas_fill_18rocblas_operation_17rocblas_diagonal_iiT3_T4_lilT5_lili,comdat
.Lfunc_end165:
	.size	_ZL38rocblas_trsm_small_left_device_sharedBILi28ELi28ELb1E19rocblas_complex_numIfES1_PKPKS1_PKPS1_Ev13rocblas_fill_18rocblas_operation_17rocblas_diagonal_iiT3_T4_lilT5_lili, .Lfunc_end165-_ZL38rocblas_trsm_small_left_device_sharedBILi28ELi28ELb1E19rocblas_complex_numIfES1_PKPKS1_PKPS1_Ev13rocblas_fill_18rocblas_operation_17rocblas_diagonal_iiT3_T4_lilT5_lili
                                        ; -- End function
	.set _ZL38rocblas_trsm_small_left_device_sharedBILi28ELi28ELb1E19rocblas_complex_numIfES1_PKPKS1_PKPS1_Ev13rocblas_fill_18rocblas_operation_17rocblas_diagonal_iiT3_T4_lilT5_lili.num_vgpr, 22
	.set _ZL38rocblas_trsm_small_left_device_sharedBILi28ELi28ELb1E19rocblas_complex_numIfES1_PKPKS1_PKPS1_Ev13rocblas_fill_18rocblas_operation_17rocblas_diagonal_iiT3_T4_lilT5_lili.num_agpr, 0
	.set _ZL38rocblas_trsm_small_left_device_sharedBILi28ELi28ELb1E19rocblas_complex_numIfES1_PKPKS1_PKPS1_Ev13rocblas_fill_18rocblas_operation_17rocblas_diagonal_iiT3_T4_lilT5_lili.numbered_sgpr, 43
	.set _ZL38rocblas_trsm_small_left_device_sharedBILi28ELi28ELb1E19rocblas_complex_numIfES1_PKPKS1_PKPS1_Ev13rocblas_fill_18rocblas_operation_17rocblas_diagonal_iiT3_T4_lilT5_lili.num_named_barrier, 0
	.set _ZL38rocblas_trsm_small_left_device_sharedBILi28ELi28ELb1E19rocblas_complex_numIfES1_PKPKS1_PKPS1_Ev13rocblas_fill_18rocblas_operation_17rocblas_diagonal_iiT3_T4_lilT5_lili.private_seg_size, 240
	.set _ZL38rocblas_trsm_small_left_device_sharedBILi28ELi28ELb1E19rocblas_complex_numIfES1_PKPKS1_PKPS1_Ev13rocblas_fill_18rocblas_operation_17rocblas_diagonal_iiT3_T4_lilT5_lili.uses_vcc, 1
	.set _ZL38rocblas_trsm_small_left_device_sharedBILi28ELi28ELb1E19rocblas_complex_numIfES1_PKPKS1_PKPS1_Ev13rocblas_fill_18rocblas_operation_17rocblas_diagonal_iiT3_T4_lilT5_lili.uses_flat_scratch, 0
	.set _ZL38rocblas_trsm_small_left_device_sharedBILi28ELi28ELb1E19rocblas_complex_numIfES1_PKPKS1_PKPS1_Ev13rocblas_fill_18rocblas_operation_17rocblas_diagonal_iiT3_T4_lilT5_lili.has_dyn_sized_stack, 0
	.set _ZL38rocblas_trsm_small_left_device_sharedBILi28ELi28ELb1E19rocblas_complex_numIfES1_PKPKS1_PKPS1_Ev13rocblas_fill_18rocblas_operation_17rocblas_diagonal_iiT3_T4_lilT5_lili.has_recursion, 0
	.set _ZL38rocblas_trsm_small_left_device_sharedBILi28ELi28ELb1E19rocblas_complex_numIfES1_PKPKS1_PKPS1_Ev13rocblas_fill_18rocblas_operation_17rocblas_diagonal_iiT3_T4_lilT5_lili.has_indirect_call, 0
	.section	.AMDGPU.csdata,"",@progbits
; Kernel info:
; codeLenInByte = 3072
; TotalNumSgprs: 45
; NumVgprs: 22
; ScratchSize: 240
; MemoryBound: 0
; FloatMode: 240
; IeeeMode: 1
; LDSByteSize: 12544 bytes/workgroup (compile time only)
; SGPRBlocks: 0
; VGPRBlocks: 30
; NumSGPRsForWavesPerEU: 45
; NumVGPRsForWavesPerEU: 241
; Occupancy: 3
; WaveLimiterHint : 0
; COMPUTE_PGM_RSRC2:SCRATCH_EN: 1
; COMPUTE_PGM_RSRC2:USER_SGPR: 2
; COMPUTE_PGM_RSRC2:TRAP_HANDLER: 0
; COMPUTE_PGM_RSRC2:TGID_X_EN: 1
; COMPUTE_PGM_RSRC2:TGID_Y_EN: 0
; COMPUTE_PGM_RSRC2:TGID_Z_EN: 1
; COMPUTE_PGM_RSRC2:TIDIG_COMP_CNT: 0
	.section	.text._ZL30rocblas_trsm_small_left_deviceILi28ELi28ELb1E19rocblas_complex_numIfES1_PKPKS1_PKPS1_Ev13rocblas_fill_18rocblas_operation_17rocblas_diagonal_iiT3_T4_lilT5_lili,"axG",@progbits,_ZL30rocblas_trsm_small_left_deviceILi28ELi28ELb1E19rocblas_complex_numIfES1_PKPKS1_PKPS1_Ev13rocblas_fill_18rocblas_operation_17rocblas_diagonal_iiT3_T4_lilT5_lili,comdat
	.globl	_ZL30rocblas_trsm_small_left_deviceILi28ELi28ELb1E19rocblas_complex_numIfES1_PKPKS1_PKPS1_Ev13rocblas_fill_18rocblas_operation_17rocblas_diagonal_iiT3_T4_lilT5_lili ; -- Begin function _ZL30rocblas_trsm_small_left_deviceILi28ELi28ELb1E19rocblas_complex_numIfES1_PKPKS1_PKPS1_Ev13rocblas_fill_18rocblas_operation_17rocblas_diagonal_iiT3_T4_lilT5_lili
	.p2align	8
	.type	_ZL30rocblas_trsm_small_left_deviceILi28ELi28ELb1E19rocblas_complex_numIfES1_PKPKS1_PKPS1_Ev13rocblas_fill_18rocblas_operation_17rocblas_diagonal_iiT3_T4_lilT5_lili,@function
_ZL30rocblas_trsm_small_left_deviceILi28ELi28ELb1E19rocblas_complex_numIfES1_PKPKS1_PKPS1_Ev13rocblas_fill_18rocblas_operation_17rocblas_diagonal_iiT3_T4_lilT5_lili: ; @_ZL30rocblas_trsm_small_left_deviceILi28ELi28ELb1E19rocblas_complex_numIfES1_PKPKS1_PKPS1_Ev13rocblas_fill_18rocblas_operation_17rocblas_diagonal_iiT3_T4_lilT5_lili
; %bb.0:
	s_load_b32 s24, s[0:1], 0x60
	s_lshr_b32 s2, ttmp7, 16
	s_wait_kmcnt 0x0
	s_cmp_ge_u32 s2, s24
	s_cbranch_scc1 .LBB166_63
; %bb.1:
	s_clause 0x6
	s_load_b32 s18, s[0:1], 0x30
	s_load_b128 s[12:15], s[0:1], 0x4
	s_load_b32 s3, s[0:1], 0x50
	s_load_b32 s20, s[0:1], 0x68
	s_load_b128 s[4:7], s[0:1], 0x20
	s_load_b128 s[8:11], s[0:1], 0x40
	s_load_b64 s[16:17], s[0:1], 0x14
	v_mad_co_u64_u32 v[2:3], null, ttmp9, 28, v[0:1]
	s_mul_i32 s0, ttmp9, 0xffffffe4
	v_dual_mov_b32 v1, 0 :: v_dual_lshlrev_b32 v10, 3, v0
	v_mul_u32_u24_e32 v4, 0xe0, v0
	s_mov_b32 s33, 0
                                        ; implicit-def: $sgpr34
                                        ; implicit-def: $sgpr35
	s_delay_alu instid0(VALU_DEP_1)
	v_add_nc_u32_e32 v15, v10, v4
	s_wait_kmcnt 0x0
	s_ashr_i32 s19, s18, 31
	s_cmp_lg_u32 s12, 0x71
	v_mad_co_i64_i32 v[2:3], null, s3, v2, 0
	s_cselect_b32 s25, -1, 0
	s_min_i32 s26, s14, 28
	s_add_co_i32 s20, s20, -1
	s_wait_alu 0xfffe
	s_add_co_i32 s1, s15, s0
	s_add_co_i32 s27, s26, -1
	s_cmp_ge_u32 ttmp9, s20
	v_lshlrev_b64_e32 v[2:3], 3, v[2:3]
	s_wait_alu 0xfffe
	s_cselect_b32 s1, s1, 28
	s_cmp_lg_u32 s13, 0x84
	v_cmp_gt_i32_e64 s0, s26, v0
	s_cselect_b32 s28, -1, 0
	s_cmp_lg_u32 s12, 0x6f
	s_wait_alu 0xfffe
	v_cmp_gt_i32_e64 s1, s1, v0
	s_cselect_b32 s29, -1, 0
	s_lshl_b64 s[6:7], s[6:7], 3
	s_lshl_b32 s31, s26, 3
	v_add_co_u32 v0, s3, s6, v10
	s_wait_alu 0xf1ff
	v_add_co_ci_u32_e64 v11, null, s7, 0, s3
	s_lshl_b64 s[6:7], s[10:11], 3
	v_or_b32_e32 v12, 4, v0
	s_wait_alu 0xfffe
	v_add_co_u32 v5, vcc_lo, v2, s6
	s_delay_alu instid0(VALU_DEP_1) | instskip(SKIP_1) | instid1(VALU_DEP_3)
	v_add_co_ci_u32_e64 v13, null, s7, v3, vcc_lo
	v_mov_b32_e32 v0, 1.0
	v_or_b32_e32 v14, 4, v5
	s_or_b32 s30, 0, 4
	s_lshl_b64 s[10:11], s[18:19], 3
	s_add_co_i32 s31, s31, -8
	s_mov_b32 s13, 0
	s_branch .LBB166_4
.LBB166_2:                              ;   in Loop: Header=BB166_4 Depth=1
	s_add_co_i32 s2, s2, 0x10000
	s_wait_alu 0xfffe
	s_cmp_ge_u32 s2, s24
	s_cselect_b32 s12, -1, 0
	s_and_not1_b32 s35, s35, exec_lo
	s_or_not1_b32 s12, s12, exec_lo
.LBB166_3:                              ;   in Loop: Header=BB166_4 Depth=1
	s_wait_alu 0xfffe
	s_or_b32 exec_lo, exec_lo, s3
	s_delay_alu instid0(SALU_CYCLE_1)
	s_and_b32 s3, exec_lo, s12
	s_wait_alu 0xfffe
	s_or_b32 s33, s3, s33
	s_and_not1_b32 s3, s34, exec_lo
	s_and_b32 s12, s35, exec_lo
	s_wait_alu 0xfffe
	s_or_b32 s34, s3, s12
	s_and_not1_b32 exec_lo, exec_lo, s33
	s_cbranch_execz .LBB166_62
.LBB166_4:                              ; =>This Loop Header: Depth=1
                                        ;     Child Loop BB166_7 Depth 2
                                        ;     Child Loop BB166_23 Depth 2
                                        ;       Child Loop BB166_26 Depth 3
                                        ;         Child Loop BB166_27 Depth 4
                                        ;         Child Loop BB166_29 Depth 4
                                        ;           Child Loop BB166_30 Depth 5
                                        ;         Child Loop BB166_34 Depth 4
                                        ;           Child Loop BB166_36 Depth 5
                                        ;     Child Loop BB166_44 Depth 2
                                        ;       Child Loop BB166_47 Depth 3
                                        ;         Child Loop BB166_48 Depth 4
                                        ;         Child Loop BB166_51 Depth 4
                                        ;           Child Loop BB166_52 Depth 5
                                        ;         Child Loop BB166_56 Depth 4
                                        ;           Child Loop BB166_58 Depth 5
	s_mov_b32 s3, s13
	s_wait_alu 0xfffe
	s_lshl_b64 s[14:15], s[2:3], 3
	s_delay_alu instid0(SALU_CYCLE_1)
	s_add_nc_u64 s[18:19], s[8:9], s[14:15]
	global_load_b64 v[4:5], v1, s[18:19]
	s_and_saveexec_b32 s3, s0
	s_cbranch_execz .LBB166_19
; %bb.5:                                ;   in Loop: Header=BB166_4 Depth=1
	s_add_nc_u64 s[14:15], s[4:5], s[14:15]
	v_mov_b32_e32 v16, v10
	global_load_b64 v[6:7], v1, s[14:15]
	s_mov_b32 s12, s26
	s_wait_loadcnt 0x0
	v_add_co_u32 v6, vcc_lo, v6, v12
	s_wait_alu 0xfffd
	v_add_co_ci_u32_e64 v7, null, v7, v11, vcc_lo
	s_branch .LBB166_7
.LBB166_6:                              ;   in Loop: Header=BB166_7 Depth=2
	flat_load_b32 v8, v[6:7] offset:-4
	v_add_co_u32 v6, vcc_lo, v6, s10
	s_wait_alu 0xfffd
	v_add_co_ci_u32_e64 v7, null, s11, v7, vcc_lo
	s_add_co_i32 s12, s12, -1
	s_delay_alu instid0(SALU_CYCLE_1)
	s_cmp_eq_u32 s12, 0
	s_wait_loadcnt_dscnt 0x0
	ds_store_b64 v16, v[8:9]
	v_add_nc_u32_e32 v16, 0xe0, v16
	s_cbranch_scc1 .LBB166_11
.LBB166_7:                              ;   Parent Loop BB166_4 Depth=1
                                        ; =>  This Inner Loop Header: Depth=2
	s_and_b32 vcc_lo, exec_lo, s25
	s_mov_b32 s14, -1
                                        ; implicit-def: $vgpr9
	s_wait_alu 0xfffe
	s_cbranch_vccz .LBB166_9
; %bb.8:                                ;   in Loop: Header=BB166_7 Depth=2
	flat_load_b32 v9, v[6:7]
	s_mov_b32 s14, 0
.LBB166_9:                              ;   in Loop: Header=BB166_7 Depth=2
	s_delay_alu instid0(SALU_CYCLE_1)
	s_and_not1_b32 vcc_lo, exec_lo, s14
	s_wait_alu 0xfffe
	s_cbranch_vccnz .LBB166_6
; %bb.10:                               ;   in Loop: Header=BB166_7 Depth=2
	flat_load_b32 v8, v[6:7]
	s_wait_loadcnt_dscnt 0x0
	v_xor_b32_e32 v9, 0x80000000, v8
	s_branch .LBB166_6
.LBB166_11:                             ;   in Loop: Header=BB166_4 Depth=1
	s_and_b32 vcc_lo, exec_lo, s28
	s_mov_b32 s12, -1
	s_wait_alu 0xfffe
	s_cbranch_vccz .LBB166_17
; %bb.12:                               ;   in Loop: Header=BB166_4 Depth=1
	ds_load_b64 v[6:7], v15
                                        ; implicit-def: $vgpr8
	s_wait_dscnt 0x0
	v_cmp_ngt_f32_e64 s12, |v6|, |v7|
	s_and_saveexec_b32 s14, s12
	s_delay_alu instid0(SALU_CYCLE_1)
	s_xor_b32 s12, exec_lo, s14
	s_cbranch_execz .LBB166_14
; %bb.13:                               ;   in Loop: Header=BB166_4 Depth=1
	v_div_scale_f32 v8, null, v7, v7, v6
	v_div_scale_f32 v17, vcc_lo, v6, v7, v6
	s_delay_alu instid0(VALU_DEP_2) | instskip(NEXT) | instid1(TRANS32_DEP_1)
	v_rcp_f32_e32 v9, v8
	v_fma_f32 v16, -v8, v9, 1.0
	s_delay_alu instid0(VALU_DEP_1) | instskip(NEXT) | instid1(VALU_DEP_1)
	v_fmac_f32_e32 v9, v16, v9
	v_mul_f32_e32 v16, v17, v9
	s_delay_alu instid0(VALU_DEP_1) | instskip(NEXT) | instid1(VALU_DEP_1)
	v_fma_f32 v18, -v8, v16, v17
	v_fmac_f32_e32 v16, v18, v9
	s_delay_alu instid0(VALU_DEP_1) | instskip(SKIP_1) | instid1(VALU_DEP_1)
	v_fma_f32 v8, -v8, v16, v17
	s_wait_alu 0xfffd
	v_div_fmas_f32 v8, v8, v9, v16
	s_delay_alu instid0(VALU_DEP_1) | instskip(NEXT) | instid1(VALU_DEP_1)
	v_div_fixup_f32 v8, v8, v7, v6
	v_fmac_f32_e32 v7, v6, v8
	s_delay_alu instid0(VALU_DEP_1) | instskip(SKIP_1) | instid1(VALU_DEP_2)
	v_div_scale_f32 v6, null, v7, v7, 1.0
	v_div_scale_f32 v17, vcc_lo, 1.0, v7, 1.0
	v_rcp_f32_e32 v9, v6
	s_delay_alu instid0(TRANS32_DEP_1) | instskip(NEXT) | instid1(VALU_DEP_1)
	v_fma_f32 v16, -v6, v9, 1.0
	v_fmac_f32_e32 v9, v16, v9
	s_delay_alu instid0(VALU_DEP_1) | instskip(NEXT) | instid1(VALU_DEP_1)
	v_mul_f32_e32 v16, v17, v9
	v_fma_f32 v18, -v6, v16, v17
	s_delay_alu instid0(VALU_DEP_1) | instskip(NEXT) | instid1(VALU_DEP_1)
	v_fmac_f32_e32 v16, v18, v9
	v_fma_f32 v6, -v6, v16, v17
	s_wait_alu 0xfffd
	s_delay_alu instid0(VALU_DEP_1) | instskip(SKIP_1) | instid1(VALU_DEP_2)
	v_div_fmas_f32 v6, v6, v9, v16
	v_add_f32_e32 v9, 0, v8
	v_div_fixup_f32 v6, v6, v7, 1.0
	v_fma_f32 v7, v8, 0, -1.0
	s_delay_alu instid0(VALU_DEP_2) | instskip(NEXT) | instid1(VALU_DEP_2)
	v_mul_f32_e32 v8, v9, v6
	v_mul_f32_e32 v9, v7, v6
                                        ; implicit-def: $vgpr6_vgpr7
.LBB166_14:                             ;   in Loop: Header=BB166_4 Depth=1
	s_and_not1_saveexec_b32 s12, s12
	s_cbranch_execz .LBB166_16
; %bb.15:                               ;   in Loop: Header=BB166_4 Depth=1
	v_div_scale_f32 v8, null, v6, v6, v7
	v_div_scale_f32 v17, vcc_lo, v7, v6, v7
	s_delay_alu instid0(VALU_DEP_2) | instskip(NEXT) | instid1(TRANS32_DEP_1)
	v_rcp_f32_e32 v9, v8
	v_fma_f32 v16, -v8, v9, 1.0
	s_delay_alu instid0(VALU_DEP_1) | instskip(NEXT) | instid1(VALU_DEP_1)
	v_fmac_f32_e32 v9, v16, v9
	v_mul_f32_e32 v16, v17, v9
	s_delay_alu instid0(VALU_DEP_1) | instskip(NEXT) | instid1(VALU_DEP_1)
	v_fma_f32 v18, -v8, v16, v17
	v_fmac_f32_e32 v16, v18, v9
	s_delay_alu instid0(VALU_DEP_1) | instskip(SKIP_1) | instid1(VALU_DEP_1)
	v_fma_f32 v8, -v8, v16, v17
	s_wait_alu 0xfffd
	v_div_fmas_f32 v8, v8, v9, v16
	s_delay_alu instid0(VALU_DEP_1) | instskip(NEXT) | instid1(VALU_DEP_1)
	v_div_fixup_f32 v9, v8, v6, v7
	v_fmac_f32_e32 v6, v7, v9
	s_delay_alu instid0(VALU_DEP_1) | instskip(SKIP_1) | instid1(VALU_DEP_2)
	v_div_scale_f32 v7, null, v6, v6, 1.0
	v_div_scale_f32 v17, vcc_lo, 1.0, v6, 1.0
	v_rcp_f32_e32 v8, v7
	s_delay_alu instid0(TRANS32_DEP_1) | instskip(NEXT) | instid1(VALU_DEP_1)
	v_fma_f32 v16, -v7, v8, 1.0
	v_fmac_f32_e32 v8, v16, v8
	s_delay_alu instid0(VALU_DEP_1) | instskip(NEXT) | instid1(VALU_DEP_1)
	v_mul_f32_e32 v16, v17, v8
	v_fma_f32 v18, -v7, v16, v17
	s_delay_alu instid0(VALU_DEP_1) | instskip(NEXT) | instid1(VALU_DEP_1)
	v_fmac_f32_e32 v16, v18, v8
	v_fma_f32 v7, -v7, v16, v17
	s_wait_alu 0xfffd
	s_delay_alu instid0(VALU_DEP_1) | instskip(SKIP_1) | instid1(VALU_DEP_2)
	v_div_fmas_f32 v7, v7, v8, v16
	v_fma_f32 v8, v9, 0, 1.0
	v_div_fixup_f32 v6, v7, v6, 1.0
	s_delay_alu instid0(VALU_DEP_1)
	v_mul_f32_e32 v8, v8, v6
	v_mul_f32_e64 v9, -v9, v6
.LBB166_16:                             ;   in Loop: Header=BB166_4 Depth=1
	s_or_b32 exec_lo, exec_lo, s12
	s_mov_b32 s12, 0
	ds_store_b64 v15, v[8:9]
.LBB166_17:                             ;   in Loop: Header=BB166_4 Depth=1
	s_and_b32 vcc_lo, exec_lo, s12
	s_wait_alu 0xfffe
	s_cbranch_vccz .LBB166_19
; %bb.18:                               ;   in Loop: Header=BB166_4 Depth=1
	ds_store_b64 v15, v[0:1]
.LBB166_19:                             ;   in Loop: Header=BB166_4 Depth=1
	s_wait_alu 0xfffe
	s_or_b32 exec_lo, exec_lo, s3
	s_mov_b32 s12, -1
	s_or_b32 s35, s35, exec_lo
	; wave barrier
	s_wait_loadcnt_dscnt 0x0
	global_inv scope:SCOPE_SE
	s_and_saveexec_b32 s3, s1
	s_cbranch_execz .LBB166_3
; %bb.20:                               ;   in Loop: Header=BB166_4 Depth=1
	v_add_co_u32 v6, vcc_lo, v4, s6
	s_wait_alu 0xfffd
	v_add_co_ci_u32_e64 v7, null, s7, v5, vcc_lo
	s_delay_alu instid0(VALU_DEP_2) | instskip(SKIP_1) | instid1(VALU_DEP_2)
	v_add_co_u32 v8, vcc_lo, v6, v2
	s_wait_alu 0xfffd
	v_add_co_ci_u32_e64 v9, null, v7, v3, vcc_lo
	s_and_not1_b32 vcc_lo, exec_lo, s29
	s_wait_alu 0xfffe
	s_cbranch_vccnz .LBB166_41
; %bb.21:                               ;   in Loop: Header=BB166_4 Depth=1
	v_add_co_u32 v16, vcc_lo, v4, v14
	s_wait_alu 0xfffd
	v_add_co_ci_u32_e64 v17, null, v5, v13, vcc_lo
	s_mov_b32 s12, 0
	s_mov_b32 s14, s27
	s_branch .LBB166_23
.LBB166_22:                             ;   in Loop: Header=BB166_23 Depth=2
	s_cmp_gt_i32 s14, -1
	s_cselect_b32 s15, -1, 0
	s_add_co_i32 s18, s12, 1
	s_cmp_lt_u32 s12, 2
	s_cselect_b32 s12, -1, 0
	s_delay_alu instid0(SALU_CYCLE_1) | instskip(NEXT) | instid1(SALU_CYCLE_1)
	s_and_b32 s12, s15, s12
	s_and_b32 vcc_lo, exec_lo, s12
	s_wait_alu 0xfffe
	s_mov_b32 s12, s18
	s_cbranch_vccz .LBB166_40
.LBB166_23:                             ;   Parent Loop BB166_4 Depth=1
                                        ; =>  This Loop Header: Depth=2
                                        ;       Child Loop BB166_26 Depth 3
                                        ;         Child Loop BB166_27 Depth 4
                                        ;         Child Loop BB166_29 Depth 4
                                        ;           Child Loop BB166_30 Depth 5
                                        ;         Child Loop BB166_34 Depth 4
                                        ;           Child Loop BB166_36 Depth 5
	s_getpc_b64 s[18:19]
	s_wait_alu 0xfffe
	s_sext_i32_i16 s19, s19
	s_add_co_u32 s18, s18, __const._ZL30rocblas_trsm_small_left_deviceILi28ELi28ELb1E19rocblas_complex_numIfES1_PKPKS1_PKPS1_Ev13rocblas_fill_18rocblas_operation_17rocblas_diagonal_iiT3_T4_lilT5_lili.step_sizes@rel32@lo+12
	s_wait_alu 0xfffe
	s_add_co_ci_u32 s19, s19, __const._ZL30rocblas_trsm_small_left_deviceILi28ELi28ELb1E19rocblas_complex_numIfES1_PKPKS1_PKPS1_Ev13rocblas_fill_18rocblas_operation_17rocblas_diagonal_iiT3_T4_lilT5_lili.step_sizes@rel32@hi+24
	s_lshl_b64 s[20:21], s[12:13], 2
	s_wait_alu 0xfffe
	s_add_nc_u64 s[18:19], s[18:19], s[20:21]
	s_load_b32 s22, s[18:19], 0x0
	s_wait_kmcnt 0x0
	s_add_co_i32 s23, s22, -1
	s_wait_alu 0xfffe
	s_cmp_lt_i32 s14, s23
	s_cbranch_scc1 .LBB166_22
; %bb.24:                               ;   in Loop: Header=BB166_23 Depth=2
	s_mul_i32 s15, s14, 0xe0
	s_max_i32 s36, s22, 1
	s_add_co_i32 s37, s31, s15
	s_mul_i32 s38, s22, 0xffffff20
	s_mul_i32 s39, s14, 0xe8
	;; [unrolled: 1-line block ×3, first 2 shown]
	s_branch .LBB166_26
.LBB166_25:                             ;   in Loop: Header=BB166_26 Depth=3
	s_sub_co_i32 s14, s14, s22
	s_add_co_i32 s37, s37, s38
	s_add_co_i32 s39, s39, s40
	s_cmp_lt_i32 s14, s23
	s_cbranch_scc1 .LBB166_22
.LBB166_26:                             ;   Parent Loop BB166_4 Depth=1
                                        ;     Parent Loop BB166_23 Depth=2
                                        ; =>    This Loop Header: Depth=3
                                        ;         Child Loop BB166_27 Depth 4
                                        ;         Child Loop BB166_29 Depth 4
                                        ;           Child Loop BB166_30 Depth 5
                                        ;         Child Loop BB166_34 Depth 4
                                        ;           Child Loop BB166_36 Depth 5
	s_ashr_i32 s15, s14, 31
	s_delay_alu instid0(SALU_CYCLE_1)
	s_lshl_b64 s[18:19], s[14:15], 3
	s_wait_alu 0xfffe
	v_add_co_u32 v6, vcc_lo, v16, s18
	s_wait_alu 0xfffd
	v_add_co_ci_u32_e64 v7, null, s19, v17, vcc_lo
	s_mov_b32 s18, 4
	s_mov_b32 s19, s36
.LBB166_27:                             ;   Parent Loop BB166_4 Depth=1
                                        ;     Parent Loop BB166_23 Depth=2
                                        ;       Parent Loop BB166_26 Depth=3
                                        ; =>      This Inner Loop Header: Depth=4
	flat_load_b64 v[18:19], v[6:7] offset:-4
	v_add_co_u32 v6, vcc_lo, v6, -8
	s_wait_alu 0xfffd
	v_add_co_ci_u32_e64 v7, null, -1, v7, vcc_lo
	s_wait_alu 0xfffe
	s_add_co_i32 s19, s19, -1
	s_mov_b32 s20, s18
	s_add_co_i32 s18, s18, 8
	s_wait_alu 0xfffe
	s_cmp_eq_u32 s19, 0
	s_wait_loadcnt_dscnt 0x0
	v_mul_f32_e32 v20, s16, v19
	s_delay_alu instid0(VALU_DEP_1) | instskip(NEXT) | instid1(VALU_DEP_1)
	v_dual_mul_f32 v21, s17, v19 :: v_dual_fmac_f32 v20, s17, v18
	v_fma_f32 v19, v18, s16, -v21
	scratch_store_b64 off, v[19:20], s20 offset:-4
	s_cbranch_scc0 .LBB166_27
; %bb.28:                               ;   in Loop: Header=BB166_26 Depth=3
	s_cmp_le_i32 s27, s14
	s_mov_b32 s20, s37
	s_mov_b32 s18, s27
	s_cbranch_scc1 .LBB166_32
.LBB166_29:                             ;   Parent Loop BB166_4 Depth=1
                                        ;     Parent Loop BB166_23 Depth=2
                                        ;       Parent Loop BB166_26 Depth=3
                                        ; =>      This Loop Header: Depth=4
                                        ;           Child Loop BB166_30 Depth 5
	s_wait_alu 0xfffe
	s_ashr_i32 s19, s18, 31
	s_mov_b32 s21, s20
	s_wait_alu 0xfffe
	s_lshl_b64 s[42:43], s[18:19], 3
	s_mov_b32 s19, s30
	s_wait_alu 0xfffe
	v_add_co_u32 v6, vcc_lo, v8, s42
	s_wait_alu 0xfffd
	v_add_co_ci_u32_e64 v7, null, s43, v9, vcc_lo
	s_mov_b32 s41, s36
	flat_load_b64 v[6:7], v[6:7]
.LBB166_30:                             ;   Parent Loop BB166_4 Depth=1
                                        ;     Parent Loop BB166_23 Depth=2
                                        ;       Parent Loop BB166_26 Depth=3
                                        ;         Parent Loop BB166_29 Depth=4
                                        ; =>        This Inner Loop Header: Depth=5
	scratch_load_b64 v[18:19], off, s19 offset:-4
	v_mov_b32_e32 v20, s21
	s_wait_alu 0xfffe
	s_add_co_i32 s41, s41, -1
	s_addk_co_i32 s21, 0xff20
	ds_load_b64 v[20:21], v20
	s_wait_loadcnt_dscnt 0x100
	v_mul_f32_e32 v22, v21, v7
	v_mul_f32_e32 v21, v21, v6
	s_delay_alu instid0(VALU_DEP_1) | instskip(SKIP_1) | instid1(VALU_DEP_1)
	v_fmac_f32_e32 v21, v20, v7
	s_wait_loadcnt 0x0
	v_sub_f32_e32 v19, v19, v21
	v_fma_f32 v22, v20, v6, -v22
	s_delay_alu instid0(VALU_DEP_1)
	v_sub_f32_e32 v18, v18, v22
	scratch_store_b64 off, v[18:19], s19 offset:-4
	s_add_co_i32 s19, s19, 8
	s_wait_alu 0xfffe
	s_cmp_eq_u32 s41, 0
	s_cbranch_scc0 .LBB166_30
; %bb.31:                               ;   in Loop: Header=BB166_29 Depth=4
	s_add_co_i32 s18, s18, -1
	s_add_co_i32 s20, s20, -8
	s_wait_alu 0xfffe
	s_cmp_le_i32 s18, s14
	s_cbranch_scc0 .LBB166_29
.LBB166_32:                             ;   in Loop: Header=BB166_26 Depth=3
	s_mov_b32 s41, 0
	s_mov_b32 s42, s39
	s_branch .LBB166_34
.LBB166_33:                             ;   in Loop: Header=BB166_34 Depth=4
	s_wait_alu 0xfffe
	s_mulk_i32 s20, 0xe8
	s_lshl_b64 s[18:19], s[18:19], 3
	s_wait_alu 0xfffe
	v_mov_b32_e32 v18, s20
	s_lshl_b32 s20, s41, 3
	s_add_co_i32 s41, s41, 1
	s_addk_co_i32 s42, 0xff20
	s_wait_alu 0xfffe
	s_cmp_eq_u32 s41, s36
	ds_load_b64 v[18:19], v18
	s_wait_loadcnt_dscnt 0x0
	v_mul_f32_e32 v20, v19, v7
	v_mul_f32_e32 v21, v18, v7
	s_delay_alu instid0(VALU_DEP_2) | instskip(NEXT) | instid1(VALU_DEP_2)
	v_fma_f32 v20, v18, v6, -v20
	v_fmac_f32_e32 v21, v19, v6
	v_add_co_u32 v6, vcc_lo, v8, s18
	s_wait_alu 0xfffd
	v_add_co_ci_u32_e64 v7, null, s19, v9, vcc_lo
	scratch_store_b64 off, v[20:21], s20
	flat_store_b64 v[6:7], v[20:21]
	s_cbranch_scc1 .LBB166_25
.LBB166_34:                             ;   Parent Loop BB166_4 Depth=1
                                        ;     Parent Loop BB166_23 Depth=2
                                        ;       Parent Loop BB166_26 Depth=3
                                        ; =>      This Loop Header: Depth=4
                                        ;           Child Loop BB166_36 Depth 5
	s_wait_alu 0xfffe
	s_cmp_lg_u32 s41, 0
	s_cbranch_scc0 .LBB166_38
; %bb.35:                               ;   in Loop: Header=BB166_34 Depth=4
	s_lshl_b32 s18, s41, 3
	s_mov_b32 s19, 0
	scratch_load_b64 v[6:7], off, s18
	s_mov_b32 s20, s42
	s_mov_b32 s21, s41
.LBB166_36:                             ;   Parent Loop BB166_4 Depth=1
                                        ;     Parent Loop BB166_23 Depth=2
                                        ;       Parent Loop BB166_26 Depth=3
                                        ;         Parent Loop BB166_34 Depth=4
                                        ; =>        This Inner Loop Header: Depth=5
	scratch_load_b64 v[18:19], off, s19
	s_wait_alu 0xfffe
	v_mov_b32_e32 v20, s20
	s_add_co_i32 s21, s21, -1
	s_add_co_i32 s20, s20, -8
	s_add_co_i32 s19, s19, 8
	s_wait_alu 0xfffe
	s_cmp_eq_u32 s21, 0
	ds_load_b64 v[20:21], v20
	s_wait_loadcnt_dscnt 0x0
	v_mul_f32_e32 v22, v21, v19
	v_mul_f32_e32 v19, v20, v19
	s_delay_alu instid0(VALU_DEP_2) | instskip(NEXT) | instid1(VALU_DEP_1)
	v_fma_f32 v20, v20, v18, -v22
	v_dual_sub_f32 v6, v6, v20 :: v_dual_fmac_f32 v19, v21, v18
	s_delay_alu instid0(VALU_DEP_1)
	v_sub_f32_e32 v7, v7, v19
	scratch_store_b64 off, v[6:7], s18
	s_cbranch_scc0 .LBB166_36
; %bb.37:                               ;   in Loop: Header=BB166_34 Depth=4
	s_sub_co_i32 s20, s14, s41
	s_wait_alu 0xfffe
	s_ashr_i32 s21, s20, 31
	s_wait_alu 0xfffe
	s_mov_b64 s[18:19], s[20:21]
	s_branch .LBB166_33
.LBB166_38:                             ;   in Loop: Header=BB166_34 Depth=4
                                        ; implicit-def: $vgpr6
                                        ; implicit-def: $sgpr20
                                        ; implicit-def: $sgpr18_sgpr19
	s_cbranch_execz .LBB166_33
; %bb.39:                               ;   in Loop: Header=BB166_34 Depth=4
	scratch_load_b64 v[6:7], off, off
	s_mov_b64 s[18:19], s[14:15]
	s_mov_b32 s20, s14
	s_branch .LBB166_33
.LBB166_40:                             ;   in Loop: Header=BB166_4 Depth=1
	s_mov_b32 s12, 0
.LBB166_41:                             ;   in Loop: Header=BB166_4 Depth=1
	s_delay_alu instid0(SALU_CYCLE_1)
	s_and_b32 vcc_lo, exec_lo, s12
	s_wait_alu 0xfffe
	s_cbranch_vccz .LBB166_2
; %bb.42:                               ;   in Loop: Header=BB166_4 Depth=1
	v_add_co_u32 v16, vcc_lo, v4, v14
	s_wait_alu 0xfffd
	v_add_co_ci_u32_e64 v17, null, v5, v13, vcc_lo
	s_mov_b32 s14, 0
	s_mov_b32 s18, 0
	s_branch .LBB166_44
.LBB166_43:                             ;   in Loop: Header=BB166_44 Depth=2
	s_cmp_lt_i32 s14, s26
	s_cselect_b32 s12, -1, 0
	s_add_co_i32 s15, s18, 1
	s_cmp_lt_u32 s18, 2
	s_cselect_b32 s18, -1, 0
	s_wait_alu 0xfffe
	s_and_b32 s12, s12, s18
	s_mov_b32 s18, s15
	s_and_not1_b32 vcc_lo, exec_lo, s12
	s_wait_alu 0xfffe
	s_cbranch_vccnz .LBB166_2
.LBB166_44:                             ;   Parent Loop BB166_4 Depth=1
                                        ; =>  This Loop Header: Depth=2
                                        ;       Child Loop BB166_47 Depth 3
                                        ;         Child Loop BB166_48 Depth 4
                                        ;         Child Loop BB166_51 Depth 4
                                        ;           Child Loop BB166_52 Depth 5
                                        ;         Child Loop BB166_56 Depth 4
                                        ;           Child Loop BB166_58 Depth 5
	s_mov_b32 s19, s13
	s_getpc_b64 s[20:21]
	s_wait_alu 0xfffe
	s_sext_i32_i16 s21, s21
	s_add_co_u32 s20, s20, __const._ZL30rocblas_trsm_small_left_deviceILi28ELi28ELb1E19rocblas_complex_numIfES1_PKPKS1_PKPS1_Ev13rocblas_fill_18rocblas_operation_17rocblas_diagonal_iiT3_T4_lilT5_lili.step_sizes@rel32@lo+12
	s_wait_alu 0xfffe
	s_add_co_ci_u32 s21, s21, __const._ZL30rocblas_trsm_small_left_deviceILi28ELi28ELb1E19rocblas_complex_numIfES1_PKPKS1_PKPS1_Ev13rocblas_fill_18rocblas_operation_17rocblas_diagonal_iiT3_T4_lilT5_lili.step_sizes@rel32@hi+24
	s_lshl_b64 s[22:23], s[18:19], 2
	s_wait_alu 0xfffe
	s_add_nc_u64 s[20:21], s[20:21], s[22:23]
	s_load_b32 s20, s[20:21], 0x0
	s_wait_kmcnt 0x0
	s_add_co_i32 s19, s20, -1
	s_wait_alu 0xfffe
	s_add_co_i32 s12, s19, s14
	s_delay_alu instid0(SALU_CYCLE_1)
	s_cmp_ge_i32 s12, s26
	s_cbranch_scc1 .LBB166_43
; %bb.45:                               ;   in Loop: Header=BB166_44 Depth=2
	s_ashr_i32 s15, s14, 31
	s_ashr_i32 s21, s20, 31
	s_lshl_b64 s[22:23], s[14:15], 3
	s_max_i32 s36, s20, 1
	s_wait_alu 0xfffe
	v_add_co_u32 v4, vcc_lo, v16, s22
	s_wait_alu 0xfffd
	v_add_co_ci_u32_e64 v5, null, s23, v17, vcc_lo
	s_lshl_b64 s[22:23], s[20:21], 3
	s_lshl_b32 s15, s14, 3
	s_lshl_b32 s21, s20, 3
	s_mul_i32 s37, s14, 0xe8
	s_mul_i32 s38, s20, 0xe8
	s_branch .LBB166_47
.LBB166_46:                             ;   in Loop: Header=BB166_47 Depth=3
	v_add_co_u32 v4, vcc_lo, v4, s22
	s_add_co_i32 s14, s14, s20
	s_wait_alu 0xfffd
	v_add_co_ci_u32_e64 v5, null, s23, v5, vcc_lo
	s_add_co_i32 s12, s19, s14
	s_add_co_i32 s15, s15, s21
	;; [unrolled: 1-line block ×3, first 2 shown]
	s_cmp_ge_i32 s12, s26
	s_cbranch_scc1 .LBB166_43
.LBB166_47:                             ;   Parent Loop BB166_4 Depth=1
                                        ;     Parent Loop BB166_44 Depth=2
                                        ; =>    This Loop Header: Depth=3
                                        ;         Child Loop BB166_48 Depth 4
                                        ;         Child Loop BB166_51 Depth 4
                                        ;           Child Loop BB166_52 Depth 5
                                        ;         Child Loop BB166_56 Depth 4
                                        ;           Child Loop BB166_58 Depth 5
	v_dual_mov_b32 v7, v5 :: v_dual_mov_b32 v6, v4
	s_mov_b32 s12, 4
	s_mov_b32 s39, s36
.LBB166_48:                             ;   Parent Loop BB166_4 Depth=1
                                        ;     Parent Loop BB166_44 Depth=2
                                        ;       Parent Loop BB166_47 Depth=3
                                        ; =>      This Inner Loop Header: Depth=4
	flat_load_b64 v[18:19], v[6:7] offset:-4
	v_add_co_u32 v6, vcc_lo, v6, 8
	s_wait_alu 0xfffd
	v_add_co_ci_u32_e64 v7, null, 0, v7, vcc_lo
	s_add_co_i32 s39, s39, -1
	s_mov_b32 s40, s12
	s_add_co_i32 s12, s12, 8
	s_cmp_eq_u32 s39, 0
	s_wait_loadcnt_dscnt 0x0
	v_mul_f32_e32 v20, s16, v19
	s_delay_alu instid0(VALU_DEP_1) | instskip(NEXT) | instid1(VALU_DEP_1)
	v_dual_mul_f32 v21, s17, v19 :: v_dual_fmac_f32 v20, s17, v18
	v_fma_f32 v19, v18, s16, -v21
	scratch_store_b64 off, v[19:20], s40 offset:-4
	s_cbranch_scc0 .LBB166_48
; %bb.49:                               ;   in Loop: Header=BB166_47 Depth=3
	s_cmp_lt_i32 s14, 1
	s_cbranch_scc1 .LBB166_54
; %bb.50:                               ;   in Loop: Header=BB166_47 Depth=3
	s_mov_b32 s12, 0
	s_mov_b32 s39, s15
.LBB166_51:                             ;   Parent Loop BB166_4 Depth=1
                                        ;     Parent Loop BB166_44 Depth=2
                                        ;       Parent Loop BB166_47 Depth=3
                                        ; =>      This Loop Header: Depth=4
                                        ;           Child Loop BB166_52 Depth 5
	s_lshl_b64 s[40:41], s[12:13], 3
	s_mov_b32 s42, s36
	s_wait_alu 0xfffe
	v_add_co_u32 v6, vcc_lo, v8, s40
	s_wait_alu 0xfffd
	v_add_co_ci_u32_e64 v7, null, s41, v9, vcc_lo
	s_mov_b32 s40, s30
	s_mov_b32 s41, s39
	flat_load_b64 v[6:7], v[6:7]
.LBB166_52:                             ;   Parent Loop BB166_4 Depth=1
                                        ;     Parent Loop BB166_44 Depth=2
                                        ;       Parent Loop BB166_47 Depth=3
                                        ;         Parent Loop BB166_51 Depth=4
                                        ; =>        This Inner Loop Header: Depth=5
	scratch_load_b64 v[18:19], off, s40 offset:-4
	s_wait_alu 0xfffe
	v_mov_b32_e32 v20, s41
	s_add_co_i32 s42, s42, -1
	s_add_co_i32 s41, s41, 8
	ds_load_b64 v[20:21], v20
	s_wait_loadcnt_dscnt 0x100
	v_mul_f32_e32 v22, v21, v7
	v_mul_f32_e32 v21, v21, v6
	s_delay_alu instid0(VALU_DEP_1) | instskip(SKIP_1) | instid1(VALU_DEP_1)
	v_fmac_f32_e32 v21, v20, v7
	s_wait_loadcnt 0x0
	v_sub_f32_e32 v19, v19, v21
	v_fma_f32 v22, v20, v6, -v22
	s_delay_alu instid0(VALU_DEP_1)
	v_sub_f32_e32 v18, v18, v22
	scratch_store_b64 off, v[18:19], s40 offset:-4
	s_add_co_i32 s40, s40, 8
	s_wait_alu 0xfffe
	s_cmp_eq_u32 s42, 0
	s_cbranch_scc0 .LBB166_52
; %bb.53:                               ;   in Loop: Header=BB166_51 Depth=4
	s_add_co_i32 s12, s12, 1
	s_addk_co_i32 s39, 0xe0
	s_cmp_eq_u32 s12, s14
	s_cbranch_scc0 .LBB166_51
.LBB166_54:                             ;   in Loop: Header=BB166_47 Depth=3
	s_mov_b32 s12, 0
	s_mov_b32 s39, s37
	s_branch .LBB166_56
.LBB166_55:                             ;   in Loop: Header=BB166_56 Depth=4
	s_add_co_i32 s40, s12, s14
	s_lshl_b32 s42, s12, 3
	s_wait_alu 0xfffe
	s_mul_i32 s41, s40, 0xe8
	s_add_co_i32 s12, s12, 1
	s_wait_alu 0xfffe
	v_mov_b32_e32 v18, s41
	s_ashr_i32 s41, s40, 31
	s_add_co_i32 s39, s39, 8
	s_wait_alu 0xfffe
	s_lshl_b64 s[40:41], s[40:41], 3
	s_cmp_eq_u32 s12, s36
	ds_load_b64 v[18:19], v18
	s_wait_loadcnt_dscnt 0x0
	v_mul_f32_e32 v20, v19, v7
	v_mul_f32_e32 v21, v18, v7
	s_delay_alu instid0(VALU_DEP_2) | instskip(NEXT) | instid1(VALU_DEP_2)
	v_fma_f32 v20, v18, v6, -v20
	v_fmac_f32_e32 v21, v19, v6
	s_wait_alu 0xfffe
	v_add_co_u32 v6, vcc_lo, v8, s40
	s_wait_alu 0xfffd
	v_add_co_ci_u32_e64 v7, null, s41, v9, vcc_lo
	scratch_store_b64 off, v[20:21], s42
	flat_store_b64 v[6:7], v[20:21]
	s_cbranch_scc1 .LBB166_46
.LBB166_56:                             ;   Parent Loop BB166_4 Depth=1
                                        ;     Parent Loop BB166_44 Depth=2
                                        ;       Parent Loop BB166_47 Depth=3
                                        ; =>      This Loop Header: Depth=4
                                        ;           Child Loop BB166_58 Depth 5
	s_cmp_lg_u32 s12, 0
	s_cbranch_scc0 .LBB166_60
; %bb.57:                               ;   in Loop: Header=BB166_56 Depth=4
	s_lshl_b32 s40, s12, 3
	s_mov_b32 s41, 0
	scratch_load_b64 v[6:7], off, s40
	s_mov_b32 s42, s39
	s_mov_b32 s43, s12
.LBB166_58:                             ;   Parent Loop BB166_4 Depth=1
                                        ;     Parent Loop BB166_44 Depth=2
                                        ;       Parent Loop BB166_47 Depth=3
                                        ;         Parent Loop BB166_56 Depth=4
                                        ; =>        This Inner Loop Header: Depth=5
	scratch_load_b64 v[18:19], off, s41
	s_wait_alu 0xfffe
	v_mov_b32_e32 v20, s42
	s_add_co_i32 s43, s43, -1
	s_addk_co_i32 s42, 0xe0
	s_add_co_i32 s41, s41, 8
	s_wait_alu 0xfffe
	s_cmp_eq_u32 s43, 0
	ds_load_b64 v[20:21], v20
	s_wait_loadcnt_dscnt 0x0
	v_mul_f32_e32 v22, v21, v19
	v_mul_f32_e32 v19, v20, v19
	s_delay_alu instid0(VALU_DEP_2) | instskip(NEXT) | instid1(VALU_DEP_1)
	v_fma_f32 v20, v20, v18, -v22
	v_dual_sub_f32 v6, v6, v20 :: v_dual_fmac_f32 v19, v21, v18
	s_delay_alu instid0(VALU_DEP_1)
	v_sub_f32_e32 v7, v7, v19
	scratch_store_b64 off, v[6:7], s40
	s_cbranch_scc0 .LBB166_58
; %bb.59:                               ;   in Loop: Header=BB166_56 Depth=4
	s_branch .LBB166_55
.LBB166_60:                             ;   in Loop: Header=BB166_56 Depth=4
                                        ; implicit-def: $vgpr6
	s_cbranch_execz .LBB166_55
; %bb.61:                               ;   in Loop: Header=BB166_56 Depth=4
	scratch_load_b64 v[6:7], off, off
	s_branch .LBB166_55
.LBB166_62:
	s_or_b32 exec_lo, exec_lo, s33
	s_and_saveexec_b32 s0, s34
	s_wait_alu 0xfffe
	s_xor_b32 s0, exec_lo, s0
.LBB166_63:
	s_endpgm
	.section	.rodata,"a",@progbits
	.p2align	6, 0x0
	.amdhsa_kernel _ZL30rocblas_trsm_small_left_deviceILi28ELi28ELb1E19rocblas_complex_numIfES1_PKPKS1_PKPS1_Ev13rocblas_fill_18rocblas_operation_17rocblas_diagonal_iiT3_T4_lilT5_lili
		.amdhsa_group_segment_fixed_size 6272
		.amdhsa_private_segment_fixed_size 240
		.amdhsa_kernarg_size 360
		.amdhsa_user_sgpr_count 2
		.amdhsa_user_sgpr_dispatch_ptr 0
		.amdhsa_user_sgpr_queue_ptr 0
		.amdhsa_user_sgpr_kernarg_segment_ptr 1
		.amdhsa_user_sgpr_dispatch_id 0
		.amdhsa_user_sgpr_private_segment_size 0
		.amdhsa_wavefront_size32 1
		.amdhsa_uses_dynamic_stack 0
		.amdhsa_enable_private_segment 1
		.amdhsa_system_sgpr_workgroup_id_x 1
		.amdhsa_system_sgpr_workgroup_id_y 0
		.amdhsa_system_sgpr_workgroup_id_z 1
		.amdhsa_system_sgpr_workgroup_info 0
		.amdhsa_system_vgpr_workitem_id 0
		.amdhsa_next_free_vgpr 241
		.amdhsa_next_free_sgpr 44
		.amdhsa_reserve_vcc 1
		.amdhsa_float_round_mode_32 0
		.amdhsa_float_round_mode_16_64 0
		.amdhsa_float_denorm_mode_32 3
		.amdhsa_float_denorm_mode_16_64 3
		.amdhsa_fp16_overflow 0
		.amdhsa_workgroup_processor_mode 1
		.amdhsa_memory_ordered 1
		.amdhsa_forward_progress 1
		.amdhsa_inst_pref_size 25
		.amdhsa_round_robin_scheduling 0
		.amdhsa_exception_fp_ieee_invalid_op 0
		.amdhsa_exception_fp_denorm_src 0
		.amdhsa_exception_fp_ieee_div_zero 0
		.amdhsa_exception_fp_ieee_overflow 0
		.amdhsa_exception_fp_ieee_underflow 0
		.amdhsa_exception_fp_ieee_inexact 0
		.amdhsa_exception_int_div_zero 0
	.end_amdhsa_kernel
	.section	.text._ZL30rocblas_trsm_small_left_deviceILi28ELi28ELb1E19rocblas_complex_numIfES1_PKPKS1_PKPS1_Ev13rocblas_fill_18rocblas_operation_17rocblas_diagonal_iiT3_T4_lilT5_lili,"axG",@progbits,_ZL30rocblas_trsm_small_left_deviceILi28ELi28ELb1E19rocblas_complex_numIfES1_PKPKS1_PKPS1_Ev13rocblas_fill_18rocblas_operation_17rocblas_diagonal_iiT3_T4_lilT5_lili,comdat
.Lfunc_end166:
	.size	_ZL30rocblas_trsm_small_left_deviceILi28ELi28ELb1E19rocblas_complex_numIfES1_PKPKS1_PKPS1_Ev13rocblas_fill_18rocblas_operation_17rocblas_diagonal_iiT3_T4_lilT5_lili, .Lfunc_end166-_ZL30rocblas_trsm_small_left_deviceILi28ELi28ELb1E19rocblas_complex_numIfES1_PKPKS1_PKPS1_Ev13rocblas_fill_18rocblas_operation_17rocblas_diagonal_iiT3_T4_lilT5_lili
                                        ; -- End function
	.set _ZL30rocblas_trsm_small_left_deviceILi28ELi28ELb1E19rocblas_complex_numIfES1_PKPKS1_PKPS1_Ev13rocblas_fill_18rocblas_operation_17rocblas_diagonal_iiT3_T4_lilT5_lili.num_vgpr, 23
	.set _ZL30rocblas_trsm_small_left_deviceILi28ELi28ELb1E19rocblas_complex_numIfES1_PKPKS1_PKPS1_Ev13rocblas_fill_18rocblas_operation_17rocblas_diagonal_iiT3_T4_lilT5_lili.num_agpr, 0
	.set _ZL30rocblas_trsm_small_left_deviceILi28ELi28ELb1E19rocblas_complex_numIfES1_PKPKS1_PKPS1_Ev13rocblas_fill_18rocblas_operation_17rocblas_diagonal_iiT3_T4_lilT5_lili.numbered_sgpr, 44
	.set _ZL30rocblas_trsm_small_left_deviceILi28ELi28ELb1E19rocblas_complex_numIfES1_PKPKS1_PKPS1_Ev13rocblas_fill_18rocblas_operation_17rocblas_diagonal_iiT3_T4_lilT5_lili.num_named_barrier, 0
	.set _ZL30rocblas_trsm_small_left_deviceILi28ELi28ELb1E19rocblas_complex_numIfES1_PKPKS1_PKPS1_Ev13rocblas_fill_18rocblas_operation_17rocblas_diagonal_iiT3_T4_lilT5_lili.private_seg_size, 240
	.set _ZL30rocblas_trsm_small_left_deviceILi28ELi28ELb1E19rocblas_complex_numIfES1_PKPKS1_PKPS1_Ev13rocblas_fill_18rocblas_operation_17rocblas_diagonal_iiT3_T4_lilT5_lili.uses_vcc, 1
	.set _ZL30rocblas_trsm_small_left_deviceILi28ELi28ELb1E19rocblas_complex_numIfES1_PKPKS1_PKPS1_Ev13rocblas_fill_18rocblas_operation_17rocblas_diagonal_iiT3_T4_lilT5_lili.uses_flat_scratch, 0
	.set _ZL30rocblas_trsm_small_left_deviceILi28ELi28ELb1E19rocblas_complex_numIfES1_PKPKS1_PKPS1_Ev13rocblas_fill_18rocblas_operation_17rocblas_diagonal_iiT3_T4_lilT5_lili.has_dyn_sized_stack, 0
	.set _ZL30rocblas_trsm_small_left_deviceILi28ELi28ELb1E19rocblas_complex_numIfES1_PKPKS1_PKPS1_Ev13rocblas_fill_18rocblas_operation_17rocblas_diagonal_iiT3_T4_lilT5_lili.has_recursion, 0
	.set _ZL30rocblas_trsm_small_left_deviceILi28ELi28ELb1E19rocblas_complex_numIfES1_PKPKS1_PKPS1_Ev13rocblas_fill_18rocblas_operation_17rocblas_diagonal_iiT3_T4_lilT5_lili.has_indirect_call, 0
	.section	.AMDGPU.csdata,"",@progbits
; Kernel info:
; codeLenInByte = 3096
; TotalNumSgprs: 46
; NumVgprs: 23
; ScratchSize: 240
; MemoryBound: 0
; FloatMode: 240
; IeeeMode: 1
; LDSByteSize: 6272 bytes/workgroup (compile time only)
; SGPRBlocks: 0
; VGPRBlocks: 30
; NumSGPRsForWavesPerEU: 46
; NumVGPRsForWavesPerEU: 241
; Occupancy: 5
; WaveLimiterHint : 1
; COMPUTE_PGM_RSRC2:SCRATCH_EN: 1
; COMPUTE_PGM_RSRC2:USER_SGPR: 2
; COMPUTE_PGM_RSRC2:TRAP_HANDLER: 0
; COMPUTE_PGM_RSRC2:TGID_X_EN: 1
; COMPUTE_PGM_RSRC2:TGID_Y_EN: 0
; COMPUTE_PGM_RSRC2:TGID_Z_EN: 1
; COMPUTE_PGM_RSRC2:TIDIG_COMP_CNT: 0
	.section	.text._ZL31rocblas_trsm_small_right_deviceI19rocblas_complex_numIfES1_PKPKS1_PKPS1_Li28EEv13rocblas_fill_18rocblas_operation_17rocblas_diagonal_iiT0_T1_lilT2_lili,"axG",@progbits,_ZL31rocblas_trsm_small_right_deviceI19rocblas_complex_numIfES1_PKPKS1_PKPS1_Li28EEv13rocblas_fill_18rocblas_operation_17rocblas_diagonal_iiT0_T1_lilT2_lili,comdat
	.globl	_ZL31rocblas_trsm_small_right_deviceI19rocblas_complex_numIfES1_PKPKS1_PKPS1_Li28EEv13rocblas_fill_18rocblas_operation_17rocblas_diagonal_iiT0_T1_lilT2_lili ; -- Begin function _ZL31rocblas_trsm_small_right_deviceI19rocblas_complex_numIfES1_PKPKS1_PKPS1_Li28EEv13rocblas_fill_18rocblas_operation_17rocblas_diagonal_iiT0_T1_lilT2_lili
	.p2align	8
	.type	_ZL31rocblas_trsm_small_right_deviceI19rocblas_complex_numIfES1_PKPKS1_PKPS1_Li28EEv13rocblas_fill_18rocblas_operation_17rocblas_diagonal_iiT0_T1_lilT2_lili,@function
_ZL31rocblas_trsm_small_right_deviceI19rocblas_complex_numIfES1_PKPKS1_PKPS1_Li28EEv13rocblas_fill_18rocblas_operation_17rocblas_diagonal_iiT0_T1_lilT2_lili: ; @_ZL31rocblas_trsm_small_right_deviceI19rocblas_complex_numIfES1_PKPKS1_PKPS1_Li28EEv13rocblas_fill_18rocblas_operation_17rocblas_diagonal_iiT0_T1_lilT2_lili
; %bb.0:
	s_load_b32 s19, s[0:1], 0x60
	s_lshr_b32 s2, ttmp7, 16
	s_wait_kmcnt 0x0
	s_cmp_ge_u32 s2, s19
	s_cbranch_scc1 .LBB167_150
; %bb.1:
	s_clause 0x6
	s_load_b32 s20, s[0:1], 0x30
	s_load_b32 s30, s[0:1], 0x50
	s_load_b128 s[12:15], s[0:1], 0x0
	s_load_b96 s[16:18], s[0:1], 0x10
	s_load_b32 s3, s[0:1], 0x68
	s_load_b128 s[4:7], s[0:1], 0x20
	s_load_b128 s[8:11], s[0:1], 0x40
	s_mul_i32 s0, ttmp9, 0xffffffe4
	v_dual_mov_b32 v12, 1.0 :: v_dual_lshlrev_b32 v21, 3, v0
	s_mov_b32 s22, ttmp9
	v_mul_u32_u24_e32 v1, 0xe0, v0
	s_delay_alu instid0(VALU_DEP_2) | instskip(SKIP_1) | instid1(VALU_DEP_3)
	v_dual_mov_b32 v13, 0 :: v_dual_add_nc_u32 v14, 0x1880, v21
	v_lshlrev_b32_e32 v29, 3, v0
	v_add_nc_u32_e32 v28, v21, v1
	s_wait_kmcnt 0x0
	s_ashr_i32 s21, s20, 31
	s_ashr_i32 s31, s30, 31
	s_cmp_lg_u32 s12, 0x7a
	s_cselect_b32 s27, -1, 0
	s_cmp_lg_u32 s13, 0x71
	s_cselect_b32 s1, -1, 0
	s_min_i32 s24, s16, 28
	s_add_co_i32 s3, s3, -1
	s_add_co_i32 s0, s15, s0
	s_add_co_i32 s25, s24, -1
	s_cmp_ge_u32 ttmp9, s3
	s_mov_b32 s3, 0
	s_cselect_b32 s15, s0, 28
	s_ashr_i32 s23, ttmp9, 31
	s_cmp_eq_u32 s14, 0x84
	v_cmp_gt_i32_e32 vcc_lo, s15, v0
	s_cselect_b32 s26, -1, 0
	s_cmp_gt_i32 s16, 0
	v_cmp_gt_i32_e64 s0, s24, v0
	s_cselect_b32 s14, -1, 0
	s_cmp_lg_u32 s13, 0x6f
	s_cselect_b32 s13, -1, 0
	s_cmp_lg_u32 s12, 0x79
	s_cselect_b32 s12, -1, 0
	s_or_b32 s27, s27, s13
	s_or_b32 s28, s12, s13
	s_cmp_gt_i32 s16, 3
	v_cndmask_b32_e64 v22, 0, 1, s12
	s_mul_u64 s[12:13], s[22:23], 0xe0
	s_cselect_b32 s22, -1, 0
	s_wait_alu 0xfffe
	s_and_b32 s23, vcc_lo, s14
	s_lshl_b64 s[14:15], s[6:7], 3
	s_lshl_b64 s[6:7], s[10:11], 3
	s_wait_alu 0xfffe
	v_add_co_u32 v2, s10, s14, v21
	s_delay_alu instid0(VALU_DEP_1)
	v_add_co_ci_u32_e64 v23, null, s15, 0, s10
	s_add_nc_u64 s[14:15], s[12:13], s[6:7]
	v_or_b32_e32 v24, 4, v2
	s_wait_alu 0xfffe
	v_add_co_u32 v3, s14, s14, v21
	s_wait_alu 0xf1ff
	v_add_co_ci_u32_e64 v25, null, s15, 0, s14
	s_lshl_b64 s[14:15], s[30:31], 3
	s_mul_i32 s30, s24, 0xe0
	v_or_b32_e32 v26, 4, v3
	v_add3_u32 v27, s30, v21, 0x17a0
	s_mul_i32 s31, s24, 0xe8
	s_lshl_b32 s33, s24, 3
	s_lshl_b64 s[10:11], s[20:21], 3
	s_wait_alu 0xfffe
	s_add_co_i32 s29, s31, 0xffffff00
	s_addk_co_i32 s30, 0xff20
	s_addk_co_i32 s31, 0xfc78
	s_add_co_i32 s33, s33, -8
	s_branch .LBB167_3
.LBB167_2:                              ;   in Loop: Header=BB167_3 Depth=1
	s_wait_alu 0xfffe
	s_or_b32 exec_lo, exec_lo, s20
	s_add_co_i32 s2, s2, 0x10000
	s_delay_alu instid0(SALU_CYCLE_1)
	s_cmp_lt_u32 s2, s19
	s_cbranch_scc0 .LBB167_150
.LBB167_3:                              ; =>This Loop Header: Depth=1
                                        ;     Child Loop BB167_6 Depth 2
                                        ;     Child Loop BB167_14 Depth 2
                                        ;     Child Loop BB167_20 Depth 2
                                        ;       Child Loop BB167_21 Depth 3
                                        ;     Child Loop BB167_43 Depth 2
                                        ;       Child Loop BB167_44 Depth 3
                                        ;     Child Loop BB167_52 Depth 2
	;; [unrolled: 2-line block ×8, first 2 shown]
	s_lshl_b64 s[20:21], s[2:3], 3
	s_wait_alu 0xfffe
	s_add_nc_u64 s[34:35], s[8:9], s[20:21]
	global_load_b64 v[15:16], v13, s[34:35]
	s_and_saveexec_b32 s34, s0
	s_cbranch_execz .LBB167_12
; %bb.4:                                ;   in Loop: Header=BB167_3 Depth=1
	s_add_nc_u64 s[20:21], s[4:5], s[20:21]
	v_mov_b32_e32 v4, v21
	global_load_b64 v[0:1], v13, s[20:21]
	s_mov_b32 s20, s24
	s_wait_loadcnt 0x0
	v_add_co_u32 v0, vcc_lo, v0, v24
	s_wait_alu 0xfffd
	v_add_co_ci_u32_e64 v1, null, v1, v23, vcc_lo
	s_branch .LBB167_6
.LBB167_5:                              ;   in Loop: Header=BB167_6 Depth=2
	flat_load_b32 v2, v[0:1] offset:-4
	v_add_co_u32 v0, vcc_lo, v0, s10
	s_wait_alu 0xfffd
	v_add_co_ci_u32_e64 v1, null, s11, v1, vcc_lo
	s_add_co_i32 s20, s20, -1
	s_wait_alu 0xfffe
	s_cmp_eq_u32 s20, 0
	s_wait_loadcnt_dscnt 0x0
	ds_store_b64 v4, v[2:3]
	v_add_nc_u32_e32 v4, 0xe0, v4
	s_cbranch_scc1 .LBB167_10
.LBB167_6:                              ;   Parent Loop BB167_3 Depth=1
                                        ; =>  This Inner Loop Header: Depth=2
	s_and_b32 vcc_lo, exec_lo, s1
	s_mov_b32 s21, -1
                                        ; implicit-def: $vgpr3
	s_wait_alu 0xfffe
	s_cbranch_vccz .LBB167_8
; %bb.7:                                ;   in Loop: Header=BB167_6 Depth=2
	flat_load_b32 v3, v[0:1]
	s_mov_b32 s21, 0
.LBB167_8:                              ;   in Loop: Header=BB167_6 Depth=2
	s_wait_alu 0xfffe
	s_and_not1_b32 vcc_lo, exec_lo, s21
	s_wait_alu 0xfffe
	s_cbranch_vccnz .LBB167_5
; %bb.9:                                ;   in Loop: Header=BB167_6 Depth=2
	flat_load_b32 v2, v[0:1]
	s_wait_loadcnt_dscnt 0x0
	v_xor_b32_e32 v3, 0x80000000, v2
	s_branch .LBB167_5
.LBB167_10:                             ;   in Loop: Header=BB167_3 Depth=1
	s_and_b32 vcc_lo, exec_lo, s26
	s_wait_alu 0xfffe
	s_cbranch_vccz .LBB167_12
; %bb.11:                               ;   in Loop: Header=BB167_3 Depth=1
	ds_store_b64 v28, v[12:13]
.LBB167_12:                             ;   in Loop: Header=BB167_3 Depth=1
	s_wait_alu 0xfffe
	s_or_b32 exec_lo, exec_lo, s34
	s_and_saveexec_b32 s20, s23
	s_cbranch_execz .LBB167_15
; %bb.13:                               ;   in Loop: Header=BB167_3 Depth=1
	s_wait_loadcnt 0x0
	v_add_co_u32 v0, vcc_lo, v15, v26
	s_wait_alu 0xfffd
	v_add_co_ci_u32_e64 v1, null, v16, v25, vcc_lo
	v_mov_b32_e32 v2, v14
	s_mov_b32 s21, s16
.LBB167_14:                             ;   Parent Loop BB167_3 Depth=1
                                        ; =>  This Inner Loop Header: Depth=2
	flat_load_b64 v[3:4], v[0:1] offset:-4
	v_add_co_u32 v0, vcc_lo, v0, s14
	s_wait_alu 0xfffd
	v_add_co_ci_u32_e64 v1, null, s15, v1, vcc_lo
	s_wait_alu 0xfffe
	s_add_co_i32 s21, s21, -1
	s_wait_alu 0xfffe
	s_cmp_lg_u32 s21, 0
	s_wait_loadcnt_dscnt 0x0
	v_mul_f32_e32 v5, s17, v4
	s_delay_alu instid0(VALU_DEP_1) | instskip(NEXT) | instid1(VALU_DEP_1)
	v_dual_mul_f32 v6, s18, v4 :: v_dual_fmac_f32 v5, s18, v3
	v_fma_f32 v4, s17, v3, -v6
	ds_store_b64 v2, v[4:5]
	v_add_nc_u32_e32 v2, 0xe0, v2
	s_cbranch_scc1 .LBB167_14
.LBB167_15:                             ;   in Loop: Header=BB167_3 Depth=1
	s_wait_alu 0xfffe
	s_or_b32 exec_lo, exec_lo, s20
	s_delay_alu instid0(SALU_CYCLE_1)
	s_and_b32 vcc_lo, exec_lo, s28
	s_mov_b32 s20, -1
	; wave barrier
	s_wait_loadcnt_dscnt 0x0
	global_inv scope:SCOPE_SE
	s_wait_alu 0xfffe
	s_cbranch_vccz .LBB167_115
; %bb.16:                               ;   in Loop: Header=BB167_3 Depth=1
	s_and_b32 vcc_lo, exec_lo, s27
	s_wait_alu 0xfffe
	s_cbranch_vccz .LBB167_83
; %bb.17:                               ;   in Loop: Header=BB167_3 Depth=1
	v_cmp_ne_u32_e32 vcc_lo, 1, v22
	s_cbranch_vccnz .LBB167_50
; %bb.18:                               ;   in Loop: Header=BB167_3 Depth=1
	s_and_not1_b32 vcc_lo, exec_lo, s22
	s_mov_b32 s34, 0
	s_wait_alu 0xfffe
	s_cbranch_vccnz .LBB167_40
; %bb.19:                               ;   in Loop: Header=BB167_3 Depth=1
	s_mov_b32 s20, 0
	s_mov_b32 s21, 0
.LBB167_20:                             ;   Parent Loop BB167_3 Depth=1
                                        ; =>  This Loop Header: Depth=2
                                        ;       Child Loop BB167_21 Depth 3
	s_wait_alu 0xfffe
	v_mad_co_u64_u32 v[8:9], null, 0xe0, s21, v[14:15]
	s_or_b32 s34, s21, 3
	s_cmp_eq_u32 s21, 0
	s_wait_alu 0xfffe
	s_mulk_i32 s34, 0xe0
	s_wait_alu 0xfffe
	v_dual_mov_b32 v4, v14 :: v_dual_add_nc_u32 v11, s34, v14
	s_mov_b32 s34, s20
	ds_load_2addr_b64 v[0:3], v8 offset1:28
	ds_load_b64 v[17:18], v8 offset:448
	ds_load_b64 v[9:10], v11
	s_mov_b32 s35, s21
	s_cbranch_scc1 .LBB167_22
.LBB167_21:                             ;   Parent Loop BB167_3 Depth=1
                                        ;     Parent Loop BB167_20 Depth=2
                                        ; =>    This Inner Loop Header: Depth=3
	s_wait_alu 0xfffe
	v_mov_b32_e32 v7, s34
	s_add_co_i32 s35, s35, -1
	s_addk_co_i32 s34, 0xe0
	s_wait_alu 0xfffe
	s_cmp_eq_u32 s35, 0
	ds_load_b64 v[5:6], v4
	ds_load_b128 v[30:33], v7
	ds_load_b128 v[34:37], v7 offset:16
	v_add_nc_u32_e32 v4, 0xe0, v4
	s_wait_dscnt 0x1
	v_mul_f32_e32 v20, v33, v6
	s_wait_dscnt 0x0
	v_dual_mul_f32 v33, v33, v5 :: v_dual_mul_f32 v38, v35, v6
	v_mul_f32_e32 v35, v35, v5
	s_delay_alu instid0(VALU_DEP_3) | instskip(SKIP_1) | instid1(VALU_DEP_3)
	v_fma_f32 v20, v32, v5, -v20
	v_mul_f32_e32 v7, v31, v6
	v_fmac_f32_e32 v35, v34, v6
	v_mul_f32_e32 v39, v37, v6
	s_delay_alu instid0(VALU_DEP_4) | instskip(NEXT) | instid1(VALU_DEP_4)
	v_dual_mul_f32 v37, v37, v5 :: v_dual_sub_f32 v2, v2, v20
	v_fma_f32 v7, v30, v5, -v7
	v_mul_f32_e32 v19, v30, v6
	v_fma_f32 v30, v34, v5, -v38
	s_delay_alu instid0(VALU_DEP_4) | instskip(SKIP_1) | instid1(VALU_DEP_4)
	v_fmac_f32_e32 v37, v36, v6
	v_fmac_f32_e32 v33, v32, v6
	v_dual_sub_f32 v0, v0, v7 :: v_dual_fmac_f32 v19, v31, v5
	v_sub_f32_e32 v18, v18, v35
	v_fma_f32 v5, v36, v5, -v39
	v_dual_sub_f32 v17, v17, v30 :: v_dual_sub_f32 v10, v10, v37
	s_delay_alu instid0(VALU_DEP_4) | instskip(SKIP_1) | instid1(VALU_DEP_4)
	v_sub_f32_e32 v1, v1, v19
	v_sub_f32_e32 v3, v3, v33
	;; [unrolled: 1-line block ×3, first 2 shown]
	s_cbranch_scc0 .LBB167_21
.LBB167_22:                             ;   in Loop: Header=BB167_20 Depth=2
	s_lshl_b32 s34, s21, 3
	s_mul_i32 s35, s21, 0xe0
	s_mov_b32 s36, -1
	s_wait_alu 0xfffe
	s_add_co_i32 s35, s34, s35
                                        ; implicit-def: $vgpr20
	s_wait_alu 0xfffe
	v_mov_b32_e32 v4, s35
	ds_load_b64 v[4:5], v4
	s_wait_dscnt 0x0
	v_and_b32_e32 v6, 0x7fffffff, v4
	v_and_b32_e32 v7, 0x7fffffff, v5
	s_delay_alu instid0(VALU_DEP_1)
	v_cmp_ngt_f32_e32 vcc_lo, v6, v7
	s_cbranch_vccz .LBB167_24
; %bb.23:                               ;   in Loop: Header=BB167_20 Depth=2
	v_div_scale_f32 v6, null, v5, v5, v4
	v_div_scale_f32 v20, vcc_lo, v4, v5, v4
	s_mov_b32 s36, 0
	v_rcp_f32_e32 v7, v6
	v_xor_b32_e32 v6, 0x80000000, v6
	s_delay_alu instid0(TRANS32_DEP_1) | instid1(VALU_DEP_1)
	v_fma_f32 v19, v6, v7, 1.0
	s_delay_alu instid0(VALU_DEP_1) | instskip(NEXT) | instid1(VALU_DEP_1)
	v_fmac_f32_e32 v7, v19, v7
	v_mul_f32_e32 v19, v20, v7
	s_delay_alu instid0(VALU_DEP_1) | instskip(NEXT) | instid1(VALU_DEP_1)
	v_fma_f32 v30, v6, v19, v20
	v_fmac_f32_e32 v19, v30, v7
	s_delay_alu instid0(VALU_DEP_1) | instskip(SKIP_1) | instid1(VALU_DEP_1)
	v_fmac_f32_e32 v20, v6, v19
	s_wait_alu 0xfffd
	v_div_fmas_f32 v6, v20, v7, v19
	s_delay_alu instid0(VALU_DEP_1) | instskip(NEXT) | instid1(VALU_DEP_1)
	v_div_fixup_f32 v6, v6, v5, v4
	v_fma_f32 v7, v4, v6, v5
	s_delay_alu instid0(VALU_DEP_1) | instskip(SKIP_1) | instid1(VALU_DEP_2)
	v_div_scale_f32 v19, null, v7, v7, 1.0
	v_div_scale_f32 v31, vcc_lo, 1.0, v7, 1.0
	v_rcp_f32_e32 v20, v19
	v_xor_b32_e32 v19, 0x80000000, v19
	s_delay_alu instid0(TRANS32_DEP_1) | instid1(VALU_DEP_1)
	v_fma_f32 v30, v19, v20, 1.0
	s_delay_alu instid0(VALU_DEP_1) | instskip(NEXT) | instid1(VALU_DEP_1)
	v_fmac_f32_e32 v20, v30, v20
	v_mul_f32_e32 v30, v31, v20
	s_delay_alu instid0(VALU_DEP_1) | instskip(NEXT) | instid1(VALU_DEP_1)
	v_fma_f32 v32, v19, v30, v31
	v_fmac_f32_e32 v30, v32, v20
	s_delay_alu instid0(VALU_DEP_1) | instskip(SKIP_1) | instid1(VALU_DEP_1)
	v_fmac_f32_e32 v31, v19, v30
	s_wait_alu 0xfffd
	v_div_fmas_f32 v19, v31, v20, v30
	v_fma_f32 v20, v0, v6, v1
	v_fma_f32 v6, v1, v6, -v0
	s_delay_alu instid0(VALU_DEP_3) | instskip(NEXT) | instid1(VALU_DEP_1)
	v_div_fixup_f32 v7, v19, v7, 1.0
	v_mul_f32_e32 v19, v20, v7
	s_delay_alu instid0(VALU_DEP_3)
	v_mul_f32_e32 v20, v6, v7
.LBB167_24:                             ;   in Loop: Header=BB167_20 Depth=2
	s_wait_alu 0xfffe
	s_and_not1_b32 vcc_lo, exec_lo, s36
	s_wait_alu 0xfffe
	s_cbranch_vccnz .LBB167_26
; %bb.25:                               ;   in Loop: Header=BB167_20 Depth=2
	v_div_scale_f32 v6, null, v4, v4, v5
	v_div_scale_f32 v20, vcc_lo, v5, v4, v5
	s_delay_alu instid0(VALU_DEP_2)
	v_rcp_f32_e32 v7, v6
	v_xor_b32_e32 v6, 0x80000000, v6
	s_delay_alu instid0(TRANS32_DEP_1) | instid1(VALU_DEP_1)
	v_fma_f32 v19, v6, v7, 1.0
	s_delay_alu instid0(VALU_DEP_1) | instskip(NEXT) | instid1(VALU_DEP_1)
	v_fmac_f32_e32 v7, v19, v7
	v_mul_f32_e32 v19, v20, v7
	s_delay_alu instid0(VALU_DEP_1) | instskip(NEXT) | instid1(VALU_DEP_1)
	v_fma_f32 v30, v6, v19, v20
	v_fmac_f32_e32 v19, v30, v7
	s_delay_alu instid0(VALU_DEP_1) | instskip(SKIP_1) | instid1(VALU_DEP_1)
	v_fmac_f32_e32 v20, v6, v19
	s_wait_alu 0xfffd
	v_div_fmas_f32 v6, v20, v7, v19
	s_delay_alu instid0(VALU_DEP_1) | instskip(NEXT) | instid1(VALU_DEP_1)
	v_div_fixup_f32 v6, v6, v4, v5
	v_fmac_f32_e32 v4, v5, v6
	s_delay_alu instid0(VALU_DEP_1) | instskip(SKIP_1) | instid1(VALU_DEP_2)
	v_div_scale_f32 v5, null, v4, v4, 1.0
	v_div_scale_f32 v20, vcc_lo, 1.0, v4, 1.0
	v_rcp_f32_e32 v7, v5
	v_xor_b32_e32 v5, 0x80000000, v5
	s_delay_alu instid0(TRANS32_DEP_1) | instid1(VALU_DEP_1)
	v_fma_f32 v19, v5, v7, 1.0
	s_delay_alu instid0(VALU_DEP_1) | instskip(NEXT) | instid1(VALU_DEP_1)
	v_fmac_f32_e32 v7, v19, v7
	v_mul_f32_e32 v19, v20, v7
	s_delay_alu instid0(VALU_DEP_1) | instskip(NEXT) | instid1(VALU_DEP_1)
	v_fma_f32 v30, v5, v19, v20
	v_fmac_f32_e32 v19, v30, v7
	s_delay_alu instid0(VALU_DEP_1) | instskip(SKIP_1) | instid1(VALU_DEP_1)
	v_fmac_f32_e32 v20, v5, v19
	s_wait_alu 0xfffd
	v_div_fmas_f32 v5, v20, v7, v19
	v_fma_f32 v7, v1, v6, v0
	v_fma_f32 v0, -v0, v6, v1
	s_delay_alu instid0(VALU_DEP_3) | instskip(NEXT) | instid1(VALU_DEP_1)
	v_div_fixup_f32 v4, v5, v4, 1.0
	v_mul_f32_e32 v19, v7, v4
	s_delay_alu instid0(VALU_DEP_3)
	v_mul_f32_e32 v20, v0, v4
.LBB167_26:                             ;   in Loop: Header=BB167_20 Depth=2
	v_mov_b32_e32 v0, s35
	s_mov_b32 s36, -1
	ds_store_b64 v8, v[19:20]
	ds_load_2addr_b64 v[4:7], v0 offset0:1 offset1:29
	s_wait_dscnt 0x0
	v_mul_f32_e32 v0, v20, v5
	v_mul_f32_e32 v1, v19, v5
	v_and_b32_e32 v5, 0x7fffffff, v6
	v_and_b32_e32 v30, 0x7fffffff, v7
	s_delay_alu instid0(VALU_DEP_4) | instskip(NEXT) | instid1(VALU_DEP_4)
	v_fma_f32 v0, v19, v4, -v0
	v_fmac_f32_e32 v1, v20, v4
	s_delay_alu instid0(VALU_DEP_3) | instskip(NEXT) | instid1(VALU_DEP_2)
	v_cmp_ngt_f32_e32 vcc_lo, v5, v30
                                        ; implicit-def: $vgpr5
	v_dual_sub_f32 v0, v2, v0 :: v_dual_sub_f32 v1, v3, v1
	s_cbranch_vccz .LBB167_28
; %bb.27:                               ;   in Loop: Header=BB167_20 Depth=2
	v_div_scale_f32 v2, null, v7, v7, v6
	v_div_scale_f32 v5, vcc_lo, v6, v7, v6
	s_mov_b32 s36, 0
	v_rcp_f32_e32 v3, v2
	v_xor_b32_e32 v2, 0x80000000, v2
	s_delay_alu instid0(TRANS32_DEP_1) | instid1(VALU_DEP_1)
	v_fma_f32 v4, v2, v3, 1.0
	s_delay_alu instid0(VALU_DEP_1) | instskip(NEXT) | instid1(VALU_DEP_1)
	v_fmac_f32_e32 v3, v4, v3
	v_mul_f32_e32 v4, v5, v3
	s_delay_alu instid0(VALU_DEP_1) | instskip(NEXT) | instid1(VALU_DEP_1)
	v_fma_f32 v30, v2, v4, v5
	v_fmac_f32_e32 v4, v30, v3
	s_delay_alu instid0(VALU_DEP_1) | instskip(SKIP_1) | instid1(VALU_DEP_1)
	v_fmac_f32_e32 v5, v2, v4
	s_wait_alu 0xfffd
	v_div_fmas_f32 v2, v5, v3, v4
	s_delay_alu instid0(VALU_DEP_1) | instskip(NEXT) | instid1(VALU_DEP_1)
	v_div_fixup_f32 v2, v2, v7, v6
	v_fma_f32 v3, v6, v2, v7
	s_delay_alu instid0(VALU_DEP_1) | instskip(SKIP_1) | instid1(VALU_DEP_2)
	v_div_scale_f32 v4, null, v3, v3, 1.0
	v_div_scale_f32 v31, vcc_lo, 1.0, v3, 1.0
	v_rcp_f32_e32 v5, v4
	v_xor_b32_e32 v4, 0x80000000, v4
	s_delay_alu instid0(TRANS32_DEP_1) | instid1(VALU_DEP_1)
	v_fma_f32 v30, v4, v5, 1.0
	s_delay_alu instid0(VALU_DEP_1) | instskip(NEXT) | instid1(VALU_DEP_1)
	v_fmac_f32_e32 v5, v30, v5
	v_mul_f32_e32 v30, v31, v5
	s_delay_alu instid0(VALU_DEP_1) | instskip(NEXT) | instid1(VALU_DEP_1)
	v_fma_f32 v32, v4, v30, v31
	v_fmac_f32_e32 v30, v32, v5
	s_delay_alu instid0(VALU_DEP_1) | instskip(SKIP_1) | instid1(VALU_DEP_1)
	v_fmac_f32_e32 v31, v4, v30
	s_wait_alu 0xfffd
	v_div_fmas_f32 v4, v31, v5, v30
	v_fma_f32 v5, v2, v0, v1
	v_fma_f32 v2, v2, v1, -v0
	s_delay_alu instid0(VALU_DEP_3) | instskip(NEXT) | instid1(VALU_DEP_1)
	v_div_fixup_f32 v3, v4, v3, 1.0
	v_mul_f32_e32 v4, v5, v3
	s_delay_alu instid0(VALU_DEP_3)
	v_mul_f32_e32 v5, v2, v3
.LBB167_28:                             ;   in Loop: Header=BB167_20 Depth=2
	s_wait_alu 0xfffe
	s_and_not1_b32 vcc_lo, exec_lo, s36
	s_wait_alu 0xfffe
	s_cbranch_vccnz .LBB167_30
; %bb.29:                               ;   in Loop: Header=BB167_20 Depth=2
	v_div_scale_f32 v2, null, v6, v6, v7
	v_div_scale_f32 v5, vcc_lo, v7, v6, v7
	s_delay_alu instid0(VALU_DEP_2)
	v_rcp_f32_e32 v3, v2
	v_xor_b32_e32 v2, 0x80000000, v2
	s_delay_alu instid0(TRANS32_DEP_1) | instid1(VALU_DEP_1)
	v_fma_f32 v4, v2, v3, 1.0
	s_delay_alu instid0(VALU_DEP_1) | instskip(NEXT) | instid1(VALU_DEP_1)
	v_fmac_f32_e32 v3, v4, v3
	v_mul_f32_e32 v4, v5, v3
	s_delay_alu instid0(VALU_DEP_1) | instskip(NEXT) | instid1(VALU_DEP_1)
	v_fma_f32 v30, v2, v4, v5
	v_fmac_f32_e32 v4, v30, v3
	s_delay_alu instid0(VALU_DEP_1) | instskip(SKIP_1) | instid1(VALU_DEP_1)
	v_fmac_f32_e32 v5, v2, v4
	s_wait_alu 0xfffd
	v_div_fmas_f32 v2, v5, v3, v4
	s_delay_alu instid0(VALU_DEP_1) | instskip(NEXT) | instid1(VALU_DEP_1)
	v_div_fixup_f32 v2, v2, v6, v7
	v_fmac_f32_e32 v6, v7, v2
	s_delay_alu instid0(VALU_DEP_1) | instskip(SKIP_1) | instid1(VALU_DEP_2)
	v_div_scale_f32 v3, null, v6, v6, 1.0
	v_div_scale_f32 v7, vcc_lo, 1.0, v6, 1.0
	v_rcp_f32_e32 v4, v3
	v_xor_b32_e32 v3, 0x80000000, v3
	s_delay_alu instid0(TRANS32_DEP_1) | instid1(VALU_DEP_1)
	v_fma_f32 v5, v3, v4, 1.0
	s_delay_alu instid0(VALU_DEP_1) | instskip(NEXT) | instid1(VALU_DEP_1)
	v_fmac_f32_e32 v4, v5, v4
	v_mul_f32_e32 v5, v7, v4
	s_delay_alu instid0(VALU_DEP_1) | instskip(NEXT) | instid1(VALU_DEP_1)
	v_fma_f32 v30, v3, v5, v7
	v_fmac_f32_e32 v5, v30, v4
	s_delay_alu instid0(VALU_DEP_1) | instskip(SKIP_1) | instid1(VALU_DEP_1)
	v_fmac_f32_e32 v7, v3, v5
	s_wait_alu 0xfffd
	v_div_fmas_f32 v3, v7, v4, v5
	v_fma_f32 v4, v2, v1, v0
	v_fma_f32 v0, -v2, v0, v1
	s_delay_alu instid0(VALU_DEP_3) | instskip(NEXT) | instid1(VALU_DEP_1)
	v_div_fixup_f32 v3, v3, v6, 1.0
	v_mul_f32_e32 v4, v4, v3
	s_delay_alu instid0(VALU_DEP_3)
	v_mul_f32_e32 v5, v0, v3
.LBB167_30:                             ;   in Loop: Header=BB167_20 Depth=2
	v_mov_b32_e32 v0, s35
	s_add_co_i32 s36, s35, 0xe8
	s_or_b32 s37, s34, 8
	s_mov_b32 s38, -1
	s_wait_alu 0xfffe
	s_sub_co_i32 s37, s36, s37
	ds_load_2addr_b64 v[0:3], v0 offset0:2 offset1:58
	s_wait_alu 0xfffe
	s_add_co_i32 s37, s37, s34
	ds_store_b64 v8, v[4:5] offset:224
	s_wait_dscnt 0x1
	s_wait_alu 0xfffe
	v_dual_mov_b32 v6, s37 :: v_dual_and_b32 v31, 0x7fffffff, v2
	ds_load_b64 v[6:7], v6 offset:16
	v_mul_f32_e32 v30, v20, v1
	v_mul_f32_e32 v1, v19, v1
	s_delay_alu instid0(VALU_DEP_2) | instskip(NEXT) | instid1(VALU_DEP_2)
	v_fma_f32 v30, v19, v0, -v30
	v_dual_fmac_f32 v1, v20, v0 :: v_dual_and_b32 v32, 0x7fffffff, v3
	s_delay_alu instid0(VALU_DEP_2) | instskip(NEXT) | instid1(VALU_DEP_2)
	v_sub_f32_e32 v17, v17, v30
	v_cmp_ngt_f32_e32 vcc_lo, v31, v32
	s_and_b32 vcc_lo, exec_lo, vcc_lo
	s_wait_dscnt 0x0
	v_dual_mul_f32 v0, v5, v7 :: v_dual_sub_f32 v1, v18, v1
	s_delay_alu instid0(VALU_DEP_1) | instskip(NEXT) | instid1(VALU_DEP_1)
	v_fma_f32 v0, v4, v6, -v0
	v_dual_mul_f32 v7, v4, v7 :: v_dual_sub_f32 v0, v17, v0
	s_delay_alu instid0(VALU_DEP_1) | instskip(NEXT) | instid1(VALU_DEP_1)
	v_fmac_f32_e32 v7, v5, v6
	v_sub_f32_e32 v1, v1, v7
                                        ; implicit-def: $vgpr7
	s_wait_alu 0xfffe
	s_cbranch_vccz .LBB167_32
; %bb.31:                               ;   in Loop: Header=BB167_20 Depth=2
	v_div_scale_f32 v6, null, v3, v3, v2
	v_div_scale_f32 v18, vcc_lo, v2, v3, v2
	s_mov_b32 s38, 0
	v_rcp_f32_e32 v7, v6
	v_xor_b32_e32 v6, 0x80000000, v6
	s_delay_alu instid0(TRANS32_DEP_1) | instid1(VALU_DEP_1)
	v_fma_f32 v17, v6, v7, 1.0
	s_delay_alu instid0(VALU_DEP_1) | instskip(NEXT) | instid1(VALU_DEP_1)
	v_fmac_f32_e32 v7, v17, v7
	v_mul_f32_e32 v17, v18, v7
	s_delay_alu instid0(VALU_DEP_1) | instskip(NEXT) | instid1(VALU_DEP_1)
	v_fma_f32 v30, v6, v17, v18
	v_fmac_f32_e32 v17, v30, v7
	s_delay_alu instid0(VALU_DEP_1) | instskip(SKIP_1) | instid1(VALU_DEP_1)
	v_fmac_f32_e32 v18, v6, v17
	s_wait_alu 0xfffd
	v_div_fmas_f32 v6, v18, v7, v17
	s_delay_alu instid0(VALU_DEP_1) | instskip(NEXT) | instid1(VALU_DEP_1)
	v_div_fixup_f32 v6, v6, v3, v2
	v_fma_f32 v7, v2, v6, v3
	s_delay_alu instid0(VALU_DEP_1) | instskip(SKIP_1) | instid1(VALU_DEP_2)
	v_div_scale_f32 v17, null, v7, v7, 1.0
	v_div_scale_f32 v31, vcc_lo, 1.0, v7, 1.0
	v_rcp_f32_e32 v18, v17
	v_xor_b32_e32 v17, 0x80000000, v17
	s_delay_alu instid0(TRANS32_DEP_1) | instid1(VALU_DEP_1)
	v_fma_f32 v30, v17, v18, 1.0
	s_delay_alu instid0(VALU_DEP_1) | instskip(NEXT) | instid1(VALU_DEP_1)
	v_fmac_f32_e32 v18, v30, v18
	v_mul_f32_e32 v30, v31, v18
	s_delay_alu instid0(VALU_DEP_1) | instskip(NEXT) | instid1(VALU_DEP_1)
	v_fma_f32 v32, v17, v30, v31
	v_fmac_f32_e32 v30, v32, v18
	s_delay_alu instid0(VALU_DEP_1) | instskip(SKIP_1) | instid1(VALU_DEP_1)
	v_fmac_f32_e32 v31, v17, v30
	s_wait_alu 0xfffd
	v_div_fmas_f32 v17, v31, v18, v30
	v_fma_f32 v18, v6, v0, v1
	s_delay_alu instid0(VALU_DEP_2) | instskip(SKIP_1) | instid1(VALU_DEP_2)
	v_div_fixup_f32 v7, v17, v7, 1.0
	v_fma_f32 v17, v6, v1, -v0
	v_mul_f32_e32 v6, v18, v7
	s_delay_alu instid0(VALU_DEP_2)
	v_mul_f32_e32 v7, v17, v7
.LBB167_32:                             ;   in Loop: Header=BB167_20 Depth=2
	s_wait_alu 0xfffe
	s_and_not1_b32 vcc_lo, exec_lo, s38
	s_wait_alu 0xfffe
	s_cbranch_vccnz .LBB167_34
; %bb.33:                               ;   in Loop: Header=BB167_20 Depth=2
	v_div_scale_f32 v6, null, v2, v2, v3
	v_div_scale_f32 v18, vcc_lo, v3, v2, v3
	s_delay_alu instid0(VALU_DEP_2)
	v_rcp_f32_e32 v7, v6
	v_xor_b32_e32 v6, 0x80000000, v6
	s_delay_alu instid0(TRANS32_DEP_1) | instid1(VALU_DEP_1)
	v_fma_f32 v17, v6, v7, 1.0
	s_delay_alu instid0(VALU_DEP_1) | instskip(NEXT) | instid1(VALU_DEP_1)
	v_fmac_f32_e32 v7, v17, v7
	v_mul_f32_e32 v17, v18, v7
	s_delay_alu instid0(VALU_DEP_1) | instskip(NEXT) | instid1(VALU_DEP_1)
	v_fma_f32 v30, v6, v17, v18
	v_fmac_f32_e32 v17, v30, v7
	s_delay_alu instid0(VALU_DEP_1) | instskip(SKIP_1) | instid1(VALU_DEP_1)
	v_fmac_f32_e32 v18, v6, v17
	s_wait_alu 0xfffd
	v_div_fmas_f32 v6, v18, v7, v17
	s_delay_alu instid0(VALU_DEP_1) | instskip(NEXT) | instid1(VALU_DEP_1)
	v_div_fixup_f32 v6, v6, v2, v3
	v_fmac_f32_e32 v2, v3, v6
	s_delay_alu instid0(VALU_DEP_1) | instskip(SKIP_1) | instid1(VALU_DEP_2)
	v_div_scale_f32 v3, null, v2, v2, 1.0
	v_div_scale_f32 v18, vcc_lo, 1.0, v2, 1.0
	v_rcp_f32_e32 v7, v3
	v_xor_b32_e32 v3, 0x80000000, v3
	s_delay_alu instid0(TRANS32_DEP_1) | instid1(VALU_DEP_1)
	v_fma_f32 v17, v3, v7, 1.0
	s_delay_alu instid0(VALU_DEP_1) | instskip(NEXT) | instid1(VALU_DEP_1)
	v_fmac_f32_e32 v7, v17, v7
	v_mul_f32_e32 v17, v18, v7
	s_delay_alu instid0(VALU_DEP_1) | instskip(NEXT) | instid1(VALU_DEP_1)
	v_fma_f32 v30, v3, v17, v18
	v_fmac_f32_e32 v17, v30, v7
	s_delay_alu instid0(VALU_DEP_1) | instskip(SKIP_1) | instid1(VALU_DEP_1)
	v_fmac_f32_e32 v18, v3, v17
	s_wait_alu 0xfffd
	v_div_fmas_f32 v3, v18, v7, v17
	v_fma_f32 v7, v6, v1, v0
	v_fma_f32 v0, -v6, v0, v1
	s_delay_alu instid0(VALU_DEP_3) | instskip(NEXT) | instid1(VALU_DEP_1)
	v_div_fixup_f32 v2, v3, v2, 1.0
	v_mul_f32_e32 v6, v7, v2
	s_delay_alu instid0(VALU_DEP_3)
	v_mul_f32_e32 v7, v0, v2
.LBB167_34:                             ;   in Loop: Header=BB167_20 Depth=2
	v_dual_mov_b32 v0, s35 :: v_dual_mov_b32 v17, s37
	s_or_b32 s35, s34, 16
	ds_store_b64 v8, v[6:7] offset:448
	s_wait_alu 0xfffe
	s_sub_co_i32 s35, s36, s35
	ds_load_2addr_b64 v[0:3], v0 offset0:3 offset1:87
	s_wait_alu 0xfffe
	s_add_co_i32 s34, s35, s34
	ds_load_b64 v[17:18], v17 offset:24
	s_wait_alu 0xfffe
	v_mov_b32_e32 v30, s34
	s_mov_b32 s34, -1
	s_wait_dscnt 0x1
	v_mul_f32_e32 v32, v20, v1
	v_mul_f32_e32 v1, v19, v1
	ds_load_b64 v[30:31], v30 offset:256
	s_wait_dscnt 0x1
	v_mul_f32_e32 v33, v5, v18
	v_mul_f32_e32 v18, v4, v18
	v_dual_fmac_f32 v1, v20, v0 :: v_dual_and_b32 v34, 0x7fffffff, v2
	v_fma_f32 v19, v19, v0, -v32
	s_delay_alu instid0(VALU_DEP_4) | instskip(NEXT) | instid1(VALU_DEP_4)
	v_fma_f32 v0, v4, v17, -v33
	v_fmac_f32_e32 v18, v5, v17
	s_wait_dscnt 0x0
	v_dual_sub_f32 v1, v10, v1 :: v_dual_mul_f32 v4, v7, v31
	v_mul_f32_e32 v5, v6, v31
	s_delay_alu instid0(VALU_DEP_2) | instskip(SKIP_1) | instid1(VALU_DEP_3)
	v_fma_f32 v4, v6, v30, -v4
	v_sub_f32_e32 v9, v9, v19
	v_dual_fmac_f32 v5, v7, v30 :: v_dual_and_b32 v10, 0x7fffffff, v3
	v_sub_f32_e32 v1, v1, v18
	s_delay_alu instid0(VALU_DEP_3) | instskip(NEXT) | instid1(VALU_DEP_3)
	v_sub_f32_e32 v0, v9, v0
	v_cmp_ngt_f32_e32 vcc_lo, v34, v10
	s_delay_alu instid0(VALU_DEP_2)
	v_dual_sub_f32 v5, v1, v5 :: v_dual_sub_f32 v4, v0, v4
                                        ; implicit-def: $vgpr1
	s_cbranch_vccz .LBB167_36
; %bb.35:                               ;   in Loop: Header=BB167_20 Depth=2
	v_div_scale_f32 v0, null, v3, v3, v2
	v_div_scale_f32 v7, vcc_lo, v2, v3, v2
	s_mov_b32 s34, 0
	v_rcp_f32_e32 v1, v0
	v_xor_b32_e32 v0, 0x80000000, v0
	s_delay_alu instid0(TRANS32_DEP_1) | instid1(VALU_DEP_1)
	v_fma_f32 v6, v0, v1, 1.0
	s_delay_alu instid0(VALU_DEP_1) | instskip(NEXT) | instid1(VALU_DEP_1)
	v_fmac_f32_e32 v1, v6, v1
	v_mul_f32_e32 v6, v7, v1
	s_delay_alu instid0(VALU_DEP_1) | instskip(NEXT) | instid1(VALU_DEP_1)
	v_fma_f32 v8, v0, v6, v7
	v_fmac_f32_e32 v6, v8, v1
	s_delay_alu instid0(VALU_DEP_1) | instskip(SKIP_1) | instid1(VALU_DEP_1)
	v_fmac_f32_e32 v7, v0, v6
	s_wait_alu 0xfffd
	v_div_fmas_f32 v0, v7, v1, v6
	s_delay_alu instid0(VALU_DEP_1) | instskip(NEXT) | instid1(VALU_DEP_1)
	v_div_fixup_f32 v0, v0, v3, v2
	v_fma_f32 v1, v2, v0, v3
	s_delay_alu instid0(VALU_DEP_1) | instskip(SKIP_1) | instid1(VALU_DEP_2)
	v_div_scale_f32 v6, null, v1, v1, 1.0
	v_div_scale_f32 v9, vcc_lo, 1.0, v1, 1.0
	v_rcp_f32_e32 v7, v6
	v_xor_b32_e32 v6, 0x80000000, v6
	s_delay_alu instid0(TRANS32_DEP_1) | instid1(VALU_DEP_1)
	v_fma_f32 v8, v6, v7, 1.0
	s_delay_alu instid0(VALU_DEP_1) | instskip(NEXT) | instid1(VALU_DEP_1)
	v_fmac_f32_e32 v7, v8, v7
	v_mul_f32_e32 v8, v9, v7
	s_delay_alu instid0(VALU_DEP_1) | instskip(NEXT) | instid1(VALU_DEP_1)
	v_fma_f32 v10, v6, v8, v9
	v_fmac_f32_e32 v8, v10, v7
	s_delay_alu instid0(VALU_DEP_1) | instskip(SKIP_1) | instid1(VALU_DEP_1)
	v_fmac_f32_e32 v9, v6, v8
	s_wait_alu 0xfffd
	v_div_fmas_f32 v6, v9, v7, v8
	v_fma_f32 v7, v0, v4, v5
	s_delay_alu instid0(VALU_DEP_2) | instskip(SKIP_1) | instid1(VALU_DEP_2)
	v_div_fixup_f32 v1, v6, v1, 1.0
	v_fma_f32 v6, v0, v5, -v4
	v_mul_f32_e32 v0, v7, v1
	s_delay_alu instid0(VALU_DEP_2)
	v_mul_f32_e32 v1, v6, v1
.LBB167_36:                             ;   in Loop: Header=BB167_20 Depth=2
	s_wait_alu 0xfffe
	s_and_not1_b32 vcc_lo, exec_lo, s34
	s_wait_alu 0xfffe
	s_cbranch_vccnz .LBB167_38
; %bb.37:                               ;   in Loop: Header=BB167_20 Depth=2
	v_div_scale_f32 v0, null, v2, v2, v3
	v_div_scale_f32 v7, vcc_lo, v3, v2, v3
	s_delay_alu instid0(VALU_DEP_2)
	v_rcp_f32_e32 v1, v0
	v_xor_b32_e32 v0, 0x80000000, v0
	s_delay_alu instid0(TRANS32_DEP_1) | instid1(VALU_DEP_1)
	v_fma_f32 v6, v0, v1, 1.0
	s_delay_alu instid0(VALU_DEP_1) | instskip(NEXT) | instid1(VALU_DEP_1)
	v_fmac_f32_e32 v1, v6, v1
	v_mul_f32_e32 v6, v7, v1
	s_delay_alu instid0(VALU_DEP_1) | instskip(NEXT) | instid1(VALU_DEP_1)
	v_fma_f32 v8, v0, v6, v7
	v_fmac_f32_e32 v6, v8, v1
	s_delay_alu instid0(VALU_DEP_1) | instskip(SKIP_1) | instid1(VALU_DEP_1)
	v_fmac_f32_e32 v7, v0, v6
	s_wait_alu 0xfffd
	v_div_fmas_f32 v0, v7, v1, v6
	s_delay_alu instid0(VALU_DEP_1) | instskip(NEXT) | instid1(VALU_DEP_1)
	v_div_fixup_f32 v0, v0, v2, v3
	v_fmac_f32_e32 v2, v3, v0
	s_delay_alu instid0(VALU_DEP_1) | instskip(SKIP_1) | instid1(VALU_DEP_2)
	v_div_scale_f32 v1, null, v2, v2, 1.0
	v_div_scale_f32 v7, vcc_lo, 1.0, v2, 1.0
	v_rcp_f32_e32 v3, v1
	v_xor_b32_e32 v1, 0x80000000, v1
	s_delay_alu instid0(TRANS32_DEP_1) | instid1(VALU_DEP_1)
	v_fma_f32 v6, v1, v3, 1.0
	s_delay_alu instid0(VALU_DEP_1) | instskip(NEXT) | instid1(VALU_DEP_1)
	v_fmac_f32_e32 v3, v6, v3
	v_mul_f32_e32 v6, v7, v3
	s_delay_alu instid0(VALU_DEP_1) | instskip(NEXT) | instid1(VALU_DEP_1)
	v_fma_f32 v8, v1, v6, v7
	v_fmac_f32_e32 v6, v8, v3
	s_delay_alu instid0(VALU_DEP_1) | instskip(SKIP_1) | instid1(VALU_DEP_1)
	v_fmac_f32_e32 v7, v1, v6
	s_wait_alu 0xfffd
	v_div_fmas_f32 v1, v7, v3, v6
	v_fma_f32 v3, v0, v5, v4
	s_delay_alu instid0(VALU_DEP_2) | instskip(SKIP_1) | instid1(VALU_DEP_2)
	v_div_fixup_f32 v1, v1, v2, 1.0
	v_fma_f32 v2, -v0, v4, v5
	v_mul_f32_e32 v0, v3, v1
	s_delay_alu instid0(VALU_DEP_2)
	v_mul_f32_e32 v1, v2, v1
.LBB167_38:                             ;   in Loop: Header=BB167_20 Depth=2
	s_add_co_i32 s34, s21, 4
	s_add_co_i32 s21, s21, 7
	;; [unrolled: 1-line block ×3, first 2 shown]
	s_wait_alu 0xfffe
	s_cmp_ge_i32 s21, s24
	ds_store_b64 v11, v[0:1]
	s_cbranch_scc1 .LBB167_40
; %bb.39:                               ;   in Loop: Header=BB167_20 Depth=2
	s_mov_b32 s21, s34
	s_branch .LBB167_20
.LBB167_40:                             ;   in Loop: Header=BB167_3 Depth=1
	s_cmp_ge_i32 s34, s24
	s_cbranch_scc1 .LBB167_49
; %bb.41:                               ;   in Loop: Header=BB167_3 Depth=1
	s_lshl_b32 s20, s34, 3
	s_branch .LBB167_43
.LBB167_42:                             ;   in Loop: Header=BB167_43 Depth=2
	s_add_co_i32 s34, s34, 1
	s_add_co_i32 s20, s20, 8
	s_wait_alu 0xfffe
	s_cmp_ge_i32 s34, s24
	ds_store_b64 v6, v[4:5]
	s_cbranch_scc1 .LBB167_49
.LBB167_43:                             ;   Parent Loop BB167_3 Depth=1
                                        ; =>  This Loop Header: Depth=2
                                        ;       Child Loop BB167_44 Depth 3
	s_mul_i32 s21, s34, 0xe0
	v_mov_b32_e32 v2, v14
	s_wait_alu 0xfffe
	v_add_nc_u32_e32 v6, s21, v14
	s_cmp_eq_u32 s34, 0
	s_mov_b32 s35, s20
	s_mov_b32 s36, s34
	ds_load_b64 v[0:1], v6
	s_cbranch_scc1 .LBB167_45
.LBB167_44:                             ;   Parent Loop BB167_3 Depth=1
                                        ;     Parent Loop BB167_43 Depth=2
                                        ; =>    This Inner Loop Header: Depth=3
	s_wait_alu 0xfffe
	v_mov_b32_e32 v5, s35
	s_add_co_i32 s36, s36, -1
	s_addk_co_i32 s35, 0xe0
	s_wait_alu 0xfffe
	s_cmp_eq_u32 s36, 0
	ds_load_b64 v[3:4], v2
	ds_load_b64 v[7:8], v5
	s_wait_dscnt 0x0
	v_dual_mul_f32 v5, v8, v4 :: v_dual_add_nc_u32 v2, 0xe0, v2
	v_mul_f32_e32 v4, v7, v4
	s_delay_alu instid0(VALU_DEP_2) | instskip(NEXT) | instid1(VALU_DEP_2)
	v_fma_f32 v5, v7, v3, -v5
	v_fmac_f32_e32 v4, v8, v3
	s_delay_alu instid0(VALU_DEP_1)
	v_dual_sub_f32 v0, v0, v5 :: v_dual_sub_f32 v1, v1, v4
	s_cbranch_scc0 .LBB167_44
.LBB167_45:                             ;   in Loop: Header=BB167_43 Depth=2
	s_lshl_b32 s35, s34, 3
	s_wait_alu 0xfffe
	s_add_co_i32 s21, s35, s21
	s_wait_alu 0xfffe
	v_mov_b32_e32 v2, s21
	s_mov_b32 s21, -1
	ds_load_b64 v[2:3], v2
	s_wait_dscnt 0x0
	v_and_b32_e32 v4, 0x7fffffff, v2
	v_and_b32_e32 v5, 0x7fffffff, v3
	s_delay_alu instid0(VALU_DEP_1)
	v_cmp_ngt_f32_e32 vcc_lo, v4, v5
                                        ; implicit-def: $vgpr4
	s_cbranch_vccz .LBB167_47
; %bb.46:                               ;   in Loop: Header=BB167_43 Depth=2
	v_div_scale_f32 v4, null, v3, v3, v2
	v_div_scale_f32 v8, vcc_lo, v2, v3, v2
	s_mov_b32 s21, 0
	v_rcp_f32_e32 v5, v4
	v_xor_b32_e32 v4, 0x80000000, v4
	s_delay_alu instid0(TRANS32_DEP_1) | instid1(VALU_DEP_1)
	v_fma_f32 v7, v4, v5, 1.0
	s_delay_alu instid0(VALU_DEP_1) | instskip(NEXT) | instid1(VALU_DEP_1)
	v_fmac_f32_e32 v5, v7, v5
	v_mul_f32_e32 v7, v8, v5
	s_delay_alu instid0(VALU_DEP_1) | instskip(NEXT) | instid1(VALU_DEP_1)
	v_fma_f32 v9, v4, v7, v8
	v_fmac_f32_e32 v7, v9, v5
	s_delay_alu instid0(VALU_DEP_1) | instskip(SKIP_1) | instid1(VALU_DEP_1)
	v_fmac_f32_e32 v8, v4, v7
	s_wait_alu 0xfffd
	v_div_fmas_f32 v4, v8, v5, v7
	s_delay_alu instid0(VALU_DEP_1) | instskip(NEXT) | instid1(VALU_DEP_1)
	v_div_fixup_f32 v4, v4, v3, v2
	v_fma_f32 v5, v2, v4, v3
	s_delay_alu instid0(VALU_DEP_1) | instskip(SKIP_1) | instid1(VALU_DEP_2)
	v_div_scale_f32 v7, null, v5, v5, 1.0
	v_div_scale_f32 v10, vcc_lo, 1.0, v5, 1.0
	v_rcp_f32_e32 v8, v7
	v_xor_b32_e32 v7, 0x80000000, v7
	s_delay_alu instid0(TRANS32_DEP_1) | instid1(VALU_DEP_1)
	v_fma_f32 v9, v7, v8, 1.0
	s_delay_alu instid0(VALU_DEP_1) | instskip(NEXT) | instid1(VALU_DEP_1)
	v_fmac_f32_e32 v8, v9, v8
	v_mul_f32_e32 v9, v10, v8
	s_delay_alu instid0(VALU_DEP_1) | instskip(NEXT) | instid1(VALU_DEP_1)
	v_fma_f32 v11, v7, v9, v10
	v_fmac_f32_e32 v9, v11, v8
	s_delay_alu instid0(VALU_DEP_1) | instskip(SKIP_1) | instid1(VALU_DEP_1)
	v_fmac_f32_e32 v10, v7, v9
	s_wait_alu 0xfffd
	v_div_fmas_f32 v7, v10, v8, v9
	v_fma_f32 v8, v0, v4, v1
	s_delay_alu instid0(VALU_DEP_2) | instskip(SKIP_1) | instid1(VALU_DEP_2)
	v_div_fixup_f32 v5, v7, v5, 1.0
	v_fma_f32 v7, v1, v4, -v0
	v_mul_f32_e32 v4, v8, v5
	s_delay_alu instid0(VALU_DEP_2)
	v_mul_f32_e32 v5, v7, v5
.LBB167_47:                             ;   in Loop: Header=BB167_43 Depth=2
	s_wait_alu 0xfffe
	s_and_not1_b32 vcc_lo, exec_lo, s21
	s_wait_alu 0xfffe
	s_cbranch_vccnz .LBB167_42
; %bb.48:                               ;   in Loop: Header=BB167_43 Depth=2
	v_div_scale_f32 v4, null, v2, v2, v3
	v_div_scale_f32 v8, vcc_lo, v3, v2, v3
	s_delay_alu instid0(VALU_DEP_2)
	v_rcp_f32_e32 v5, v4
	v_xor_b32_e32 v4, 0x80000000, v4
	s_delay_alu instid0(TRANS32_DEP_1) | instid1(VALU_DEP_1)
	v_fma_f32 v7, v4, v5, 1.0
	s_delay_alu instid0(VALU_DEP_1) | instskip(NEXT) | instid1(VALU_DEP_1)
	v_fmac_f32_e32 v5, v7, v5
	v_mul_f32_e32 v7, v8, v5
	s_delay_alu instid0(VALU_DEP_1) | instskip(NEXT) | instid1(VALU_DEP_1)
	v_fma_f32 v9, v4, v7, v8
	v_fmac_f32_e32 v7, v9, v5
	s_delay_alu instid0(VALU_DEP_1) | instskip(SKIP_1) | instid1(VALU_DEP_1)
	v_fmac_f32_e32 v8, v4, v7
	s_wait_alu 0xfffd
	v_div_fmas_f32 v4, v8, v5, v7
	s_delay_alu instid0(VALU_DEP_1) | instskip(NEXT) | instid1(VALU_DEP_1)
	v_div_fixup_f32 v4, v4, v2, v3
	v_fmac_f32_e32 v2, v3, v4
	s_delay_alu instid0(VALU_DEP_1) | instskip(SKIP_1) | instid1(VALU_DEP_2)
	v_div_scale_f32 v3, null, v2, v2, 1.0
	v_div_scale_f32 v8, vcc_lo, 1.0, v2, 1.0
	v_rcp_f32_e32 v5, v3
	v_xor_b32_e32 v3, 0x80000000, v3
	s_delay_alu instid0(TRANS32_DEP_1) | instid1(VALU_DEP_1)
	v_fma_f32 v7, v3, v5, 1.0
	s_delay_alu instid0(VALU_DEP_1) | instskip(NEXT) | instid1(VALU_DEP_1)
	v_fmac_f32_e32 v5, v7, v5
	v_mul_f32_e32 v7, v8, v5
	s_delay_alu instid0(VALU_DEP_1) | instskip(NEXT) | instid1(VALU_DEP_1)
	v_fma_f32 v9, v3, v7, v8
	v_fmac_f32_e32 v7, v9, v5
	s_delay_alu instid0(VALU_DEP_1) | instskip(SKIP_1) | instid1(VALU_DEP_1)
	v_fmac_f32_e32 v8, v3, v7
	s_wait_alu 0xfffd
	v_div_fmas_f32 v3, v8, v5, v7
	v_fma_f32 v5, v1, v4, v0
	v_fma_f32 v0, -v0, v4, v1
	s_delay_alu instid0(VALU_DEP_3) | instskip(NEXT) | instid1(VALU_DEP_1)
	v_div_fixup_f32 v2, v3, v2, 1.0
	v_mul_f32_e32 v4, v5, v2
	s_delay_alu instid0(VALU_DEP_3)
	v_mul_f32_e32 v5, v0, v2
	s_branch .LBB167_42
.LBB167_49:                             ;   in Loop: Header=BB167_3 Depth=1
	s_mov_b32 s20, 0
.LBB167_50:                             ;   in Loop: Header=BB167_3 Depth=1
	s_wait_alu 0xfffe
	s_and_b32 vcc_lo, exec_lo, s20
	s_wait_alu 0xfffe
	s_cbranch_vccz .LBB167_82
; %bb.51:                               ;   in Loop: Header=BB167_3 Depth=1
	s_mov_b32 s34, s25
	s_and_not1_b32 vcc_lo, exec_lo, s22
	s_mov_b32 s20, s29
	s_mov_b32 s21, s25
	s_wait_alu 0xfffe
	s_cbranch_vccnz .LBB167_73
.LBB167_52:                             ;   Parent Loop BB167_3 Depth=1
                                        ; =>  This Loop Header: Depth=2
                                        ;       Child Loop BB167_53 Depth 3
	s_wait_alu 0xfffe
	s_mul_i32 s35, s21, 0xe0
	s_mov_b32 s36, s25
	s_wait_alu 0xfffe
	v_add_nc_u32_e32 v20, s35, v14
	s_add_co_i32 s34, s35, 0xfffffd60
	s_cmp_le_i32 s25, s21
	s_wait_alu 0xfffe
	v_add_nc_u32_e32 v17, s34, v14
	s_mov_b32 s34, s20
	v_dual_mov_b32 v4, v27 :: v_dual_add_nc_u32 v19, 0xffffff20, v20
	v_add_nc_u32_e32 v18, 0xfffffe40, v20
	ds_load_b64 v[8:9], v20
	ds_load_b64 v[6:7], v19
	;; [unrolled: 1-line block ×4, first 2 shown]
	s_cbranch_scc1 .LBB167_54
.LBB167_53:                             ;   Parent Loop BB167_3 Depth=1
                                        ;     Parent Loop BB167_52 Depth=2
                                        ; =>    This Inner Loop Header: Depth=3
	s_wait_alu 0xfffe
	v_mov_b32_e32 v5, s34
	s_add_co_i32 s36, s36, -1
	s_addk_co_i32 s34, 0xff20
	s_wait_alu 0xfffe
	s_cmp_le_i32 s36, s21
	ds_load_b64 v[10:11], v4
	ds_load_2addr_b64 v[30:33], v5 offset0:2 offset1:3
	ds_load_2addr_b64 v[34:37], v5 offset1:1
	s_wait_dscnt 0x1
	v_dual_mul_f32 v5, v33, v11 :: v_dual_add_nc_u32 v4, 0xffffff20, v4
	v_mul_f32_e32 v38, v32, v11
	v_mul_f32_e32 v39, v31, v11
	s_wait_dscnt 0x0
	v_dual_mul_f32 v31, v31, v10 :: v_dual_mul_f32 v40, v37, v11
	v_mul_f32_e32 v41, v35, v11
	v_mul_f32_e32 v35, v35, v10
	v_fma_f32 v5, v32, v10, -v5
	v_mul_f32_e32 v37, v37, v10
	v_fmac_f32_e32 v38, v33, v10
	v_fma_f32 v32, v30, v10, -v39
	v_fmac_f32_e32 v31, v30, v11
	v_fma_f32 v30, v36, v10, -v40
	v_dual_fmac_f32 v35, v34, v11 :: v_dual_sub_f32 v8, v8, v5
	v_fmac_f32_e32 v37, v36, v11
	v_sub_f32_e32 v9, v9, v38
	s_delay_alu instid0(VALU_DEP_4) | instskip(SKIP_1) | instid1(VALU_DEP_4)
	v_sub_f32_e32 v2, v2, v30
	v_fma_f32 v10, v34, v10, -v41
	v_dual_sub_f32 v6, v6, v32 :: v_dual_sub_f32 v3, v3, v37
	s_delay_alu instid0(VALU_DEP_2)
	v_dual_sub_f32 v1, v1, v35 :: v_dual_sub_f32 v0, v0, v10
	v_sub_f32_e32 v7, v7, v31
	s_cbranch_scc0 .LBB167_53
.LBB167_54:                             ;   in Loop: Header=BB167_52 Depth=2
	s_add_co_i32 s34, s21, -3
; %bb.55:                               ;   in Loop: Header=BB167_52 Depth=2
	s_lshl_b32 s36, s21, 3
	s_wait_alu 0xfffe
	s_add_co_i32 s35, s36, s35
	s_mov_b32 s36, -1
	s_wait_alu 0xfffe
	v_mov_b32_e32 v4, s35
	ds_load_b64 v[10:11], v4
	s_wait_dscnt 0x0
	v_and_b32_e32 v4, 0x7fffffff, v10
	v_and_b32_e32 v5, 0x7fffffff, v11
	s_delay_alu instid0(VALU_DEP_1)
	v_cmp_ngt_f32_e32 vcc_lo, v4, v5
                                        ; implicit-def: $vgpr5
	s_cbranch_vccz .LBB167_57
; %bb.56:                               ;   in Loop: Header=BB167_52 Depth=2
	v_div_scale_f32 v4, null, v11, v11, v10
	v_div_scale_f32 v31, vcc_lo, v10, v11, v10
	s_mov_b32 s36, 0
	v_rcp_f32_e32 v5, v4
	v_xor_b32_e32 v4, 0x80000000, v4
	s_delay_alu instid0(TRANS32_DEP_1) | instid1(VALU_DEP_1)
	v_fma_f32 v30, v4, v5, 1.0
	s_delay_alu instid0(VALU_DEP_1) | instskip(NEXT) | instid1(VALU_DEP_1)
	v_fmac_f32_e32 v5, v30, v5
	v_mul_f32_e32 v30, v31, v5
	s_delay_alu instid0(VALU_DEP_1) | instskip(NEXT) | instid1(VALU_DEP_1)
	v_fma_f32 v32, v4, v30, v31
	v_fmac_f32_e32 v30, v32, v5
	s_delay_alu instid0(VALU_DEP_1) | instskip(SKIP_1) | instid1(VALU_DEP_1)
	v_fmac_f32_e32 v31, v4, v30
	s_wait_alu 0xfffd
	v_div_fmas_f32 v4, v31, v5, v30
	s_delay_alu instid0(VALU_DEP_1) | instskip(NEXT) | instid1(VALU_DEP_1)
	v_div_fixup_f32 v4, v4, v11, v10
	v_fma_f32 v5, v10, v4, v11
	s_delay_alu instid0(VALU_DEP_1) | instskip(SKIP_1) | instid1(VALU_DEP_2)
	v_div_scale_f32 v30, null, v5, v5, 1.0
	v_div_scale_f32 v33, vcc_lo, 1.0, v5, 1.0
	v_rcp_f32_e32 v31, v30
	v_xor_b32_e32 v30, 0x80000000, v30
	s_delay_alu instid0(TRANS32_DEP_1) | instid1(VALU_DEP_1)
	v_fma_f32 v32, v30, v31, 1.0
	s_delay_alu instid0(VALU_DEP_1) | instskip(NEXT) | instid1(VALU_DEP_1)
	v_fmac_f32_e32 v31, v32, v31
	v_mul_f32_e32 v32, v33, v31
	s_delay_alu instid0(VALU_DEP_1) | instskip(NEXT) | instid1(VALU_DEP_1)
	v_fma_f32 v34, v30, v32, v33
	v_fmac_f32_e32 v32, v34, v31
	s_delay_alu instid0(VALU_DEP_1) | instskip(SKIP_1) | instid1(VALU_DEP_1)
	v_fmac_f32_e32 v33, v30, v32
	s_wait_alu 0xfffd
	v_div_fmas_f32 v30, v33, v31, v32
	v_fma_f32 v31, v8, v4, v9
	s_delay_alu instid0(VALU_DEP_2) | instskip(SKIP_1) | instid1(VALU_DEP_2)
	v_div_fixup_f32 v5, v30, v5, 1.0
	v_fma_f32 v30, v9, v4, -v8
	v_mul_f32_e32 v4, v31, v5
	s_delay_alu instid0(VALU_DEP_2)
	v_mul_f32_e32 v5, v30, v5
.LBB167_57:                             ;   in Loop: Header=BB167_52 Depth=2
	s_wait_alu 0xfffe
	s_and_not1_b32 vcc_lo, exec_lo, s36
	s_wait_alu 0xfffe
	s_cbranch_vccnz .LBB167_59
; %bb.58:                               ;   in Loop: Header=BB167_52 Depth=2
	v_div_scale_f32 v4, null, v10, v10, v11
	v_div_scale_f32 v31, vcc_lo, v11, v10, v11
	s_delay_alu instid0(VALU_DEP_2)
	v_rcp_f32_e32 v5, v4
	v_xor_b32_e32 v4, 0x80000000, v4
	s_delay_alu instid0(TRANS32_DEP_1) | instid1(VALU_DEP_1)
	v_fma_f32 v30, v4, v5, 1.0
	s_delay_alu instid0(VALU_DEP_1) | instskip(NEXT) | instid1(VALU_DEP_1)
	v_fmac_f32_e32 v5, v30, v5
	v_mul_f32_e32 v30, v31, v5
	s_delay_alu instid0(VALU_DEP_1) | instskip(NEXT) | instid1(VALU_DEP_1)
	v_fma_f32 v32, v4, v30, v31
	v_fmac_f32_e32 v30, v32, v5
	s_delay_alu instid0(VALU_DEP_1) | instskip(SKIP_1) | instid1(VALU_DEP_1)
	v_fmac_f32_e32 v31, v4, v30
	s_wait_alu 0xfffd
	v_div_fmas_f32 v4, v31, v5, v30
	s_delay_alu instid0(VALU_DEP_1) | instskip(NEXT) | instid1(VALU_DEP_1)
	v_div_fixup_f32 v4, v4, v10, v11
	v_fmac_f32_e32 v10, v11, v4
	s_delay_alu instid0(VALU_DEP_1) | instskip(SKIP_1) | instid1(VALU_DEP_2)
	v_div_scale_f32 v5, null, v10, v10, 1.0
	v_div_scale_f32 v31, vcc_lo, 1.0, v10, 1.0
	v_rcp_f32_e32 v11, v5
	v_xor_b32_e32 v5, 0x80000000, v5
	s_delay_alu instid0(TRANS32_DEP_1) | instid1(VALU_DEP_1)
	v_fma_f32 v30, v5, v11, 1.0
	s_delay_alu instid0(VALU_DEP_1) | instskip(NEXT) | instid1(VALU_DEP_1)
	v_fmac_f32_e32 v11, v30, v11
	v_mul_f32_e32 v30, v31, v11
	s_delay_alu instid0(VALU_DEP_1) | instskip(NEXT) | instid1(VALU_DEP_1)
	v_fma_f32 v32, v5, v30, v31
	v_fmac_f32_e32 v30, v32, v11
	s_delay_alu instid0(VALU_DEP_1) | instskip(SKIP_1) | instid1(VALU_DEP_1)
	v_fmac_f32_e32 v31, v5, v30
	s_wait_alu 0xfffd
	v_div_fmas_f32 v5, v31, v11, v30
	v_fma_f32 v11, v9, v4, v8
	v_fma_f32 v8, -v8, v4, v9
	s_delay_alu instid0(VALU_DEP_3) | instskip(NEXT) | instid1(VALU_DEP_1)
	v_div_fixup_f32 v5, v5, v10, 1.0
	v_mul_f32_e32 v4, v11, v5
	s_delay_alu instid0(VALU_DEP_3)
	v_mul_f32_e32 v5, v8, v5
.LBB167_59:                             ;   in Loop: Header=BB167_52 Depth=2
	s_add_co_i32 s37, s35, -8
	s_add_co_i32 s36, s35, 0xffffff18
	s_wait_alu 0xfffe
	v_dual_mov_b32 v8, s37 :: v_dual_mov_b32 v9, s36
	s_mov_b32 s37, -1
	ds_load_b64 v[10:11], v8
	ds_load_b64 v[8:9], v9
	ds_store_b64 v20, v[4:5]
	s_wait_dscnt 0x1
	v_dual_mul_f32 v30, v5, v11 :: v_dual_and_b32 v31, 0x7fffffff, v8
	v_dual_mul_f32 v11, v4, v11 :: v_dual_and_b32 v32, 0x7fffffff, v9
	s_delay_alu instid0(VALU_DEP_2) | instskip(NEXT) | instid1(VALU_DEP_2)
	v_fma_f32 v30, v4, v10, -v30
	v_fmac_f32_e32 v11, v5, v10
	s_delay_alu instid0(VALU_DEP_3) | instskip(NEXT) | instid1(VALU_DEP_2)
	v_cmp_ngt_f32_e32 vcc_lo, v31, v32
	v_dual_sub_f32 v10, v6, v30 :: v_dual_sub_f32 v11, v7, v11
                                        ; implicit-def: $vgpr7
	s_cbranch_vccz .LBB167_61
; %bb.60:                               ;   in Loop: Header=BB167_52 Depth=2
	v_div_scale_f32 v6, null, v9, v9, v8
	v_div_scale_f32 v30, vcc_lo, v8, v9, v8
	s_mov_b32 s37, 0
	v_rcp_f32_e32 v7, v6
	v_xor_b32_e32 v6, 0x80000000, v6
	s_delay_alu instid0(TRANS32_DEP_1) | instid1(VALU_DEP_1)
	v_fma_f32 v20, v6, v7, 1.0
	s_delay_alu instid0(VALU_DEP_1) | instskip(NEXT) | instid1(VALU_DEP_1)
	v_fmac_f32_e32 v7, v20, v7
	v_mul_f32_e32 v20, v30, v7
	s_delay_alu instid0(VALU_DEP_1) | instskip(NEXT) | instid1(VALU_DEP_1)
	v_fma_f32 v31, v6, v20, v30
	v_fmac_f32_e32 v20, v31, v7
	s_delay_alu instid0(VALU_DEP_1) | instskip(SKIP_1) | instid1(VALU_DEP_1)
	v_fmac_f32_e32 v30, v6, v20
	s_wait_alu 0xfffd
	v_div_fmas_f32 v6, v30, v7, v20
	s_delay_alu instid0(VALU_DEP_1) | instskip(NEXT) | instid1(VALU_DEP_1)
	v_div_fixup_f32 v6, v6, v9, v8
	v_fma_f32 v7, v8, v6, v9
	s_delay_alu instid0(VALU_DEP_1) | instskip(SKIP_1) | instid1(VALU_DEP_2)
	v_div_scale_f32 v20, null, v7, v7, 1.0
	v_div_scale_f32 v32, vcc_lo, 1.0, v7, 1.0
	v_rcp_f32_e32 v30, v20
	v_xor_b32_e32 v20, 0x80000000, v20
	s_delay_alu instid0(TRANS32_DEP_1) | instid1(VALU_DEP_1)
	v_fma_f32 v31, v20, v30, 1.0
	s_delay_alu instid0(VALU_DEP_1) | instskip(NEXT) | instid1(VALU_DEP_1)
	v_fmac_f32_e32 v30, v31, v30
	v_mul_f32_e32 v31, v32, v30
	s_delay_alu instid0(VALU_DEP_1) | instskip(NEXT) | instid1(VALU_DEP_1)
	v_fma_f32 v33, v20, v31, v32
	v_fmac_f32_e32 v31, v33, v30
	s_delay_alu instid0(VALU_DEP_1) | instskip(SKIP_1) | instid1(VALU_DEP_1)
	v_fmac_f32_e32 v32, v20, v31
	s_wait_alu 0xfffd
	v_div_fmas_f32 v20, v32, v30, v31
	v_fma_f32 v30, v6, v10, v11
	s_delay_alu instid0(VALU_DEP_2) | instskip(SKIP_1) | instid1(VALU_DEP_2)
	v_div_fixup_f32 v7, v20, v7, 1.0
	v_fma_f32 v20, v6, v11, -v10
	v_mul_f32_e32 v6, v30, v7
	s_delay_alu instid0(VALU_DEP_2)
	v_mul_f32_e32 v7, v20, v7
.LBB167_61:                             ;   in Loop: Header=BB167_52 Depth=2
	s_wait_alu 0xfffe
	s_and_not1_b32 vcc_lo, exec_lo, s37
	s_wait_alu 0xfffe
	s_cbranch_vccnz .LBB167_63
; %bb.62:                               ;   in Loop: Header=BB167_52 Depth=2
	v_div_scale_f32 v6, null, v8, v8, v9
	v_div_scale_f32 v30, vcc_lo, v9, v8, v9
	s_delay_alu instid0(VALU_DEP_2)
	v_rcp_f32_e32 v7, v6
	v_xor_b32_e32 v6, 0x80000000, v6
	s_delay_alu instid0(TRANS32_DEP_1) | instid1(VALU_DEP_1)
	v_fma_f32 v20, v6, v7, 1.0
	s_delay_alu instid0(VALU_DEP_1) | instskip(NEXT) | instid1(VALU_DEP_1)
	v_fmac_f32_e32 v7, v20, v7
	v_mul_f32_e32 v20, v30, v7
	s_delay_alu instid0(VALU_DEP_1) | instskip(NEXT) | instid1(VALU_DEP_1)
	v_fma_f32 v31, v6, v20, v30
	v_fmac_f32_e32 v20, v31, v7
	s_delay_alu instid0(VALU_DEP_1) | instskip(SKIP_1) | instid1(VALU_DEP_1)
	v_fmac_f32_e32 v30, v6, v20
	s_wait_alu 0xfffd
	v_div_fmas_f32 v6, v30, v7, v20
	s_delay_alu instid0(VALU_DEP_1) | instskip(NEXT) | instid1(VALU_DEP_1)
	v_div_fixup_f32 v6, v6, v8, v9
	v_fmac_f32_e32 v8, v9, v6
	s_delay_alu instid0(VALU_DEP_1) | instskip(NEXT) | instid1(VALU_DEP_1)
	v_div_scale_f32 v7, null, v8, v8, 1.0
	v_rcp_f32_e32 v9, v7
	v_xor_b32_e32 v7, 0x80000000, v7
	s_delay_alu instid0(TRANS32_DEP_1) | instid1(VALU_DEP_1)
	v_fma_f32 v20, v7, v9, 1.0
	s_delay_alu instid0(VALU_DEP_1) | instskip(SKIP_1) | instid1(VALU_DEP_1)
	v_fmac_f32_e32 v9, v20, v9
	v_div_scale_f32 v30, vcc_lo, 1.0, v8, 1.0
	v_mul_f32_e32 v20, v30, v9
	s_delay_alu instid0(VALU_DEP_1) | instskip(NEXT) | instid1(VALU_DEP_1)
	v_fma_f32 v31, v7, v20, v30
	v_fmac_f32_e32 v20, v31, v9
	s_delay_alu instid0(VALU_DEP_1) | instskip(SKIP_1) | instid1(VALU_DEP_1)
	v_fmac_f32_e32 v30, v7, v20
	s_wait_alu 0xfffd
	v_div_fmas_f32 v7, v30, v9, v20
	v_fma_f32 v9, v6, v11, v10
	s_delay_alu instid0(VALU_DEP_2) | instskip(SKIP_1) | instid1(VALU_DEP_2)
	v_div_fixup_f32 v7, v7, v8, 1.0
	v_fma_f32 v8, -v6, v10, v11
	v_mul_f32_e32 v6, v9, v7
	s_delay_alu instid0(VALU_DEP_2)
	v_mul_f32_e32 v7, v8, v7
.LBB167_63:                             ;   in Loop: Header=BB167_52 Depth=2
	s_add_co_i32 s38, s21, -1
	s_add_co_i32 s37, s35, -16
	s_wait_alu 0xfffe
	s_lshl_b32 s38, s38, 3
	s_wait_alu 0xfffe
	s_sub_co_i32 s38, s36, s38
	s_add_co_i32 s36, s35, 0xfffffe30
	s_wait_alu 0xfffe
	v_dual_mov_b32 v8, s37 :: v_dual_mov_b32 v9, s36
	s_add_co_i32 s37, s21, -2
	s_wait_alu 0xfffe
	s_lshl_b32 s37, s37, 3
	ds_load_b64 v[10:11], v8
	s_wait_alu 0xfffe
	s_add_co_i32 s39, s38, s37
	s_wait_alu 0xfffe
	v_mov_b32_e32 v8, s39
	s_mov_b32 s39, -1
	s_wait_dscnt 0x0
	v_mul_f32_e32 v20, v5, v11
	v_mul_f32_e32 v11, v4, v11
	ds_load_b64 v[30:31], v8
	ds_load_b64 v[8:9], v9
	ds_store_b64 v19, v[6:7]
	v_fmac_f32_e32 v11, v5, v10
	s_wait_dscnt 0x1
	v_and_b32_e32 v33, 0x7fffffff, v9
	v_fma_f32 v20, v4, v10, -v20
	v_mul_f32_e32 v10, v7, v31
	v_dual_mul_f32 v31, v6, v31 :: v_dual_and_b32 v32, 0x7fffffff, v8
	s_delay_alu instid0(VALU_DEP_3) | instskip(NEXT) | instid1(VALU_DEP_3)
	v_dual_sub_f32 v3, v3, v11 :: v_dual_sub_f32 v2, v2, v20
	v_fma_f32 v10, v6, v30, -v10
	s_delay_alu instid0(VALU_DEP_3) | instskip(NEXT) | instid1(VALU_DEP_4)
	v_fmac_f32_e32 v31, v7, v30
	v_cmp_ngt_f32_e32 vcc_lo, v32, v33
	s_delay_alu instid0(VALU_DEP_2)
	v_dual_sub_f32 v2, v2, v10 :: v_dual_sub_f32 v3, v3, v31
                                        ; implicit-def: $vgpr11
	s_cbranch_vccz .LBB167_65
; %bb.64:                               ;   in Loop: Header=BB167_52 Depth=2
	v_div_scale_f32 v10, null, v9, v9, v8
	v_div_scale_f32 v20, vcc_lo, v8, v9, v8
	s_mov_b32 s39, 0
	v_rcp_f32_e32 v11, v10
	v_xor_b32_e32 v10, 0x80000000, v10
	s_delay_alu instid0(TRANS32_DEP_1) | instid1(VALU_DEP_1)
	v_fma_f32 v19, v10, v11, 1.0
	s_delay_alu instid0(VALU_DEP_1) | instskip(NEXT) | instid1(VALU_DEP_1)
	v_fmac_f32_e32 v11, v19, v11
	v_mul_f32_e32 v19, v20, v11
	s_delay_alu instid0(VALU_DEP_1) | instskip(NEXT) | instid1(VALU_DEP_1)
	v_fma_f32 v30, v10, v19, v20
	v_fmac_f32_e32 v19, v30, v11
	s_delay_alu instid0(VALU_DEP_1) | instskip(SKIP_1) | instid1(VALU_DEP_1)
	v_fmac_f32_e32 v20, v10, v19
	s_wait_alu 0xfffd
	v_div_fmas_f32 v10, v20, v11, v19
	s_delay_alu instid0(VALU_DEP_1) | instskip(NEXT) | instid1(VALU_DEP_1)
	v_div_fixup_f32 v10, v10, v9, v8
	v_fma_f32 v11, v8, v10, v9
	s_delay_alu instid0(VALU_DEP_1) | instskip(SKIP_1) | instid1(VALU_DEP_2)
	v_div_scale_f32 v19, null, v11, v11, 1.0
	v_div_scale_f32 v31, vcc_lo, 1.0, v11, 1.0
	v_rcp_f32_e32 v20, v19
	v_xor_b32_e32 v19, 0x80000000, v19
	s_delay_alu instid0(TRANS32_DEP_1) | instid1(VALU_DEP_1)
	v_fma_f32 v30, v19, v20, 1.0
	s_delay_alu instid0(VALU_DEP_1) | instskip(NEXT) | instid1(VALU_DEP_1)
	v_fmac_f32_e32 v20, v30, v20
	v_mul_f32_e32 v30, v31, v20
	s_delay_alu instid0(VALU_DEP_1) | instskip(NEXT) | instid1(VALU_DEP_1)
	v_fma_f32 v32, v19, v30, v31
	v_fmac_f32_e32 v30, v32, v20
	s_delay_alu instid0(VALU_DEP_1) | instskip(SKIP_1) | instid1(VALU_DEP_1)
	v_fmac_f32_e32 v31, v19, v30
	s_wait_alu 0xfffd
	v_div_fmas_f32 v19, v31, v20, v30
	v_fma_f32 v20, v10, v2, v3
	s_delay_alu instid0(VALU_DEP_2) | instskip(SKIP_1) | instid1(VALU_DEP_2)
	v_div_fixup_f32 v11, v19, v11, 1.0
	v_fma_f32 v19, v10, v3, -v2
	v_mul_f32_e32 v10, v20, v11
	s_delay_alu instid0(VALU_DEP_2)
	v_mul_f32_e32 v11, v19, v11
.LBB167_65:                             ;   in Loop: Header=BB167_52 Depth=2
	s_wait_alu 0xfffe
	s_and_not1_b32 vcc_lo, exec_lo, s39
	s_wait_alu 0xfffe
	s_cbranch_vccnz .LBB167_67
; %bb.66:                               ;   in Loop: Header=BB167_52 Depth=2
	v_div_scale_f32 v10, null, v8, v8, v9
	v_div_scale_f32 v20, vcc_lo, v9, v8, v9
	s_delay_alu instid0(VALU_DEP_2)
	v_rcp_f32_e32 v11, v10
	v_xor_b32_e32 v10, 0x80000000, v10
	s_delay_alu instid0(TRANS32_DEP_1) | instid1(VALU_DEP_1)
	v_fma_f32 v19, v10, v11, 1.0
	s_delay_alu instid0(VALU_DEP_1) | instskip(NEXT) | instid1(VALU_DEP_1)
	v_fmac_f32_e32 v11, v19, v11
	v_mul_f32_e32 v19, v20, v11
	s_delay_alu instid0(VALU_DEP_1) | instskip(NEXT) | instid1(VALU_DEP_1)
	v_fma_f32 v30, v10, v19, v20
	v_fmac_f32_e32 v19, v30, v11
	s_delay_alu instid0(VALU_DEP_1) | instskip(SKIP_1) | instid1(VALU_DEP_1)
	v_fmac_f32_e32 v20, v10, v19
	s_wait_alu 0xfffd
	v_div_fmas_f32 v10, v20, v11, v19
	s_delay_alu instid0(VALU_DEP_1) | instskip(NEXT) | instid1(VALU_DEP_1)
	v_div_fixup_f32 v10, v10, v8, v9
	v_fmac_f32_e32 v8, v9, v10
	s_delay_alu instid0(VALU_DEP_1) | instskip(SKIP_1) | instid1(VALU_DEP_2)
	v_div_scale_f32 v9, null, v8, v8, 1.0
	v_div_scale_f32 v20, vcc_lo, 1.0, v8, 1.0
	v_rcp_f32_e32 v11, v9
	v_xor_b32_e32 v9, 0x80000000, v9
	s_delay_alu instid0(TRANS32_DEP_1) | instid1(VALU_DEP_1)
	v_fma_f32 v19, v9, v11, 1.0
	s_delay_alu instid0(VALU_DEP_1) | instskip(NEXT) | instid1(VALU_DEP_1)
	v_fmac_f32_e32 v11, v19, v11
	v_mul_f32_e32 v19, v20, v11
	s_delay_alu instid0(VALU_DEP_1) | instskip(NEXT) | instid1(VALU_DEP_1)
	v_fma_f32 v30, v9, v19, v20
	v_fmac_f32_e32 v19, v30, v11
	s_delay_alu instid0(VALU_DEP_1) | instskip(SKIP_1) | instid1(VALU_DEP_1)
	v_fmac_f32_e32 v20, v9, v19
	s_wait_alu 0xfffd
	v_div_fmas_f32 v9, v20, v11, v19
	v_fma_f32 v11, v10, v3, v2
	v_fma_f32 v2, -v10, v2, v3
	s_delay_alu instid0(VALU_DEP_3) | instskip(NEXT) | instid1(VALU_DEP_1)
	v_div_fixup_f32 v8, v9, v8, 1.0
	v_mul_f32_e32 v10, v11, v8
	s_delay_alu instid0(VALU_DEP_3)
	v_mul_f32_e32 v11, v2, v8
.LBB167_67:                             ;   in Loop: Header=BB167_52 Depth=2
	s_sub_co_i32 s35, s35, 24
	s_lshl_b32 s34, s34, 3
	s_wait_alu 0xfffe
	v_mov_b32_e32 v2, s35
	s_add_co_i32 s35, s38, s34
	s_sub_co_i32 s37, s36, s37
	s_wait_alu 0xfffe
	v_mov_b32_e32 v3, s35
	s_add_co_i32 s34, s37, s34
	ds_load_b64 v[8:9], v2
	ds_load_b64 v[19:20], v3
	s_wait_alu 0xfffe
	v_mov_b32_e32 v30, s34
	s_add_co_i32 s34, s36, 0xffffff18
	s_wait_alu 0xfffe
	v_mov_b32_e32 v2, s34
	s_mov_b32 s34, -1
	s_wait_dscnt 0x1
	v_mul_f32_e32 v32, v5, v9
	v_mul_f32_e32 v9, v4, v9
	s_wait_dscnt 0x0
	v_mul_f32_e32 v33, v7, v20
	ds_load_b64 v[30:31], v30
	ds_load_b64 v[2:3], v2
	v_mul_f32_e32 v20, v6, v20
	ds_store_b64 v18, v[10:11]
	v_fmac_f32_e32 v9, v5, v8
	v_fma_f32 v6, v6, v19, -v33
	s_wait_dscnt 0x2
	s_delay_alu instid0(VALU_DEP_2)
	v_dual_sub_f32 v1, v1, v9 :: v_dual_mul_f32 v34, v11, v31
	v_mul_f32_e32 v31, v10, v31
	v_fma_f32 v4, v4, v8, -v32
	s_wait_dscnt 0x1
	v_dual_fmac_f32 v20, v7, v19 :: v_dual_and_b32 v5, 0x7fffffff, v2
	v_fma_f32 v7, v10, v30, -v34
	s_delay_alu instid0(VALU_DEP_3) | instskip(NEXT) | instid1(VALU_DEP_3)
	v_dual_fmac_f32 v31, v11, v30 :: v_dual_sub_f32 v0, v0, v4
	v_dual_sub_f32 v1, v1, v20 :: v_dual_and_b32 v4, 0x7fffffff, v3
	s_delay_alu instid0(VALU_DEP_2) | instskip(NEXT) | instid1(VALU_DEP_2)
	v_sub_f32_e32 v0, v0, v6
	v_cmp_ngt_f32_e32 vcc_lo, v5, v4
	s_delay_alu instid0(VALU_DEP_3) | instskip(NEXT) | instid1(VALU_DEP_3)
	v_sub_f32_e32 v5, v1, v31
	v_sub_f32_e32 v4, v0, v7
                                        ; implicit-def: $vgpr1
	s_cbranch_vccz .LBB167_69
; %bb.68:                               ;   in Loop: Header=BB167_52 Depth=2
	v_div_scale_f32 v0, null, v3, v3, v2
	v_div_scale_f32 v7, vcc_lo, v2, v3, v2
	s_mov_b32 s34, 0
	v_rcp_f32_e32 v1, v0
	v_xor_b32_e32 v0, 0x80000000, v0
	s_delay_alu instid0(TRANS32_DEP_1) | instid1(VALU_DEP_1)
	v_fma_f32 v6, v0, v1, 1.0
	s_delay_alu instid0(VALU_DEP_1) | instskip(NEXT) | instid1(VALU_DEP_1)
	v_fmac_f32_e32 v1, v6, v1
	v_mul_f32_e32 v6, v7, v1
	s_delay_alu instid0(VALU_DEP_1) | instskip(NEXT) | instid1(VALU_DEP_1)
	v_fma_f32 v8, v0, v6, v7
	v_fmac_f32_e32 v6, v8, v1
	s_delay_alu instid0(VALU_DEP_1) | instskip(SKIP_1) | instid1(VALU_DEP_1)
	v_fmac_f32_e32 v7, v0, v6
	s_wait_alu 0xfffd
	v_div_fmas_f32 v0, v7, v1, v6
	s_delay_alu instid0(VALU_DEP_1) | instskip(NEXT) | instid1(VALU_DEP_1)
	v_div_fixup_f32 v0, v0, v3, v2
	v_fma_f32 v1, v2, v0, v3
	s_delay_alu instid0(VALU_DEP_1) | instskip(SKIP_1) | instid1(VALU_DEP_2)
	v_div_scale_f32 v6, null, v1, v1, 1.0
	v_div_scale_f32 v9, vcc_lo, 1.0, v1, 1.0
	v_rcp_f32_e32 v7, v6
	v_xor_b32_e32 v6, 0x80000000, v6
	s_delay_alu instid0(TRANS32_DEP_1) | instid1(VALU_DEP_1)
	v_fma_f32 v8, v6, v7, 1.0
	s_delay_alu instid0(VALU_DEP_1) | instskip(NEXT) | instid1(VALU_DEP_1)
	v_fmac_f32_e32 v7, v8, v7
	v_mul_f32_e32 v8, v9, v7
	s_delay_alu instid0(VALU_DEP_1) | instskip(NEXT) | instid1(VALU_DEP_1)
	v_fma_f32 v10, v6, v8, v9
	v_fmac_f32_e32 v8, v10, v7
	s_delay_alu instid0(VALU_DEP_1) | instskip(SKIP_1) | instid1(VALU_DEP_1)
	v_fmac_f32_e32 v9, v6, v8
	s_wait_alu 0xfffd
	v_div_fmas_f32 v6, v9, v7, v8
	v_fma_f32 v7, v0, v4, v5
	s_delay_alu instid0(VALU_DEP_2) | instskip(SKIP_1) | instid1(VALU_DEP_2)
	v_div_fixup_f32 v1, v6, v1, 1.0
	v_fma_f32 v6, v0, v5, -v4
	v_mul_f32_e32 v0, v7, v1
	s_delay_alu instid0(VALU_DEP_2)
	v_mul_f32_e32 v1, v6, v1
.LBB167_69:                             ;   in Loop: Header=BB167_52 Depth=2
	s_wait_alu 0xfffe
	s_and_not1_b32 vcc_lo, exec_lo, s34
	s_wait_alu 0xfffe
	s_cbranch_vccnz .LBB167_71
; %bb.70:                               ;   in Loop: Header=BB167_52 Depth=2
	v_div_scale_f32 v0, null, v2, v2, v3
	v_div_scale_f32 v7, vcc_lo, v3, v2, v3
	s_delay_alu instid0(VALU_DEP_2)
	v_rcp_f32_e32 v1, v0
	v_xor_b32_e32 v0, 0x80000000, v0
	s_delay_alu instid0(TRANS32_DEP_1) | instid1(VALU_DEP_1)
	v_fma_f32 v6, v0, v1, 1.0
	s_delay_alu instid0(VALU_DEP_1) | instskip(NEXT) | instid1(VALU_DEP_1)
	v_fmac_f32_e32 v1, v6, v1
	v_mul_f32_e32 v6, v7, v1
	s_delay_alu instid0(VALU_DEP_1) | instskip(NEXT) | instid1(VALU_DEP_1)
	v_fma_f32 v8, v0, v6, v7
	v_fmac_f32_e32 v6, v8, v1
	s_delay_alu instid0(VALU_DEP_1) | instskip(SKIP_1) | instid1(VALU_DEP_1)
	v_fmac_f32_e32 v7, v0, v6
	s_wait_alu 0xfffd
	v_div_fmas_f32 v0, v7, v1, v6
	s_delay_alu instid0(VALU_DEP_1) | instskip(NEXT) | instid1(VALU_DEP_1)
	v_div_fixup_f32 v0, v0, v2, v3
	v_fmac_f32_e32 v2, v3, v0
	s_delay_alu instid0(VALU_DEP_1) | instskip(SKIP_1) | instid1(VALU_DEP_2)
	v_div_scale_f32 v1, null, v2, v2, 1.0
	v_div_scale_f32 v7, vcc_lo, 1.0, v2, 1.0
	v_rcp_f32_e32 v3, v1
	v_xor_b32_e32 v1, 0x80000000, v1
	s_delay_alu instid0(TRANS32_DEP_1) | instid1(VALU_DEP_1)
	v_fma_f32 v6, v1, v3, 1.0
	s_delay_alu instid0(VALU_DEP_1) | instskip(NEXT) | instid1(VALU_DEP_1)
	v_fmac_f32_e32 v3, v6, v3
	v_mul_f32_e32 v6, v7, v3
	s_delay_alu instid0(VALU_DEP_1) | instskip(NEXT) | instid1(VALU_DEP_1)
	v_fma_f32 v8, v1, v6, v7
	v_fmac_f32_e32 v6, v8, v3
	s_delay_alu instid0(VALU_DEP_1) | instskip(SKIP_1) | instid1(VALU_DEP_1)
	v_fmac_f32_e32 v7, v1, v6
	s_wait_alu 0xfffd
	v_div_fmas_f32 v1, v7, v3, v6
	v_fma_f32 v3, v0, v5, v4
	s_delay_alu instid0(VALU_DEP_2) | instskip(SKIP_1) | instid1(VALU_DEP_2)
	v_div_fixup_f32 v1, v1, v2, 1.0
	v_fma_f32 v2, -v0, v4, v5
	v_mul_f32_e32 v0, v3, v1
	s_delay_alu instid0(VALU_DEP_2)
	v_mul_f32_e32 v1, v2, v1
.LBB167_71:                             ;   in Loop: Header=BB167_52 Depth=2
	s_add_co_i32 s34, s21, -4
	s_sub_co_i32 s20, s20, 32
	s_cmp_lt_i32 s21, 7
	ds_store_b64 v17, v[0:1]
	s_cbranch_scc1 .LBB167_73
; %bb.72:                               ;   in Loop: Header=BB167_52 Depth=2
	s_wait_alu 0xfffe
	s_mov_b32 s21, s34
	s_branch .LBB167_52
.LBB167_73:                             ;   in Loop: Header=BB167_3 Depth=1
	s_wait_alu 0xfffe
	s_cmp_lt_i32 s34, 0
	s_cbranch_scc1 .LBB167_82
; %bb.74:                               ;   in Loop: Header=BB167_3 Depth=1
	s_lshl_b32 s20, s34, 3
	s_wait_alu 0xfffe
	s_add_co_i32 s20, s30, s20
	s_branch .LBB167_76
.LBB167_75:                             ;   in Loop: Header=BB167_76 Depth=2
	s_add_co_i32 s21, s34, -1
	s_add_co_i32 s20, s20, -8
	s_cmp_lt_i32 s34, 1
	s_wait_alu 0xfffe
	s_mov_b32 s34, s21
	ds_store_b64 v6, v[4:5]
	s_cbranch_scc1 .LBB167_82
.LBB167_76:                             ;   Parent Loop BB167_3 Depth=1
                                        ; =>  This Loop Header: Depth=2
                                        ;       Child Loop BB167_77 Depth 3
	s_wait_alu 0xfffe
	s_mul_i32 s21, s34, 0xe0
	v_mov_b32_e32 v2, v27
	s_wait_alu 0xfffe
	v_add_nc_u32_e32 v6, s21, v14
	s_cmp_le_i32 s25, s34
	s_mov_b32 s35, s20
	s_mov_b32 s36, s25
	ds_load_b64 v[0:1], v6
	s_cbranch_scc1 .LBB167_78
.LBB167_77:                             ;   Parent Loop BB167_3 Depth=1
                                        ;     Parent Loop BB167_76 Depth=2
                                        ; =>    This Inner Loop Header: Depth=3
	s_wait_alu 0xfffe
	v_mov_b32_e32 v5, s35
	s_add_co_i32 s36, s36, -1
	s_addk_co_i32 s35, 0xff20
	s_wait_alu 0xfffe
	s_cmp_le_i32 s36, s34
	ds_load_b64 v[3:4], v2
	ds_load_b64 v[7:8], v5
	s_wait_dscnt 0x0
	v_dual_mul_f32 v5, v8, v4 :: v_dual_add_nc_u32 v2, 0xffffff20, v2
	v_mul_f32_e32 v4, v7, v4
	s_delay_alu instid0(VALU_DEP_2) | instskip(NEXT) | instid1(VALU_DEP_2)
	v_fma_f32 v5, v7, v3, -v5
	v_fmac_f32_e32 v4, v8, v3
	s_delay_alu instid0(VALU_DEP_1)
	v_dual_sub_f32 v0, v0, v5 :: v_dual_sub_f32 v1, v1, v4
	s_cbranch_scc0 .LBB167_77
.LBB167_78:                             ;   in Loop: Header=BB167_76 Depth=2
	s_lshl_b32 s35, s34, 3
	s_wait_alu 0xfffe
	s_add_co_i32 s21, s35, s21
	s_wait_alu 0xfffe
	v_mov_b32_e32 v2, s21
	s_mov_b32 s21, -1
	ds_load_b64 v[2:3], v2
	s_wait_dscnt 0x0
	v_and_b32_e32 v4, 0x7fffffff, v2
	v_and_b32_e32 v5, 0x7fffffff, v3
	s_delay_alu instid0(VALU_DEP_1)
	v_cmp_ngt_f32_e32 vcc_lo, v4, v5
                                        ; implicit-def: $vgpr4
	s_cbranch_vccz .LBB167_80
; %bb.79:                               ;   in Loop: Header=BB167_76 Depth=2
	v_div_scale_f32 v4, null, v3, v3, v2
	v_div_scale_f32 v8, vcc_lo, v2, v3, v2
	s_mov_b32 s21, 0
	v_rcp_f32_e32 v5, v4
	v_xor_b32_e32 v4, 0x80000000, v4
	s_delay_alu instid0(TRANS32_DEP_1) | instid1(VALU_DEP_1)
	v_fma_f32 v7, v4, v5, 1.0
	s_delay_alu instid0(VALU_DEP_1) | instskip(NEXT) | instid1(VALU_DEP_1)
	v_fmac_f32_e32 v5, v7, v5
	v_mul_f32_e32 v7, v8, v5
	s_delay_alu instid0(VALU_DEP_1) | instskip(NEXT) | instid1(VALU_DEP_1)
	v_fma_f32 v9, v4, v7, v8
	v_fmac_f32_e32 v7, v9, v5
	s_delay_alu instid0(VALU_DEP_1) | instskip(SKIP_1) | instid1(VALU_DEP_1)
	v_fmac_f32_e32 v8, v4, v7
	s_wait_alu 0xfffd
	v_div_fmas_f32 v4, v8, v5, v7
	s_delay_alu instid0(VALU_DEP_1) | instskip(NEXT) | instid1(VALU_DEP_1)
	v_div_fixup_f32 v4, v4, v3, v2
	v_fma_f32 v5, v2, v4, v3
	s_delay_alu instid0(VALU_DEP_1) | instskip(SKIP_1) | instid1(VALU_DEP_2)
	v_div_scale_f32 v7, null, v5, v5, 1.0
	v_div_scale_f32 v10, vcc_lo, 1.0, v5, 1.0
	v_rcp_f32_e32 v8, v7
	v_xor_b32_e32 v7, 0x80000000, v7
	s_delay_alu instid0(TRANS32_DEP_1) | instid1(VALU_DEP_1)
	v_fma_f32 v9, v7, v8, 1.0
	s_delay_alu instid0(VALU_DEP_1) | instskip(NEXT) | instid1(VALU_DEP_1)
	v_fmac_f32_e32 v8, v9, v8
	v_mul_f32_e32 v9, v10, v8
	s_delay_alu instid0(VALU_DEP_1) | instskip(NEXT) | instid1(VALU_DEP_1)
	v_fma_f32 v11, v7, v9, v10
	v_fmac_f32_e32 v9, v11, v8
	s_delay_alu instid0(VALU_DEP_1) | instskip(SKIP_1) | instid1(VALU_DEP_1)
	v_fmac_f32_e32 v10, v7, v9
	s_wait_alu 0xfffd
	v_div_fmas_f32 v7, v10, v8, v9
	v_fma_f32 v8, v0, v4, v1
	s_delay_alu instid0(VALU_DEP_2) | instskip(SKIP_1) | instid1(VALU_DEP_2)
	v_div_fixup_f32 v5, v7, v5, 1.0
	v_fma_f32 v7, v1, v4, -v0
	v_mul_f32_e32 v4, v8, v5
	s_delay_alu instid0(VALU_DEP_2)
	v_mul_f32_e32 v5, v7, v5
.LBB167_80:                             ;   in Loop: Header=BB167_76 Depth=2
	s_wait_alu 0xfffe
	s_and_not1_b32 vcc_lo, exec_lo, s21
	s_wait_alu 0xfffe
	s_cbranch_vccnz .LBB167_75
; %bb.81:                               ;   in Loop: Header=BB167_76 Depth=2
	v_div_scale_f32 v4, null, v2, v2, v3
	v_div_scale_f32 v8, vcc_lo, v3, v2, v3
	s_delay_alu instid0(VALU_DEP_2)
	v_rcp_f32_e32 v5, v4
	v_xor_b32_e32 v4, 0x80000000, v4
	s_delay_alu instid0(TRANS32_DEP_1) | instid1(VALU_DEP_1)
	v_fma_f32 v7, v4, v5, 1.0
	s_delay_alu instid0(VALU_DEP_1) | instskip(NEXT) | instid1(VALU_DEP_1)
	v_fmac_f32_e32 v5, v7, v5
	v_mul_f32_e32 v7, v8, v5
	s_delay_alu instid0(VALU_DEP_1) | instskip(NEXT) | instid1(VALU_DEP_1)
	v_fma_f32 v9, v4, v7, v8
	v_fmac_f32_e32 v7, v9, v5
	s_delay_alu instid0(VALU_DEP_1) | instskip(SKIP_1) | instid1(VALU_DEP_1)
	v_fmac_f32_e32 v8, v4, v7
	s_wait_alu 0xfffd
	v_div_fmas_f32 v4, v8, v5, v7
	s_delay_alu instid0(VALU_DEP_1) | instskip(NEXT) | instid1(VALU_DEP_1)
	v_div_fixup_f32 v4, v4, v2, v3
	v_fmac_f32_e32 v2, v3, v4
	s_delay_alu instid0(VALU_DEP_1) | instskip(SKIP_1) | instid1(VALU_DEP_2)
	v_div_scale_f32 v3, null, v2, v2, 1.0
	v_div_scale_f32 v8, vcc_lo, 1.0, v2, 1.0
	v_rcp_f32_e32 v5, v3
	v_xor_b32_e32 v3, 0x80000000, v3
	s_delay_alu instid0(TRANS32_DEP_1) | instid1(VALU_DEP_1)
	v_fma_f32 v7, v3, v5, 1.0
	s_delay_alu instid0(VALU_DEP_1) | instskip(NEXT) | instid1(VALU_DEP_1)
	v_fmac_f32_e32 v5, v7, v5
	v_mul_f32_e32 v7, v8, v5
	s_delay_alu instid0(VALU_DEP_1) | instskip(NEXT) | instid1(VALU_DEP_1)
	v_fma_f32 v9, v3, v7, v8
	v_fmac_f32_e32 v7, v9, v5
	s_delay_alu instid0(VALU_DEP_1) | instskip(SKIP_1) | instid1(VALU_DEP_1)
	v_fmac_f32_e32 v8, v3, v7
	s_wait_alu 0xfffd
	v_div_fmas_f32 v3, v8, v5, v7
	v_fma_f32 v5, v1, v4, v0
	v_fma_f32 v0, -v0, v4, v1
	s_delay_alu instid0(VALU_DEP_3) | instskip(NEXT) | instid1(VALU_DEP_1)
	v_div_fixup_f32 v2, v3, v2, 1.0
	v_mul_f32_e32 v4, v5, v2
	s_delay_alu instid0(VALU_DEP_3)
	v_mul_f32_e32 v5, v0, v2
	s_branch .LBB167_75
.LBB167_82:                             ;   in Loop: Header=BB167_3 Depth=1
	s_mov_b32 s20, 0
.LBB167_83:                             ;   in Loop: Header=BB167_3 Depth=1
	s_wait_alu 0xfffe
	s_and_not1_b32 vcc_lo, exec_lo, s20
	s_wait_alu 0xfffe
	s_cbranch_vccnz .LBB167_114
; %bb.84:                               ;   in Loop: Header=BB167_3 Depth=1
	s_mov_b32 s34, s25
	s_and_not1_b32 vcc_lo, exec_lo, s22
	s_mov_b32 s20, s31
	s_mov_b32 s21, s25
	s_wait_alu 0xfffe
	s_cbranch_vccnz .LBB167_105
.LBB167_85:                             ;   Parent Loop BB167_3 Depth=1
                                        ; =>  This Loop Header: Depth=2
                                        ;       Child Loop BB167_86 Depth 3
	s_wait_alu 0xfffe
	s_mul_i32 s34, s21, 28
	s_cmp_le_i32 s25, s21
	s_wait_alu 0xfffe
	v_lshl_add_u32 v20, s34, 3, v14
	s_mov_b32 s35, s20
	s_mov_b32 s36, s25
	s_delay_alu instid0(VALU_DEP_1)
	v_dual_mov_b32 v2, v27 :: v_dual_add_nc_u32 v19, 0xffffff20, v20
	v_add_nc_u32_e32 v18, 0xfffffe40, v20
	v_add_nc_u32_e32 v17, 0xfffffd60, v20
	ds_load_b64 v[0:1], v20
	ds_load_b64 v[10:11], v19
	;; [unrolled: 1-line block ×4, first 2 shown]
	s_cbranch_scc1 .LBB167_87
.LBB167_86:                             ;   Parent Loop BB167_3 Depth=1
                                        ;     Parent Loop BB167_85 Depth=2
                                        ; =>    This Inner Loop Header: Depth=3
	s_wait_alu 0xfffe
	v_mov_b32_e32 v3, s35
	s_add_co_i32 s36, s36, -1
	s_add_co_i32 s35, s35, -8
	s_wait_alu 0xfffe
	s_cmp_le_i32 s36, s21
	ds_load_b64 v[8:9], v2
	ds_load_2addr_b64 v[30:33], v3 offset0:56 offset1:84
	ds_load_2addr_b64 v[34:37], v3 offset1:28
	s_wait_dscnt 0x1
	v_dual_mul_f32 v3, v33, v9 :: v_dual_add_nc_u32 v2, 0xffffff20, v2
	v_mul_f32_e32 v38, v32, v9
	v_mul_f32_e32 v39, v31, v9
	s_wait_dscnt 0x0
	v_dual_mul_f32 v31, v31, v8 :: v_dual_mul_f32 v40, v37, v9
	v_mul_f32_e32 v41, v35, v9
	v_mul_f32_e32 v35, v35, v8
	v_fma_f32 v3, v32, v8, -v3
	v_mul_f32_e32 v37, v37, v8
	v_fmac_f32_e32 v38, v33, v8
	v_fma_f32 v32, v30, v8, -v39
	v_fmac_f32_e32 v31, v30, v9
	v_fma_f32 v30, v36, v8, -v40
	v_dual_fmac_f32 v35, v34, v9 :: v_dual_sub_f32 v0, v0, v3
	v_fmac_f32_e32 v37, v36, v9
	v_sub_f32_e32 v1, v1, v38
	s_delay_alu instid0(VALU_DEP_4) | instskip(SKIP_1) | instid1(VALU_DEP_4)
	v_sub_f32_e32 v6, v6, v30
	v_fma_f32 v8, v34, v8, -v41
	v_dual_sub_f32 v10, v10, v32 :: v_dual_sub_f32 v7, v7, v37
	s_delay_alu instid0(VALU_DEP_2)
	v_dual_sub_f32 v5, v5, v35 :: v_dual_sub_f32 v4, v4, v8
	v_sub_f32_e32 v11, v11, v31
	s_cbranch_scc0 .LBB167_86
.LBB167_87:                             ;   in Loop: Header=BB167_85 Depth=2
	s_mul_i32 s35, s21, 0xe8
	s_wait_alu 0xfffe
	v_mov_b32_e32 v2, s35
	s_mov_b32 s35, -1
	ds_load_b64 v[2:3], v2
	s_wait_dscnt 0x0
	v_and_b32_e32 v8, 0x7fffffff, v2
	v_and_b32_e32 v9, 0x7fffffff, v3
	s_delay_alu instid0(VALU_DEP_1)
	v_cmp_ngt_f32_e32 vcc_lo, v8, v9
                                        ; implicit-def: $vgpr9
	s_cbranch_vccz .LBB167_89
; %bb.88:                               ;   in Loop: Header=BB167_85 Depth=2
	v_div_scale_f32 v8, null, v3, v3, v2
	v_div_scale_f32 v31, vcc_lo, v2, v3, v2
	s_mov_b32 s35, 0
	v_rcp_f32_e32 v9, v8
	v_xor_b32_e32 v8, 0x80000000, v8
	s_delay_alu instid0(TRANS32_DEP_1) | instid1(VALU_DEP_1)
	v_fma_f32 v30, v8, v9, 1.0
	s_delay_alu instid0(VALU_DEP_1) | instskip(NEXT) | instid1(VALU_DEP_1)
	v_fmac_f32_e32 v9, v30, v9
	v_mul_f32_e32 v30, v31, v9
	s_delay_alu instid0(VALU_DEP_1) | instskip(NEXT) | instid1(VALU_DEP_1)
	v_fma_f32 v32, v8, v30, v31
	v_fmac_f32_e32 v30, v32, v9
	s_delay_alu instid0(VALU_DEP_1) | instskip(SKIP_1) | instid1(VALU_DEP_1)
	v_fmac_f32_e32 v31, v8, v30
	s_wait_alu 0xfffd
	v_div_fmas_f32 v8, v31, v9, v30
	s_delay_alu instid0(VALU_DEP_1) | instskip(NEXT) | instid1(VALU_DEP_1)
	v_div_fixup_f32 v8, v8, v3, v2
	v_fma_f32 v9, v2, v8, v3
	s_delay_alu instid0(VALU_DEP_1) | instskip(SKIP_1) | instid1(VALU_DEP_2)
	v_div_scale_f32 v30, null, v9, v9, 1.0
	v_div_scale_f32 v33, vcc_lo, 1.0, v9, 1.0
	v_rcp_f32_e32 v31, v30
	v_xor_b32_e32 v30, 0x80000000, v30
	s_delay_alu instid0(TRANS32_DEP_1) | instid1(VALU_DEP_1)
	v_fma_f32 v32, v30, v31, 1.0
	s_delay_alu instid0(VALU_DEP_1) | instskip(NEXT) | instid1(VALU_DEP_1)
	v_fmac_f32_e32 v31, v32, v31
	v_mul_f32_e32 v32, v33, v31
	s_delay_alu instid0(VALU_DEP_1) | instskip(NEXT) | instid1(VALU_DEP_1)
	v_fma_f32 v34, v30, v32, v33
	v_fmac_f32_e32 v32, v34, v31
	s_delay_alu instid0(VALU_DEP_1) | instskip(SKIP_1) | instid1(VALU_DEP_1)
	v_fmac_f32_e32 v33, v30, v32
	s_wait_alu 0xfffd
	v_div_fmas_f32 v30, v33, v31, v32
	v_fma_f32 v31, v0, v8, v1
	s_delay_alu instid0(VALU_DEP_2) | instskip(SKIP_1) | instid1(VALU_DEP_2)
	v_div_fixup_f32 v9, v30, v9, 1.0
	v_fma_f32 v30, v1, v8, -v0
	v_mul_f32_e32 v8, v31, v9
	s_delay_alu instid0(VALU_DEP_2)
	v_mul_f32_e32 v9, v30, v9
.LBB167_89:                             ;   in Loop: Header=BB167_85 Depth=2
	s_wait_alu 0xfffe
	s_and_not1_b32 vcc_lo, exec_lo, s35
	s_wait_alu 0xfffe
	s_cbranch_vccnz .LBB167_91
; %bb.90:                               ;   in Loop: Header=BB167_85 Depth=2
	v_div_scale_f32 v8, null, v2, v2, v3
	v_div_scale_f32 v31, vcc_lo, v3, v2, v3
	s_delay_alu instid0(VALU_DEP_2)
	v_rcp_f32_e32 v9, v8
	v_xor_b32_e32 v8, 0x80000000, v8
	s_delay_alu instid0(TRANS32_DEP_1) | instid1(VALU_DEP_1)
	v_fma_f32 v30, v8, v9, 1.0
	s_delay_alu instid0(VALU_DEP_1) | instskip(NEXT) | instid1(VALU_DEP_1)
	v_fmac_f32_e32 v9, v30, v9
	v_mul_f32_e32 v30, v31, v9
	s_delay_alu instid0(VALU_DEP_1) | instskip(NEXT) | instid1(VALU_DEP_1)
	v_fma_f32 v32, v8, v30, v31
	v_fmac_f32_e32 v30, v32, v9
	s_delay_alu instid0(VALU_DEP_1) | instskip(SKIP_1) | instid1(VALU_DEP_1)
	v_fmac_f32_e32 v31, v8, v30
	s_wait_alu 0xfffd
	v_div_fmas_f32 v8, v31, v9, v30
	s_delay_alu instid0(VALU_DEP_1) | instskip(NEXT) | instid1(VALU_DEP_1)
	v_div_fixup_f32 v8, v8, v2, v3
	v_fmac_f32_e32 v2, v3, v8
	s_delay_alu instid0(VALU_DEP_1) | instskip(SKIP_1) | instid1(VALU_DEP_2)
	v_div_scale_f32 v3, null, v2, v2, 1.0
	v_div_scale_f32 v31, vcc_lo, 1.0, v2, 1.0
	v_rcp_f32_e32 v9, v3
	v_xor_b32_e32 v3, 0x80000000, v3
	s_delay_alu instid0(TRANS32_DEP_1) | instid1(VALU_DEP_1)
	v_fma_f32 v30, v3, v9, 1.0
	s_delay_alu instid0(VALU_DEP_1) | instskip(NEXT) | instid1(VALU_DEP_1)
	v_fmac_f32_e32 v9, v30, v9
	v_mul_f32_e32 v30, v31, v9
	s_delay_alu instid0(VALU_DEP_1) | instskip(NEXT) | instid1(VALU_DEP_1)
	v_fma_f32 v32, v3, v30, v31
	v_fmac_f32_e32 v30, v32, v9
	s_delay_alu instid0(VALU_DEP_1) | instskip(SKIP_1) | instid1(VALU_DEP_1)
	v_fmac_f32_e32 v31, v3, v30
	s_wait_alu 0xfffd
	v_div_fmas_f32 v3, v31, v9, v30
	v_fma_f32 v9, v1, v8, v0
	v_fma_f32 v0, -v0, v8, v1
	s_delay_alu instid0(VALU_DEP_3) | instskip(NEXT) | instid1(VALU_DEP_1)
	v_div_fixup_f32 v2, v3, v2, 1.0
	v_mul_f32_e32 v8, v9, v2
	s_delay_alu instid0(VALU_DEP_3)
	v_mul_f32_e32 v9, v0, v2
.LBB167_91:                             ;   in Loop: Header=BB167_85 Depth=2
	s_lshl_b32 s35, s34, 3
	s_lshl_b32 s34, s21, 3
	s_wait_alu 0xfffe
	s_addk_co_i32 s35, 0xff20
	ds_store_b64 v20, v[8:9]
	s_wait_alu 0xfffe
	s_add_co_i32 s36, s34, s35
	s_wait_alu 0xfffe
	s_add_co_i32 s36, s36, -8
	s_wait_alu 0xfffe
	v_mov_b32_e32 v0, s36
	s_mov_b32 s36, -1
	ds_load_2addr_b64 v[0:3], v0 offset1:1
	s_wait_dscnt 0x0
	v_dual_mul_f32 v30, v9, v3 :: v_dual_and_b32 v31, 0x7fffffff, v0
	v_dual_mul_f32 v3, v8, v3 :: v_dual_and_b32 v32, 0x7fffffff, v1
	s_delay_alu instid0(VALU_DEP_2) | instskip(NEXT) | instid1(VALU_DEP_2)
	v_fma_f32 v30, v8, v2, -v30
	v_fmac_f32_e32 v3, v9, v2
	s_delay_alu instid0(VALU_DEP_3) | instskip(NEXT) | instid1(VALU_DEP_2)
	v_cmp_ngt_f32_e32 vcc_lo, v31, v32
	v_dual_sub_f32 v2, v10, v30 :: v_dual_sub_f32 v3, v11, v3
                                        ; implicit-def: $vgpr11
	s_cbranch_vccz .LBB167_93
; %bb.92:                               ;   in Loop: Header=BB167_85 Depth=2
	v_div_scale_f32 v10, null, v1, v1, v0
	v_div_scale_f32 v30, vcc_lo, v0, v1, v0
	s_mov_b32 s36, 0
	v_rcp_f32_e32 v11, v10
	v_xor_b32_e32 v10, 0x80000000, v10
	s_delay_alu instid0(TRANS32_DEP_1) | instid1(VALU_DEP_1)
	v_fma_f32 v20, v10, v11, 1.0
	s_delay_alu instid0(VALU_DEP_1) | instskip(NEXT) | instid1(VALU_DEP_1)
	v_fmac_f32_e32 v11, v20, v11
	v_mul_f32_e32 v20, v30, v11
	s_delay_alu instid0(VALU_DEP_1) | instskip(NEXT) | instid1(VALU_DEP_1)
	v_fma_f32 v31, v10, v20, v30
	v_fmac_f32_e32 v20, v31, v11
	s_delay_alu instid0(VALU_DEP_1) | instskip(SKIP_1) | instid1(VALU_DEP_1)
	v_fmac_f32_e32 v30, v10, v20
	s_wait_alu 0xfffd
	v_div_fmas_f32 v10, v30, v11, v20
	s_delay_alu instid0(VALU_DEP_1) | instskip(NEXT) | instid1(VALU_DEP_1)
	v_div_fixup_f32 v10, v10, v1, v0
	v_fma_f32 v11, v0, v10, v1
	s_delay_alu instid0(VALU_DEP_1) | instskip(SKIP_1) | instid1(VALU_DEP_2)
	v_div_scale_f32 v20, null, v11, v11, 1.0
	v_div_scale_f32 v32, vcc_lo, 1.0, v11, 1.0
	v_rcp_f32_e32 v30, v20
	v_xor_b32_e32 v20, 0x80000000, v20
	s_delay_alu instid0(TRANS32_DEP_1) | instid1(VALU_DEP_1)
	v_fma_f32 v31, v20, v30, 1.0
	s_delay_alu instid0(VALU_DEP_1) | instskip(NEXT) | instid1(VALU_DEP_1)
	v_fmac_f32_e32 v30, v31, v30
	v_mul_f32_e32 v31, v32, v30
	s_delay_alu instid0(VALU_DEP_1) | instskip(NEXT) | instid1(VALU_DEP_1)
	v_fma_f32 v33, v20, v31, v32
	v_fmac_f32_e32 v31, v33, v30
	s_delay_alu instid0(VALU_DEP_1) | instskip(SKIP_1) | instid1(VALU_DEP_1)
	v_fmac_f32_e32 v32, v20, v31
	s_wait_alu 0xfffd
	v_div_fmas_f32 v20, v32, v30, v31
	v_fma_f32 v30, v10, v2, v3
	s_delay_alu instid0(VALU_DEP_2) | instskip(SKIP_1) | instid1(VALU_DEP_2)
	v_div_fixup_f32 v11, v20, v11, 1.0
	v_fma_f32 v20, v10, v3, -v2
	v_mul_f32_e32 v10, v30, v11
	s_delay_alu instid0(VALU_DEP_2)
	v_mul_f32_e32 v11, v20, v11
.LBB167_93:                             ;   in Loop: Header=BB167_85 Depth=2
	s_wait_alu 0xfffe
	s_and_not1_b32 vcc_lo, exec_lo, s36
	s_wait_alu 0xfffe
	s_cbranch_vccnz .LBB167_95
; %bb.94:                               ;   in Loop: Header=BB167_85 Depth=2
	v_div_scale_f32 v10, null, v0, v0, v1
	v_div_scale_f32 v30, vcc_lo, v1, v0, v1
	s_delay_alu instid0(VALU_DEP_2)
	v_rcp_f32_e32 v11, v10
	v_xor_b32_e32 v10, 0x80000000, v10
	s_delay_alu instid0(TRANS32_DEP_1) | instid1(VALU_DEP_1)
	v_fma_f32 v20, v10, v11, 1.0
	s_delay_alu instid0(VALU_DEP_1) | instskip(NEXT) | instid1(VALU_DEP_1)
	v_fmac_f32_e32 v11, v20, v11
	v_mul_f32_e32 v20, v30, v11
	s_delay_alu instid0(VALU_DEP_1) | instskip(NEXT) | instid1(VALU_DEP_1)
	v_fma_f32 v31, v10, v20, v30
	v_fmac_f32_e32 v20, v31, v11
	s_delay_alu instid0(VALU_DEP_1) | instskip(SKIP_1) | instid1(VALU_DEP_1)
	v_fmac_f32_e32 v30, v10, v20
	s_wait_alu 0xfffd
	v_div_fmas_f32 v10, v30, v11, v20
	s_delay_alu instid0(VALU_DEP_1) | instskip(NEXT) | instid1(VALU_DEP_1)
	v_div_fixup_f32 v10, v10, v0, v1
	v_fmac_f32_e32 v0, v1, v10
	s_delay_alu instid0(VALU_DEP_1) | instskip(NEXT) | instid1(VALU_DEP_1)
	v_div_scale_f32 v1, null, v0, v0, 1.0
	v_rcp_f32_e32 v11, v1
	v_xor_b32_e32 v1, 0x80000000, v1
	s_delay_alu instid0(TRANS32_DEP_1) | instid1(VALU_DEP_1)
	v_fma_f32 v20, v1, v11, 1.0
	s_delay_alu instid0(VALU_DEP_1) | instskip(SKIP_1) | instid1(VALU_DEP_1)
	v_fmac_f32_e32 v11, v20, v11
	v_div_scale_f32 v30, vcc_lo, 1.0, v0, 1.0
	v_mul_f32_e32 v20, v30, v11
	s_delay_alu instid0(VALU_DEP_1) | instskip(NEXT) | instid1(VALU_DEP_1)
	v_fma_f32 v31, v1, v20, v30
	v_fmac_f32_e32 v20, v31, v11
	s_delay_alu instid0(VALU_DEP_1) | instskip(SKIP_1) | instid1(VALU_DEP_1)
	v_fmac_f32_e32 v30, v1, v20
	s_wait_alu 0xfffd
	v_div_fmas_f32 v1, v30, v11, v20
	v_fma_f32 v11, v10, v3, v2
	s_delay_alu instid0(VALU_DEP_2) | instskip(SKIP_1) | instid1(VALU_DEP_2)
	v_div_fixup_f32 v0, v1, v0, 1.0
	v_fma_f32 v1, -v10, v2, v3
	v_mul_f32_e32 v10, v11, v0
	s_delay_alu instid0(VALU_DEP_2)
	v_mul_f32_e32 v11, v1, v0
.LBB167_95:                             ;   in Loop: Header=BB167_85 Depth=2
	s_addk_co_i32 s35, 0xff20
	s_wait_alu 0xfffe
	s_add_co_i32 s34, s35, s34
	s_wait_alu 0xfffe
	s_add_co_i32 s35, s34, -16
	s_wait_alu 0xfffe
	v_dual_mov_b32 v0, s34 :: v_dual_mov_b32 v1, s35
	s_mov_b32 s35, -1
	ds_load_b64 v[30:31], v0
	ds_load_2addr_b64 v[0:3], v1 offset1:1
	ds_store_b64 v19, v[10:11]
	s_wait_dscnt 0x1
	v_dual_mul_f32 v20, v9, v31 :: v_dual_and_b32 v33, 0x7fffffff, v0
	v_mul_f32_e32 v31, v8, v31
	v_mul_f32_e32 v32, v11, v3
	v_mul_f32_e32 v3, v10, v3
	s_delay_alu instid0(VALU_DEP_4) | instskip(NEXT) | instid1(VALU_DEP_4)
	v_fma_f32 v20, v8, v30, -v20
	v_dual_fmac_f32 v31, v9, v30 :: v_dual_and_b32 v30, 0x7fffffff, v1
	s_delay_alu instid0(VALU_DEP_4) | instskip(NEXT) | instid1(VALU_DEP_3)
	v_fma_f32 v32, v10, v2, -v32
	v_dual_fmac_f32 v3, v11, v2 :: v_dual_sub_f32 v2, v6, v20
	s_delay_alu instid0(VALU_DEP_3) | instskip(NEXT) | instid1(VALU_DEP_4)
	v_sub_f32_e32 v6, v7, v31
	v_cmp_ngt_f32_e32 vcc_lo, v33, v30
	s_delay_alu instid0(VALU_DEP_3) | instskip(NEXT) | instid1(VALU_DEP_3)
	v_sub_f32_e32 v2, v2, v32
	v_sub_f32_e32 v3, v6, v3
                                        ; implicit-def: $vgpr7
	s_cbranch_vccz .LBB167_97
; %bb.96:                               ;   in Loop: Header=BB167_85 Depth=2
	v_div_scale_f32 v6, null, v1, v1, v0
	v_div_scale_f32 v20, vcc_lo, v0, v1, v0
	s_mov_b32 s35, 0
	v_rcp_f32_e32 v7, v6
	v_xor_b32_e32 v6, 0x80000000, v6
	s_delay_alu instid0(TRANS32_DEP_1) | instid1(VALU_DEP_1)
	v_fma_f32 v19, v6, v7, 1.0
	s_delay_alu instid0(VALU_DEP_1) | instskip(NEXT) | instid1(VALU_DEP_1)
	v_fmac_f32_e32 v7, v19, v7
	v_mul_f32_e32 v19, v20, v7
	s_delay_alu instid0(VALU_DEP_1) | instskip(NEXT) | instid1(VALU_DEP_1)
	v_fma_f32 v30, v6, v19, v20
	v_fmac_f32_e32 v19, v30, v7
	s_delay_alu instid0(VALU_DEP_1) | instskip(SKIP_1) | instid1(VALU_DEP_1)
	v_fmac_f32_e32 v20, v6, v19
	s_wait_alu 0xfffd
	v_div_fmas_f32 v6, v20, v7, v19
	s_delay_alu instid0(VALU_DEP_1) | instskip(NEXT) | instid1(VALU_DEP_1)
	v_div_fixup_f32 v6, v6, v1, v0
	v_fma_f32 v7, v0, v6, v1
	s_delay_alu instid0(VALU_DEP_1) | instskip(SKIP_1) | instid1(VALU_DEP_2)
	v_div_scale_f32 v19, null, v7, v7, 1.0
	v_div_scale_f32 v31, vcc_lo, 1.0, v7, 1.0
	v_rcp_f32_e32 v20, v19
	v_xor_b32_e32 v19, 0x80000000, v19
	s_delay_alu instid0(TRANS32_DEP_1) | instid1(VALU_DEP_1)
	v_fma_f32 v30, v19, v20, 1.0
	s_delay_alu instid0(VALU_DEP_1) | instskip(NEXT) | instid1(VALU_DEP_1)
	v_fmac_f32_e32 v20, v30, v20
	v_mul_f32_e32 v30, v31, v20
	s_delay_alu instid0(VALU_DEP_1) | instskip(NEXT) | instid1(VALU_DEP_1)
	v_fma_f32 v32, v19, v30, v31
	v_fmac_f32_e32 v30, v32, v20
	s_delay_alu instid0(VALU_DEP_1) | instskip(SKIP_1) | instid1(VALU_DEP_1)
	v_fmac_f32_e32 v31, v19, v30
	s_wait_alu 0xfffd
	v_div_fmas_f32 v19, v31, v20, v30
	v_fma_f32 v20, v6, v2, v3
	s_delay_alu instid0(VALU_DEP_2) | instskip(SKIP_1) | instid1(VALU_DEP_2)
	v_div_fixup_f32 v7, v19, v7, 1.0
	v_fma_f32 v19, v6, v3, -v2
	v_mul_f32_e32 v6, v20, v7
	s_delay_alu instid0(VALU_DEP_2)
	v_mul_f32_e32 v7, v19, v7
.LBB167_97:                             ;   in Loop: Header=BB167_85 Depth=2
	s_wait_alu 0xfffe
	s_and_not1_b32 vcc_lo, exec_lo, s35
	s_wait_alu 0xfffe
	s_cbranch_vccnz .LBB167_99
; %bb.98:                               ;   in Loop: Header=BB167_85 Depth=2
	v_div_scale_f32 v6, null, v0, v0, v1
	v_div_scale_f32 v20, vcc_lo, v1, v0, v1
	s_delay_alu instid0(VALU_DEP_2)
	v_rcp_f32_e32 v7, v6
	v_xor_b32_e32 v6, 0x80000000, v6
	s_delay_alu instid0(TRANS32_DEP_1) | instid1(VALU_DEP_1)
	v_fma_f32 v19, v6, v7, 1.0
	s_delay_alu instid0(VALU_DEP_1) | instskip(NEXT) | instid1(VALU_DEP_1)
	v_fmac_f32_e32 v7, v19, v7
	v_mul_f32_e32 v19, v20, v7
	s_delay_alu instid0(VALU_DEP_1) | instskip(NEXT) | instid1(VALU_DEP_1)
	v_fma_f32 v30, v6, v19, v20
	v_fmac_f32_e32 v19, v30, v7
	s_delay_alu instid0(VALU_DEP_1) | instskip(SKIP_1) | instid1(VALU_DEP_1)
	v_fmac_f32_e32 v20, v6, v19
	s_wait_alu 0xfffd
	v_div_fmas_f32 v6, v20, v7, v19
	s_delay_alu instid0(VALU_DEP_1) | instskip(NEXT) | instid1(VALU_DEP_1)
	v_div_fixup_f32 v6, v6, v0, v1
	v_fmac_f32_e32 v0, v1, v6
	s_delay_alu instid0(VALU_DEP_1) | instskip(SKIP_1) | instid1(VALU_DEP_2)
	v_div_scale_f32 v1, null, v0, v0, 1.0
	v_div_scale_f32 v20, vcc_lo, 1.0, v0, 1.0
	v_rcp_f32_e32 v7, v1
	v_xor_b32_e32 v1, 0x80000000, v1
	s_delay_alu instid0(TRANS32_DEP_1) | instid1(VALU_DEP_1)
	v_fma_f32 v19, v1, v7, 1.0
	s_delay_alu instid0(VALU_DEP_1) | instskip(NEXT) | instid1(VALU_DEP_1)
	v_fmac_f32_e32 v7, v19, v7
	v_mul_f32_e32 v19, v20, v7
	s_delay_alu instid0(VALU_DEP_1) | instskip(NEXT) | instid1(VALU_DEP_1)
	v_fma_f32 v30, v1, v19, v20
	v_fmac_f32_e32 v19, v30, v7
	s_delay_alu instid0(VALU_DEP_1) | instskip(SKIP_1) | instid1(VALU_DEP_1)
	v_fmac_f32_e32 v20, v1, v19
	s_wait_alu 0xfffd
	v_div_fmas_f32 v1, v20, v7, v19
	v_fma_f32 v7, v6, v3, v2
	s_delay_alu instid0(VALU_DEP_2) | instskip(SKIP_1) | instid1(VALU_DEP_2)
	v_div_fixup_f32 v0, v1, v0, 1.0
	v_fma_f32 v1, -v6, v2, v3
	v_mul_f32_e32 v6, v7, v0
	s_delay_alu instid0(VALU_DEP_2)
	v_mul_f32_e32 v7, v1, v0
.LBB167_99:                             ;   in Loop: Header=BB167_85 Depth=2
	s_add_co_i32 s35, s34, 0xffffff18
	s_addk_co_i32 s34, 0xff08
	s_wait_alu 0xfffe
	v_dual_mov_b32 v0, s35 :: v_dual_mov_b32 v1, s34
	s_mov_b32 s34, -1
	ds_load_2addr_b64 v[30:33], v0 offset1:1
	ds_load_2addr_b64 v[0:3], v1 offset1:1
	ds_store_b64 v18, v[6:7]
	s_wait_dscnt 0x1
	v_dual_mul_f32 v19, v9, v33 :: v_dual_mul_f32 v34, v7, v3
	v_dual_mul_f32 v20, v8, v33 :: v_dual_mul_f32 v33, v11, v31
	v_mul_f32_e32 v31, v10, v31
	s_delay_alu instid0(VALU_DEP_3) | instskip(NEXT) | instid1(VALU_DEP_3)
	v_fma_f32 v8, v8, v32, -v19
	v_dual_mul_f32 v3, v6, v3 :: v_dual_fmac_f32 v20, v9, v32
	s_delay_alu instid0(VALU_DEP_4) | instskip(NEXT) | instid1(VALU_DEP_3)
	v_fma_f32 v10, v10, v30, -v33
	v_dual_fmac_f32 v31, v11, v30 :: v_dual_sub_f32 v4, v4, v8
	v_and_b32_e32 v9, 0x7fffffff, v0
	v_fma_f32 v11, v6, v2, -v34
	v_dual_fmac_f32 v3, v7, v2 :: v_dual_and_b32 v8, 0x7fffffff, v1
	s_delay_alu instid0(VALU_DEP_4) | instskip(NEXT) | instid1(VALU_DEP_2)
	v_dual_sub_f32 v2, v4, v10 :: v_dual_sub_f32 v5, v5, v20
	v_cmp_ngt_f32_e32 vcc_lo, v9, v8
	s_delay_alu instid0(VALU_DEP_2) | instskip(NEXT) | instid1(VALU_DEP_3)
	v_sub_f32_e32 v4, v2, v11
	v_sub_f32_e32 v5, v5, v31
	s_delay_alu instid0(VALU_DEP_1)
	v_sub_f32_e32 v5, v5, v3
                                        ; implicit-def: $vgpr3
	s_cbranch_vccz .LBB167_101
; %bb.100:                              ;   in Loop: Header=BB167_85 Depth=2
	v_div_scale_f32 v2, null, v1, v1, v0
	v_div_scale_f32 v7, vcc_lo, v0, v1, v0
	s_mov_b32 s34, 0
	v_rcp_f32_e32 v3, v2
	v_xor_b32_e32 v2, 0x80000000, v2
	s_delay_alu instid0(TRANS32_DEP_1) | instid1(VALU_DEP_1)
	v_fma_f32 v6, v2, v3, 1.0
	s_delay_alu instid0(VALU_DEP_1) | instskip(NEXT) | instid1(VALU_DEP_1)
	v_fmac_f32_e32 v3, v6, v3
	v_mul_f32_e32 v6, v7, v3
	s_delay_alu instid0(VALU_DEP_1) | instskip(NEXT) | instid1(VALU_DEP_1)
	v_fma_f32 v8, v2, v6, v7
	v_fmac_f32_e32 v6, v8, v3
	s_delay_alu instid0(VALU_DEP_1) | instskip(SKIP_1) | instid1(VALU_DEP_1)
	v_fmac_f32_e32 v7, v2, v6
	s_wait_alu 0xfffd
	v_div_fmas_f32 v2, v7, v3, v6
	s_delay_alu instid0(VALU_DEP_1) | instskip(NEXT) | instid1(VALU_DEP_1)
	v_div_fixup_f32 v2, v2, v1, v0
	v_fma_f32 v3, v0, v2, v1
	s_delay_alu instid0(VALU_DEP_1) | instskip(SKIP_1) | instid1(VALU_DEP_2)
	v_div_scale_f32 v6, null, v3, v3, 1.0
	v_div_scale_f32 v9, vcc_lo, 1.0, v3, 1.0
	v_rcp_f32_e32 v7, v6
	v_xor_b32_e32 v6, 0x80000000, v6
	s_delay_alu instid0(TRANS32_DEP_1) | instid1(VALU_DEP_1)
	v_fma_f32 v8, v6, v7, 1.0
	s_delay_alu instid0(VALU_DEP_1) | instskip(NEXT) | instid1(VALU_DEP_1)
	v_fmac_f32_e32 v7, v8, v7
	v_mul_f32_e32 v8, v9, v7
	s_delay_alu instid0(VALU_DEP_1) | instskip(NEXT) | instid1(VALU_DEP_1)
	v_fma_f32 v10, v6, v8, v9
	v_fmac_f32_e32 v8, v10, v7
	s_delay_alu instid0(VALU_DEP_1) | instskip(SKIP_1) | instid1(VALU_DEP_1)
	v_fmac_f32_e32 v9, v6, v8
	s_wait_alu 0xfffd
	v_div_fmas_f32 v6, v9, v7, v8
	v_fma_f32 v7, v2, v4, v5
	s_delay_alu instid0(VALU_DEP_2) | instskip(SKIP_1) | instid1(VALU_DEP_2)
	v_div_fixup_f32 v3, v6, v3, 1.0
	v_fma_f32 v6, v2, v5, -v4
	v_mul_f32_e32 v2, v7, v3
	s_delay_alu instid0(VALU_DEP_2)
	v_mul_f32_e32 v3, v6, v3
.LBB167_101:                            ;   in Loop: Header=BB167_85 Depth=2
	s_wait_alu 0xfffe
	s_and_not1_b32 vcc_lo, exec_lo, s34
	s_wait_alu 0xfffe
	s_cbranch_vccnz .LBB167_103
; %bb.102:                              ;   in Loop: Header=BB167_85 Depth=2
	v_div_scale_f32 v2, null, v0, v0, v1
	v_div_scale_f32 v7, vcc_lo, v1, v0, v1
	s_delay_alu instid0(VALU_DEP_2)
	v_rcp_f32_e32 v3, v2
	v_xor_b32_e32 v2, 0x80000000, v2
	s_delay_alu instid0(TRANS32_DEP_1) | instid1(VALU_DEP_1)
	v_fma_f32 v6, v2, v3, 1.0
	s_delay_alu instid0(VALU_DEP_1) | instskip(NEXT) | instid1(VALU_DEP_1)
	v_fmac_f32_e32 v3, v6, v3
	v_mul_f32_e32 v6, v7, v3
	s_delay_alu instid0(VALU_DEP_1) | instskip(NEXT) | instid1(VALU_DEP_1)
	v_fma_f32 v8, v2, v6, v7
	v_fmac_f32_e32 v6, v8, v3
	s_delay_alu instid0(VALU_DEP_1) | instskip(SKIP_1) | instid1(VALU_DEP_1)
	v_fmac_f32_e32 v7, v2, v6
	s_wait_alu 0xfffd
	v_div_fmas_f32 v2, v7, v3, v6
	s_delay_alu instid0(VALU_DEP_1) | instskip(NEXT) | instid1(VALU_DEP_1)
	v_div_fixup_f32 v2, v2, v0, v1
	v_fmac_f32_e32 v0, v1, v2
	s_delay_alu instid0(VALU_DEP_1) | instskip(SKIP_1) | instid1(VALU_DEP_2)
	v_div_scale_f32 v1, null, v0, v0, 1.0
	v_div_scale_f32 v7, vcc_lo, 1.0, v0, 1.0
	v_rcp_f32_e32 v3, v1
	v_xor_b32_e32 v1, 0x80000000, v1
	s_delay_alu instid0(TRANS32_DEP_1) | instid1(VALU_DEP_1)
	v_fma_f32 v6, v1, v3, 1.0
	s_delay_alu instid0(VALU_DEP_1) | instskip(NEXT) | instid1(VALU_DEP_1)
	v_fmac_f32_e32 v3, v6, v3
	v_mul_f32_e32 v6, v7, v3
	s_delay_alu instid0(VALU_DEP_1) | instskip(NEXT) | instid1(VALU_DEP_1)
	v_fma_f32 v8, v1, v6, v7
	v_fmac_f32_e32 v6, v8, v3
	s_delay_alu instid0(VALU_DEP_1) | instskip(SKIP_1) | instid1(VALU_DEP_1)
	v_fmac_f32_e32 v7, v1, v6
	s_wait_alu 0xfffd
	v_div_fmas_f32 v1, v7, v3, v6
	v_fma_f32 v3, v2, v5, v4
	s_delay_alu instid0(VALU_DEP_2) | instskip(SKIP_1) | instid1(VALU_DEP_2)
	v_div_fixup_f32 v0, v1, v0, 1.0
	v_fma_f32 v1, -v2, v4, v5
	v_mul_f32_e32 v2, v3, v0
	s_delay_alu instid0(VALU_DEP_2)
	v_mul_f32_e32 v3, v1, v0
.LBB167_103:                            ;   in Loop: Header=BB167_85 Depth=2
	s_add_co_i32 s34, s21, -4
	s_addk_co_i32 s20, 0xfc80
	s_cmp_lt_i32 s21, 7
	ds_store_b64 v17, v[2:3]
	s_cbranch_scc1 .LBB167_105
; %bb.104:                              ;   in Loop: Header=BB167_85 Depth=2
	s_wait_alu 0xfffe
	s_mov_b32 s21, s34
	s_branch .LBB167_85
.LBB167_105:                            ;   in Loop: Header=BB167_3 Depth=1
	s_wait_alu 0xfffe
	s_cmp_lt_i32 s34, 0
	s_cbranch_scc1 .LBB167_114
; %bb.106:                              ;   in Loop: Header=BB167_3 Depth=1
	s_mul_i32 s20, s34, 0xe0
	s_wait_alu 0xfffe
	s_add_co_i32 s20, s33, s20
	s_branch .LBB167_108
.LBB167_107:                            ;   in Loop: Header=BB167_108 Depth=2
	v_sub_co_u32 v1, s21, s34, 1
	s_and_b32 vcc_lo, exec_lo, s21
	s_addk_co_i32 s20, 0xff20
	ds_store_b64 v0, v[5:6]
	v_readfirstlane_b32 s34, v1
	s_wait_alu 0xfffe
	s_cbranch_vccnz .LBB167_114
.LBB167_108:                            ;   Parent Loop BB167_3 Depth=1
                                        ; =>  This Loop Header: Depth=2
                                        ;       Child Loop BB167_109 Depth 3
	s_wait_alu 0xf1ff
	v_mad_co_u64_u32 v[0:1], null, 0xe0, s34, v[14:15]
	v_mov_b32_e32 v3, v27
	s_cmp_le_i32 s25, s34
	s_wait_alu 0xfffe
	s_mov_b32 s21, s20
	s_mov_b32 s35, s25
	ds_load_b64 v[1:2], v0
	s_cbranch_scc1 .LBB167_110
.LBB167_109:                            ;   Parent Loop BB167_3 Depth=1
                                        ;     Parent Loop BB167_108 Depth=2
                                        ; =>    This Inner Loop Header: Depth=3
	s_wait_alu 0xfffe
	v_mov_b32_e32 v6, s21
	s_add_co_i32 s35, s35, -1
	s_add_co_i32 s21, s21, -8
	s_wait_alu 0xfffe
	s_cmp_le_u32 s35, s34
	ds_load_b64 v[4:5], v3
	ds_load_b64 v[6:7], v6
	s_wait_dscnt 0x0
	v_dual_mul_f32 v8, v7, v5 :: v_dual_add_nc_u32 v3, 0xffffff20, v3
	v_mul_f32_e32 v5, v6, v5
	s_delay_alu instid0(VALU_DEP_2) | instskip(NEXT) | instid1(VALU_DEP_2)
	v_fma_f32 v6, v6, v4, -v8
	v_fmac_f32_e32 v5, v7, v4
	s_delay_alu instid0(VALU_DEP_1)
	v_dual_sub_f32 v1, v1, v6 :: v_dual_sub_f32 v2, v2, v5
	s_cbranch_scc0 .LBB167_109
.LBB167_110:                            ;   in Loop: Header=BB167_108 Depth=2
	s_mul_i32 s21, s34, 0xe8
	s_wait_alu 0xfffe
	v_mov_b32_e32 v3, s21
	s_mov_b32 s21, -1
	ds_load_b64 v[3:4], v3
	s_wait_dscnt 0x0
	v_and_b32_e32 v5, 0x7fffffff, v3
	v_and_b32_e32 v6, 0x7fffffff, v4
	s_delay_alu instid0(VALU_DEP_1)
	v_cmp_ngt_f32_e32 vcc_lo, v5, v6
                                        ; implicit-def: $vgpr5
	s_cbranch_vccz .LBB167_112
; %bb.111:                              ;   in Loop: Header=BB167_108 Depth=2
	v_div_scale_f32 v5, null, v4, v4, v3
	v_div_scale_f32 v8, vcc_lo, v3, v4, v3
	s_mov_b32 s21, 0
	v_rcp_f32_e32 v6, v5
	v_xor_b32_e32 v5, 0x80000000, v5
	s_delay_alu instid0(TRANS32_DEP_1) | instid1(VALU_DEP_1)
	v_fma_f32 v7, v5, v6, 1.0
	s_delay_alu instid0(VALU_DEP_1) | instskip(NEXT) | instid1(VALU_DEP_1)
	v_fmac_f32_e32 v6, v7, v6
	v_mul_f32_e32 v7, v8, v6
	s_delay_alu instid0(VALU_DEP_1) | instskip(NEXT) | instid1(VALU_DEP_1)
	v_fma_f32 v9, v5, v7, v8
	v_fmac_f32_e32 v7, v9, v6
	s_delay_alu instid0(VALU_DEP_1) | instskip(SKIP_1) | instid1(VALU_DEP_1)
	v_fmac_f32_e32 v8, v5, v7
	s_wait_alu 0xfffd
	v_div_fmas_f32 v5, v8, v6, v7
	s_delay_alu instid0(VALU_DEP_1) | instskip(NEXT) | instid1(VALU_DEP_1)
	v_div_fixup_f32 v5, v5, v4, v3
	v_fma_f32 v6, v3, v5, v4
	s_delay_alu instid0(VALU_DEP_1) | instskip(SKIP_1) | instid1(VALU_DEP_2)
	v_div_scale_f32 v7, null, v6, v6, 1.0
	v_div_scale_f32 v10, vcc_lo, 1.0, v6, 1.0
	v_rcp_f32_e32 v8, v7
	v_xor_b32_e32 v7, 0x80000000, v7
	s_delay_alu instid0(TRANS32_DEP_1) | instid1(VALU_DEP_1)
	v_fma_f32 v9, v7, v8, 1.0
	s_delay_alu instid0(VALU_DEP_1) | instskip(NEXT) | instid1(VALU_DEP_1)
	v_fmac_f32_e32 v8, v9, v8
	v_mul_f32_e32 v9, v10, v8
	s_delay_alu instid0(VALU_DEP_1) | instskip(NEXT) | instid1(VALU_DEP_1)
	v_fma_f32 v11, v7, v9, v10
	v_fmac_f32_e32 v9, v11, v8
	s_delay_alu instid0(VALU_DEP_1) | instskip(SKIP_1) | instid1(VALU_DEP_1)
	v_fmac_f32_e32 v10, v7, v9
	s_wait_alu 0xfffd
	v_div_fmas_f32 v7, v10, v8, v9
	v_fma_f32 v8, v1, v5, v2
	s_delay_alu instid0(VALU_DEP_2) | instskip(SKIP_1) | instid1(VALU_DEP_2)
	v_div_fixup_f32 v6, v7, v6, 1.0
	v_fma_f32 v7, v2, v5, -v1
	v_mul_f32_e32 v5, v8, v6
	s_delay_alu instid0(VALU_DEP_2)
	v_mul_f32_e32 v6, v7, v6
.LBB167_112:                            ;   in Loop: Header=BB167_108 Depth=2
	s_wait_alu 0xfffe
	s_and_not1_b32 vcc_lo, exec_lo, s21
	s_wait_alu 0xfffe
	s_cbranch_vccnz .LBB167_107
; %bb.113:                              ;   in Loop: Header=BB167_108 Depth=2
	v_div_scale_f32 v5, null, v3, v3, v4
	v_div_scale_f32 v8, vcc_lo, v4, v3, v4
	s_delay_alu instid0(VALU_DEP_2)
	v_rcp_f32_e32 v6, v5
	v_xor_b32_e32 v5, 0x80000000, v5
	s_delay_alu instid0(TRANS32_DEP_1) | instid1(VALU_DEP_1)
	v_fma_f32 v7, v5, v6, 1.0
	s_delay_alu instid0(VALU_DEP_1) | instskip(NEXT) | instid1(VALU_DEP_1)
	v_fmac_f32_e32 v6, v7, v6
	v_mul_f32_e32 v7, v8, v6
	s_delay_alu instid0(VALU_DEP_1) | instskip(NEXT) | instid1(VALU_DEP_1)
	v_fma_f32 v9, v5, v7, v8
	v_fmac_f32_e32 v7, v9, v6
	s_delay_alu instid0(VALU_DEP_1) | instskip(SKIP_1) | instid1(VALU_DEP_1)
	v_fmac_f32_e32 v8, v5, v7
	s_wait_alu 0xfffd
	v_div_fmas_f32 v5, v8, v6, v7
	s_delay_alu instid0(VALU_DEP_1) | instskip(NEXT) | instid1(VALU_DEP_1)
	v_div_fixup_f32 v5, v5, v3, v4
	v_fmac_f32_e32 v3, v4, v5
	s_delay_alu instid0(VALU_DEP_1) | instskip(SKIP_1) | instid1(VALU_DEP_2)
	v_div_scale_f32 v4, null, v3, v3, 1.0
	v_div_scale_f32 v8, vcc_lo, 1.0, v3, 1.0
	v_rcp_f32_e32 v6, v4
	v_xor_b32_e32 v4, 0x80000000, v4
	s_delay_alu instid0(TRANS32_DEP_1) | instid1(VALU_DEP_1)
	v_fma_f32 v7, v4, v6, 1.0
	s_delay_alu instid0(VALU_DEP_1) | instskip(NEXT) | instid1(VALU_DEP_1)
	v_fmac_f32_e32 v6, v7, v6
	v_mul_f32_e32 v7, v8, v6
	s_delay_alu instid0(VALU_DEP_1) | instskip(NEXT) | instid1(VALU_DEP_1)
	v_fma_f32 v9, v4, v7, v8
	v_fmac_f32_e32 v7, v9, v6
	s_delay_alu instid0(VALU_DEP_1) | instskip(SKIP_1) | instid1(VALU_DEP_1)
	v_fmac_f32_e32 v8, v4, v7
	s_wait_alu 0xfffd
	v_div_fmas_f32 v4, v8, v6, v7
	v_fma_f32 v6, v2, v5, v1
	v_fma_f32 v1, -v1, v5, v2
	s_delay_alu instid0(VALU_DEP_3) | instskip(NEXT) | instid1(VALU_DEP_1)
	v_div_fixup_f32 v3, v4, v3, 1.0
	v_mul_f32_e32 v5, v6, v3
	s_delay_alu instid0(VALU_DEP_3)
	v_mul_f32_e32 v6, v1, v3
	s_branch .LBB167_107
.LBB167_114:                            ;   in Loop: Header=BB167_3 Depth=1
	s_mov_b32 s20, 0
.LBB167_115:                            ;   in Loop: Header=BB167_3 Depth=1
	s_wait_alu 0xfffe
	s_and_not1_b32 vcc_lo, exec_lo, s20
	s_wait_alu 0xfffe
	s_cbranch_vccnz .LBB167_147
; %bb.116:                              ;   in Loop: Header=BB167_3 Depth=1
	s_and_not1_b32 vcc_lo, exec_lo, s22
	s_mov_b32 s34, 0
	s_wait_alu 0xfffe
	s_cbranch_vccnz .LBB167_138
; %bb.117:                              ;   in Loop: Header=BB167_3 Depth=1
	s_mov_b32 s20, 0
	s_mov_b32 s21, 0
.LBB167_118:                            ;   Parent Loop BB167_3 Depth=1
                                        ; =>  This Loop Header: Depth=2
                                        ;       Child Loop BB167_119 Depth 3
	s_wait_alu 0xfffe
	s_mul_i32 s34, s21, 28
	v_mov_b32_e32 v8, v14
	s_wait_alu 0xfffe
	v_lshl_add_u32 v19, s34, 3, v14
	s_cmp_eq_u32 s21, 0
	s_mov_b32 s35, s20
	s_mov_b32 s36, s21
	ds_load_2addr_b64 v[4:7], v19 offset1:28
	ds_load_2addr_b64 v[0:3], v19 offset0:56 offset1:84
	s_cbranch_scc1 .LBB167_120
.LBB167_119:                            ;   Parent Loop BB167_3 Depth=1
                                        ;     Parent Loop BB167_118 Depth=2
                                        ; =>    This Inner Loop Header: Depth=3
	s_wait_alu 0xfffe
	v_mov_b32_e32 v11, s35
	s_add_co_i32 s36, s36, -1
	s_add_co_i32 s35, s35, 8
	s_wait_alu 0xfffe
	s_cmp_eq_u32 s36, 0
	ds_load_b64 v[9:10], v8
	ds_load_2addr_b64 v[30:33], v11 offset1:28
	ds_load_2addr_b64 v[34:37], v11 offset0:56 offset1:84
	s_wait_dscnt 0x1
	v_dual_mul_f32 v11, v31, v10 :: v_dual_add_nc_u32 v8, 0xe0, v8
	v_mul_f32_e32 v20, v33, v9
	v_mul_f32_e32 v18, v33, v10
	s_wait_dscnt 0x0
	v_mul_f32_e32 v33, v35, v10
	v_mul_f32_e32 v35, v35, v9
	v_fma_f32 v11, v30, v9, -v11
	v_mul_f32_e32 v17, v30, v10
	v_fma_f32 v18, v32, v9, -v18
	v_fma_f32 v30, v34, v9, -v33
	s_delay_alu instid0(VALU_DEP_4) | instskip(NEXT) | instid1(VALU_DEP_4)
	v_dual_fmac_f32 v35, v34, v10 :: v_dual_sub_f32 v4, v4, v11
	v_dual_mul_f32 v38, v37, v10 :: v_dual_fmac_f32 v17, v31, v9
	v_dual_mul_f32 v37, v37, v9 :: v_dual_fmac_f32 v20, v32, v10
	v_sub_f32_e32 v6, v6, v18
	s_delay_alu instid0(VALU_DEP_3) | instskip(NEXT) | instid1(VALU_DEP_4)
	v_fma_f32 v9, v36, v9, -v38
	v_sub_f32_e32 v5, v5, v17
	s_delay_alu instid0(VALU_DEP_4) | instskip(SKIP_1) | instid1(VALU_DEP_4)
	v_fmac_f32_e32 v37, v36, v10
	v_dual_sub_f32 v7, v7, v20 :: v_dual_sub_f32 v0, v0, v30
	v_dual_sub_f32 v1, v1, v35 :: v_dual_sub_f32 v2, v2, v9
	s_delay_alu instid0(VALU_DEP_3)
	v_sub_f32_e32 v3, v3, v37
	s_cbranch_scc0 .LBB167_119
.LBB167_120:                            ;   in Loop: Header=BB167_118 Depth=2
	s_mul_i32 s35, s21, 0xe8
                                        ; implicit-def: $vgpr18
	s_wait_alu 0xfffe
	v_mov_b32_e32 v8, s35
	s_mov_b32 s35, -1
	ds_load_b64 v[8:9], v8
	s_wait_dscnt 0x0
	v_and_b32_e32 v10, 0x7fffffff, v8
	v_and_b32_e32 v11, 0x7fffffff, v9
	s_delay_alu instid0(VALU_DEP_1)
	v_cmp_ngt_f32_e32 vcc_lo, v10, v11
	s_cbranch_vccz .LBB167_122
; %bb.121:                              ;   in Loop: Header=BB167_118 Depth=2
	v_div_scale_f32 v10, null, v9, v9, v8
	v_div_scale_f32 v18, vcc_lo, v8, v9, v8
	s_mov_b32 s35, 0
	v_rcp_f32_e32 v11, v10
	v_xor_b32_e32 v10, 0x80000000, v10
	s_delay_alu instid0(TRANS32_DEP_1) | instid1(VALU_DEP_1)
	v_fma_f32 v17, v10, v11, 1.0
	s_delay_alu instid0(VALU_DEP_1) | instskip(NEXT) | instid1(VALU_DEP_1)
	v_fmac_f32_e32 v11, v17, v11
	v_mul_f32_e32 v17, v18, v11
	s_delay_alu instid0(VALU_DEP_1) | instskip(NEXT) | instid1(VALU_DEP_1)
	v_fma_f32 v20, v10, v17, v18
	v_fmac_f32_e32 v17, v20, v11
	s_delay_alu instid0(VALU_DEP_1) | instskip(SKIP_1) | instid1(VALU_DEP_1)
	v_fmac_f32_e32 v18, v10, v17
	s_wait_alu 0xfffd
	v_div_fmas_f32 v10, v18, v11, v17
	s_delay_alu instid0(VALU_DEP_1) | instskip(NEXT) | instid1(VALU_DEP_1)
	v_div_fixup_f32 v10, v10, v9, v8
	v_fma_f32 v11, v8, v10, v9
	s_delay_alu instid0(VALU_DEP_1) | instskip(SKIP_1) | instid1(VALU_DEP_2)
	v_div_scale_f32 v17, null, v11, v11, 1.0
	v_div_scale_f32 v30, vcc_lo, 1.0, v11, 1.0
	v_rcp_f32_e32 v18, v17
	v_xor_b32_e32 v17, 0x80000000, v17
	s_delay_alu instid0(TRANS32_DEP_1) | instid1(VALU_DEP_1)
	v_fma_f32 v20, v17, v18, 1.0
	s_delay_alu instid0(VALU_DEP_1) | instskip(NEXT) | instid1(VALU_DEP_1)
	v_fmac_f32_e32 v18, v20, v18
	v_mul_f32_e32 v20, v30, v18
	s_delay_alu instid0(VALU_DEP_1) | instskip(NEXT) | instid1(VALU_DEP_1)
	v_fma_f32 v31, v17, v20, v30
	v_fmac_f32_e32 v20, v31, v18
	s_delay_alu instid0(VALU_DEP_1) | instskip(SKIP_1) | instid1(VALU_DEP_1)
	v_fmac_f32_e32 v30, v17, v20
	s_wait_alu 0xfffd
	v_div_fmas_f32 v17, v30, v18, v20
	v_fma_f32 v18, v4, v10, v5
	v_fma_f32 v10, v5, v10, -v4
	s_delay_alu instid0(VALU_DEP_3) | instskip(NEXT) | instid1(VALU_DEP_1)
	v_div_fixup_f32 v11, v17, v11, 1.0
	v_mul_f32_e32 v17, v18, v11
	s_delay_alu instid0(VALU_DEP_3)
	v_mul_f32_e32 v18, v10, v11
.LBB167_122:                            ;   in Loop: Header=BB167_118 Depth=2
	s_wait_alu 0xfffe
	s_and_not1_b32 vcc_lo, exec_lo, s35
	s_wait_alu 0xfffe
	s_cbranch_vccnz .LBB167_124
; %bb.123:                              ;   in Loop: Header=BB167_118 Depth=2
	v_div_scale_f32 v10, null, v8, v8, v9
	v_div_scale_f32 v18, vcc_lo, v9, v8, v9
	s_delay_alu instid0(VALU_DEP_2)
	v_rcp_f32_e32 v11, v10
	v_xor_b32_e32 v10, 0x80000000, v10
	s_delay_alu instid0(TRANS32_DEP_1) | instid1(VALU_DEP_1)
	v_fma_f32 v17, v10, v11, 1.0
	s_delay_alu instid0(VALU_DEP_1) | instskip(NEXT) | instid1(VALU_DEP_1)
	v_fmac_f32_e32 v11, v17, v11
	v_mul_f32_e32 v17, v18, v11
	s_delay_alu instid0(VALU_DEP_1) | instskip(NEXT) | instid1(VALU_DEP_1)
	v_fma_f32 v20, v10, v17, v18
	v_fmac_f32_e32 v17, v20, v11
	s_delay_alu instid0(VALU_DEP_1) | instskip(SKIP_1) | instid1(VALU_DEP_1)
	v_fmac_f32_e32 v18, v10, v17
	s_wait_alu 0xfffd
	v_div_fmas_f32 v10, v18, v11, v17
	s_delay_alu instid0(VALU_DEP_1) | instskip(NEXT) | instid1(VALU_DEP_1)
	v_div_fixup_f32 v10, v10, v8, v9
	v_fmac_f32_e32 v8, v9, v10
	s_delay_alu instid0(VALU_DEP_1) | instskip(SKIP_1) | instid1(VALU_DEP_2)
	v_div_scale_f32 v9, null, v8, v8, 1.0
	v_div_scale_f32 v18, vcc_lo, 1.0, v8, 1.0
	v_rcp_f32_e32 v11, v9
	v_xor_b32_e32 v9, 0x80000000, v9
	s_delay_alu instid0(TRANS32_DEP_1) | instid1(VALU_DEP_1)
	v_fma_f32 v17, v9, v11, 1.0
	s_delay_alu instid0(VALU_DEP_1) | instskip(NEXT) | instid1(VALU_DEP_1)
	v_fmac_f32_e32 v11, v17, v11
	v_mul_f32_e32 v17, v18, v11
	s_delay_alu instid0(VALU_DEP_1) | instskip(NEXT) | instid1(VALU_DEP_1)
	v_fma_f32 v20, v9, v17, v18
	v_fmac_f32_e32 v17, v20, v11
	s_delay_alu instid0(VALU_DEP_1) | instskip(SKIP_1) | instid1(VALU_DEP_1)
	v_fmac_f32_e32 v18, v9, v17
	s_wait_alu 0xfffd
	v_div_fmas_f32 v9, v18, v11, v17
	v_fma_f32 v11, v5, v10, v4
	v_fma_f32 v4, -v4, v10, v5
	s_delay_alu instid0(VALU_DEP_3) | instskip(NEXT) | instid1(VALU_DEP_1)
	v_div_fixup_f32 v8, v9, v8, 1.0
	v_mul_f32_e32 v17, v11, v8
	s_delay_alu instid0(VALU_DEP_3)
	v_mul_f32_e32 v18, v4, v8
.LBB167_124:                            ;   in Loop: Header=BB167_118 Depth=2
	s_lshl_b32 s35, s34, 3
	s_lshl_b32 s34, s21, 3
	s_wait_alu 0xfffe
	s_addk_co_i32 s35, 0xe0
	ds_store_b64 v19, v[17:18]
	s_wait_alu 0xfffe
	s_add_co_i32 s36, s35, s34
	s_wait_alu 0xfffe
	v_mov_b32_e32 v4, s36
	s_mov_b32 s36, -1
	ds_load_b128 v[8:11], v4
	s_wait_dscnt 0x0
	v_mul_f32_e32 v4, v18, v9
	v_mul_f32_e32 v5, v17, v9
	v_and_b32_e32 v9, 0x7fffffff, v10
	v_and_b32_e32 v20, 0x7fffffff, v11
	s_delay_alu instid0(VALU_DEP_4) | instskip(NEXT) | instid1(VALU_DEP_4)
	v_fma_f32 v4, v17, v8, -v4
	v_fmac_f32_e32 v5, v18, v8
	s_delay_alu instid0(VALU_DEP_3) | instskip(NEXT) | instid1(VALU_DEP_2)
	v_cmp_ngt_f32_e32 vcc_lo, v9, v20
                                        ; implicit-def: $vgpr9
	v_dual_sub_f32 v4, v6, v4 :: v_dual_sub_f32 v5, v7, v5
	s_cbranch_vccz .LBB167_126
; %bb.125:                              ;   in Loop: Header=BB167_118 Depth=2
	v_div_scale_f32 v6, null, v11, v11, v10
	v_div_scale_f32 v9, vcc_lo, v10, v11, v10
	s_mov_b32 s36, 0
	v_rcp_f32_e32 v7, v6
	v_xor_b32_e32 v6, 0x80000000, v6
	s_delay_alu instid0(TRANS32_DEP_1) | instid1(VALU_DEP_1)
	v_fma_f32 v8, v6, v7, 1.0
	s_delay_alu instid0(VALU_DEP_1) | instskip(NEXT) | instid1(VALU_DEP_1)
	v_fmac_f32_e32 v7, v8, v7
	v_mul_f32_e32 v8, v9, v7
	s_delay_alu instid0(VALU_DEP_1) | instskip(NEXT) | instid1(VALU_DEP_1)
	v_fma_f32 v20, v6, v8, v9
	v_fmac_f32_e32 v8, v20, v7
	s_delay_alu instid0(VALU_DEP_1) | instskip(SKIP_1) | instid1(VALU_DEP_1)
	v_fmac_f32_e32 v9, v6, v8
	s_wait_alu 0xfffd
	v_div_fmas_f32 v6, v9, v7, v8
	s_delay_alu instid0(VALU_DEP_1) | instskip(NEXT) | instid1(VALU_DEP_1)
	v_div_fixup_f32 v6, v6, v11, v10
	v_fma_f32 v7, v10, v6, v11
	s_delay_alu instid0(VALU_DEP_1) | instskip(SKIP_1) | instid1(VALU_DEP_2)
	v_div_scale_f32 v8, null, v7, v7, 1.0
	v_div_scale_f32 v30, vcc_lo, 1.0, v7, 1.0
	v_rcp_f32_e32 v9, v8
	v_xor_b32_e32 v8, 0x80000000, v8
	s_delay_alu instid0(TRANS32_DEP_1) | instid1(VALU_DEP_1)
	v_fma_f32 v20, v8, v9, 1.0
	s_delay_alu instid0(VALU_DEP_1) | instskip(NEXT) | instid1(VALU_DEP_1)
	v_fmac_f32_e32 v9, v20, v9
	v_mul_f32_e32 v20, v30, v9
	s_delay_alu instid0(VALU_DEP_1) | instskip(NEXT) | instid1(VALU_DEP_1)
	v_fma_f32 v31, v8, v20, v30
	v_fmac_f32_e32 v20, v31, v9
	s_delay_alu instid0(VALU_DEP_1) | instskip(SKIP_1) | instid1(VALU_DEP_1)
	v_fmac_f32_e32 v30, v8, v20
	s_wait_alu 0xfffd
	v_div_fmas_f32 v8, v30, v9, v20
	v_fma_f32 v9, v6, v4, v5
	v_fma_f32 v6, v6, v5, -v4
	s_delay_alu instid0(VALU_DEP_3) | instskip(NEXT) | instid1(VALU_DEP_1)
	v_div_fixup_f32 v7, v8, v7, 1.0
	v_mul_f32_e32 v8, v9, v7
	s_delay_alu instid0(VALU_DEP_3)
	v_mul_f32_e32 v9, v6, v7
.LBB167_126:                            ;   in Loop: Header=BB167_118 Depth=2
	s_wait_alu 0xfffe
	s_and_not1_b32 vcc_lo, exec_lo, s36
	s_wait_alu 0xfffe
	s_cbranch_vccnz .LBB167_128
; %bb.127:                              ;   in Loop: Header=BB167_118 Depth=2
	v_div_scale_f32 v6, null, v10, v10, v11
	v_div_scale_f32 v9, vcc_lo, v11, v10, v11
	s_delay_alu instid0(VALU_DEP_2)
	v_rcp_f32_e32 v7, v6
	v_xor_b32_e32 v6, 0x80000000, v6
	s_delay_alu instid0(TRANS32_DEP_1) | instid1(VALU_DEP_1)
	v_fma_f32 v8, v6, v7, 1.0
	s_delay_alu instid0(VALU_DEP_1) | instskip(NEXT) | instid1(VALU_DEP_1)
	v_fmac_f32_e32 v7, v8, v7
	v_mul_f32_e32 v8, v9, v7
	s_delay_alu instid0(VALU_DEP_1) | instskip(NEXT) | instid1(VALU_DEP_1)
	v_fma_f32 v20, v6, v8, v9
	v_fmac_f32_e32 v8, v20, v7
	s_delay_alu instid0(VALU_DEP_1) | instskip(SKIP_1) | instid1(VALU_DEP_1)
	v_fmac_f32_e32 v9, v6, v8
	s_wait_alu 0xfffd
	v_div_fmas_f32 v6, v9, v7, v8
	s_delay_alu instid0(VALU_DEP_1) | instskip(NEXT) | instid1(VALU_DEP_1)
	v_div_fixup_f32 v6, v6, v10, v11
	v_fmac_f32_e32 v10, v11, v6
	s_delay_alu instid0(VALU_DEP_1) | instskip(SKIP_1) | instid1(VALU_DEP_2)
	v_div_scale_f32 v7, null, v10, v10, 1.0
	v_div_scale_f32 v11, vcc_lo, 1.0, v10, 1.0
	v_rcp_f32_e32 v8, v7
	v_xor_b32_e32 v7, 0x80000000, v7
	s_delay_alu instid0(TRANS32_DEP_1) | instid1(VALU_DEP_1)
	v_fma_f32 v9, v7, v8, 1.0
	s_delay_alu instid0(VALU_DEP_1) | instskip(NEXT) | instid1(VALU_DEP_1)
	v_fmac_f32_e32 v8, v9, v8
	v_mul_f32_e32 v9, v11, v8
	s_delay_alu instid0(VALU_DEP_1) | instskip(NEXT) | instid1(VALU_DEP_1)
	v_fma_f32 v20, v7, v9, v11
	v_fmac_f32_e32 v9, v20, v8
	s_delay_alu instid0(VALU_DEP_1) | instskip(SKIP_1) | instid1(VALU_DEP_1)
	v_fmac_f32_e32 v11, v7, v9
	s_wait_alu 0xfffd
	v_div_fmas_f32 v7, v11, v8, v9
	v_fma_f32 v8, v6, v5, v4
	v_fma_f32 v4, -v6, v4, v5
	s_delay_alu instid0(VALU_DEP_3) | instskip(NEXT) | instid1(VALU_DEP_1)
	v_div_fixup_f32 v7, v7, v10, 1.0
	v_mul_f32_e32 v8, v8, v7
	s_delay_alu instid0(VALU_DEP_3)
	v_mul_f32_e32 v9, v4, v7
.LBB167_128:                            ;   in Loop: Header=BB167_118 Depth=2
	s_addk_co_i32 s35, 0xe0
	s_wait_alu 0xfffe
	s_add_co_i32 s34, s35, s34
	s_mov_b32 s35, -1
	s_wait_alu 0xfffe
	v_mov_b32_e32 v4, s34
	ds_load_b128 v[30:33], v4
	ds_load_b64 v[4:5], v4 offset:16
	ds_store_b64 v19, v[8:9] offset:224
	s_wait_dscnt 0x2
	v_dual_mul_f32 v6, v18, v31 :: v_dual_mul_f32 v11, v8, v33
	v_mul_f32_e32 v7, v17, v31
	v_mul_f32_e32 v10, v9, v33
	s_delay_alu instid0(VALU_DEP_3) | instskip(NEXT) | instid1(VALU_DEP_4)
	v_fma_f32 v6, v17, v30, -v6
	v_fmac_f32_e32 v11, v9, v32
	s_wait_dscnt 0x1
	v_dual_fmac_f32 v7, v18, v30 :: v_dual_and_b32 v20, 0x7fffffff, v4
	v_and_b32_e32 v30, 0x7fffffff, v5
	v_fma_f32 v10, v8, v32, -v10
	s_delay_alu instid0(VALU_DEP_3) | instskip(NEXT) | instid1(VALU_DEP_3)
	v_dual_sub_f32 v1, v1, v7 :: v_dual_sub_f32 v0, v0, v6
	v_cmp_ngt_f32_e32 vcc_lo, v20, v30
	s_delay_alu instid0(VALU_DEP_2)
	v_dual_sub_f32 v7, v1, v11 :: v_dual_sub_f32 v6, v0, v10
                                        ; implicit-def: $vgpr1
	s_cbranch_vccz .LBB167_130
; %bb.129:                              ;   in Loop: Header=BB167_118 Depth=2
	v_div_scale_f32 v0, null, v5, v5, v4
	v_div_scale_f32 v11, vcc_lo, v4, v5, v4
	s_mov_b32 s35, 0
	v_rcp_f32_e32 v1, v0
	v_xor_b32_e32 v0, 0x80000000, v0
	s_delay_alu instid0(TRANS32_DEP_1) | instid1(VALU_DEP_1)
	v_fma_f32 v10, v0, v1, 1.0
	s_delay_alu instid0(VALU_DEP_1) | instskip(NEXT) | instid1(VALU_DEP_1)
	v_fmac_f32_e32 v1, v10, v1
	v_mul_f32_e32 v10, v11, v1
	s_delay_alu instid0(VALU_DEP_1) | instskip(NEXT) | instid1(VALU_DEP_1)
	v_fma_f32 v20, v0, v10, v11
	v_fmac_f32_e32 v10, v20, v1
	s_delay_alu instid0(VALU_DEP_1) | instskip(SKIP_1) | instid1(VALU_DEP_1)
	v_fmac_f32_e32 v11, v0, v10
	s_wait_alu 0xfffd
	v_div_fmas_f32 v0, v11, v1, v10
	s_delay_alu instid0(VALU_DEP_1) | instskip(NEXT) | instid1(VALU_DEP_1)
	v_div_fixup_f32 v0, v0, v5, v4
	v_fma_f32 v1, v4, v0, v5
	s_delay_alu instid0(VALU_DEP_1) | instskip(SKIP_1) | instid1(VALU_DEP_2)
	v_div_scale_f32 v10, null, v1, v1, 1.0
	v_div_scale_f32 v30, vcc_lo, 1.0, v1, 1.0
	v_rcp_f32_e32 v11, v10
	v_xor_b32_e32 v10, 0x80000000, v10
	s_delay_alu instid0(TRANS32_DEP_1) | instid1(VALU_DEP_1)
	v_fma_f32 v20, v10, v11, 1.0
	s_delay_alu instid0(VALU_DEP_1) | instskip(NEXT) | instid1(VALU_DEP_1)
	v_fmac_f32_e32 v11, v20, v11
	v_mul_f32_e32 v20, v30, v11
	s_delay_alu instid0(VALU_DEP_1) | instskip(NEXT) | instid1(VALU_DEP_1)
	v_fma_f32 v31, v10, v20, v30
	v_fmac_f32_e32 v20, v31, v11
	s_delay_alu instid0(VALU_DEP_1) | instskip(SKIP_1) | instid1(VALU_DEP_1)
	v_fmac_f32_e32 v30, v10, v20
	s_wait_alu 0xfffd
	v_div_fmas_f32 v10, v30, v11, v20
	v_fma_f32 v11, v0, v6, v7
	s_delay_alu instid0(VALU_DEP_2) | instskip(SKIP_1) | instid1(VALU_DEP_2)
	v_div_fixup_f32 v1, v10, v1, 1.0
	v_fma_f32 v10, v0, v7, -v6
	v_mul_f32_e32 v0, v11, v1
	s_delay_alu instid0(VALU_DEP_2)
	v_mul_f32_e32 v1, v10, v1
.LBB167_130:                            ;   in Loop: Header=BB167_118 Depth=2
	s_wait_alu 0xfffe
	s_and_not1_b32 vcc_lo, exec_lo, s35
	s_wait_alu 0xfffe
	s_cbranch_vccnz .LBB167_132
; %bb.131:                              ;   in Loop: Header=BB167_118 Depth=2
	v_div_scale_f32 v0, null, v4, v4, v5
	v_div_scale_f32 v11, vcc_lo, v5, v4, v5
	s_delay_alu instid0(VALU_DEP_2)
	v_rcp_f32_e32 v1, v0
	v_xor_b32_e32 v0, 0x80000000, v0
	s_delay_alu instid0(TRANS32_DEP_1) | instid1(VALU_DEP_1)
	v_fma_f32 v10, v0, v1, 1.0
	s_delay_alu instid0(VALU_DEP_1) | instskip(NEXT) | instid1(VALU_DEP_1)
	v_fmac_f32_e32 v1, v10, v1
	v_mul_f32_e32 v10, v11, v1
	s_delay_alu instid0(VALU_DEP_1) | instskip(NEXT) | instid1(VALU_DEP_1)
	v_fma_f32 v20, v0, v10, v11
	v_fmac_f32_e32 v10, v20, v1
	s_delay_alu instid0(VALU_DEP_1) | instskip(SKIP_1) | instid1(VALU_DEP_1)
	v_fmac_f32_e32 v11, v0, v10
	s_wait_alu 0xfffd
	v_div_fmas_f32 v0, v11, v1, v10
	s_delay_alu instid0(VALU_DEP_1) | instskip(NEXT) | instid1(VALU_DEP_1)
	v_div_fixup_f32 v0, v0, v4, v5
	v_fmac_f32_e32 v4, v5, v0
	s_delay_alu instid0(VALU_DEP_1) | instskip(SKIP_1) | instid1(VALU_DEP_2)
	v_div_scale_f32 v1, null, v4, v4, 1.0
	v_div_scale_f32 v11, vcc_lo, 1.0, v4, 1.0
	v_rcp_f32_e32 v5, v1
	v_xor_b32_e32 v1, 0x80000000, v1
	s_delay_alu instid0(TRANS32_DEP_1) | instid1(VALU_DEP_1)
	v_fma_f32 v10, v1, v5, 1.0
	s_delay_alu instid0(VALU_DEP_1) | instskip(NEXT) | instid1(VALU_DEP_1)
	v_fmac_f32_e32 v5, v10, v5
	v_mul_f32_e32 v10, v11, v5
	s_delay_alu instid0(VALU_DEP_1) | instskip(NEXT) | instid1(VALU_DEP_1)
	v_fma_f32 v20, v1, v10, v11
	v_fmac_f32_e32 v10, v20, v5
	s_delay_alu instid0(VALU_DEP_1) | instskip(SKIP_1) | instid1(VALU_DEP_1)
	v_fmac_f32_e32 v11, v1, v10
	s_wait_alu 0xfffd
	v_div_fmas_f32 v1, v11, v5, v10
	v_fma_f32 v5, v0, v7, v6
	s_delay_alu instid0(VALU_DEP_2) | instskip(SKIP_1) | instid1(VALU_DEP_2)
	v_div_fixup_f32 v1, v1, v4, 1.0
	v_fma_f32 v4, -v0, v6, v7
	v_mul_f32_e32 v0, v5, v1
	s_delay_alu instid0(VALU_DEP_2)
	v_mul_f32_e32 v1, v4, v1
.LBB167_132:                            ;   in Loop: Header=BB167_118 Depth=2
	v_mov_b32_e32 v4, s34
	s_mov_b32 s34, -1
	ds_load_b128 v[30:33], v4 offset:224
	ds_load_b128 v[4:7], v4 offset:240
	ds_store_b64 v19, v[0:1] offset:448
	s_wait_dscnt 0x2
	v_mul_f32_e32 v10, v18, v31
	v_mul_f32_e32 v11, v17, v31
	;; [unrolled: 1-line block ×4, first 2 shown]
	s_delay_alu instid0(VALU_DEP_4)
	v_fma_f32 v10, v17, v30, -v10
	s_wait_dscnt 0x1
	v_mul_f32_e32 v33, v1, v5
	v_fmac_f32_e32 v11, v18, v30
	v_fma_f32 v8, v8, v32, -v20
	v_and_b32_e32 v17, 0x7fffffff, v6
	v_dual_sub_f32 v2, v2, v10 :: v_dual_mul_f32 v5, v0, v5
	s_delay_alu instid0(VALU_DEP_4) | instskip(SKIP_1) | instid1(VALU_DEP_3)
	v_sub_f32_e32 v3, v3, v11
	v_fma_f32 v10, v0, v4, -v33
	v_sub_f32_e32 v2, v2, v8
	v_fmac_f32_e32 v31, v9, v32
	v_and_b32_e32 v9, 0x7fffffff, v7
	v_fmac_f32_e32 v5, v1, v4
                                        ; implicit-def: $vgpr1
	s_delay_alu instid0(VALU_DEP_3) | instskip(NEXT) | instid1(VALU_DEP_3)
	v_dual_sub_f32 v2, v2, v10 :: v_dual_sub_f32 v3, v3, v31
	v_cmp_ngt_f32_e32 vcc_lo, v17, v9
	s_delay_alu instid0(VALU_DEP_2)
	v_sub_f32_e32 v3, v3, v5
	s_cbranch_vccz .LBB167_134
; %bb.133:                              ;   in Loop: Header=BB167_118 Depth=2
	v_div_scale_f32 v0, null, v7, v7, v6
	v_div_scale_f32 v5, vcc_lo, v6, v7, v6
	s_mov_b32 s34, 0
	v_rcp_f32_e32 v1, v0
	v_xor_b32_e32 v0, 0x80000000, v0
	s_delay_alu instid0(TRANS32_DEP_1) | instid1(VALU_DEP_1)
	v_fma_f32 v4, v0, v1, 1.0
	s_delay_alu instid0(VALU_DEP_1) | instskip(NEXT) | instid1(VALU_DEP_1)
	v_fmac_f32_e32 v1, v4, v1
	v_mul_f32_e32 v4, v5, v1
	s_delay_alu instid0(VALU_DEP_1) | instskip(NEXT) | instid1(VALU_DEP_1)
	v_fma_f32 v8, v0, v4, v5
	v_fmac_f32_e32 v4, v8, v1
	s_delay_alu instid0(VALU_DEP_1) | instskip(SKIP_1) | instid1(VALU_DEP_1)
	v_fmac_f32_e32 v5, v0, v4
	s_wait_alu 0xfffd
	v_div_fmas_f32 v0, v5, v1, v4
	s_delay_alu instid0(VALU_DEP_1) | instskip(NEXT) | instid1(VALU_DEP_1)
	v_div_fixup_f32 v0, v0, v7, v6
	v_fma_f32 v1, v6, v0, v7
	s_delay_alu instid0(VALU_DEP_1) | instskip(SKIP_1) | instid1(VALU_DEP_2)
	v_div_scale_f32 v4, null, v1, v1, 1.0
	v_div_scale_f32 v9, vcc_lo, 1.0, v1, 1.0
	v_rcp_f32_e32 v5, v4
	v_xor_b32_e32 v4, 0x80000000, v4
	s_delay_alu instid0(TRANS32_DEP_1) | instid1(VALU_DEP_1)
	v_fma_f32 v8, v4, v5, 1.0
	s_delay_alu instid0(VALU_DEP_1) | instskip(NEXT) | instid1(VALU_DEP_1)
	v_fmac_f32_e32 v5, v8, v5
	v_mul_f32_e32 v8, v9, v5
	s_delay_alu instid0(VALU_DEP_1) | instskip(NEXT) | instid1(VALU_DEP_1)
	v_fma_f32 v10, v4, v8, v9
	v_fmac_f32_e32 v8, v10, v5
	s_delay_alu instid0(VALU_DEP_1) | instskip(SKIP_1) | instid1(VALU_DEP_1)
	v_fmac_f32_e32 v9, v4, v8
	s_wait_alu 0xfffd
	v_div_fmas_f32 v4, v9, v5, v8
	v_fma_f32 v5, v0, v2, v3
	s_delay_alu instid0(VALU_DEP_2) | instskip(SKIP_1) | instid1(VALU_DEP_2)
	v_div_fixup_f32 v1, v4, v1, 1.0
	v_fma_f32 v4, v0, v3, -v2
	v_mul_f32_e32 v0, v5, v1
	s_delay_alu instid0(VALU_DEP_2)
	v_mul_f32_e32 v1, v4, v1
.LBB167_134:                            ;   in Loop: Header=BB167_118 Depth=2
	s_wait_alu 0xfffe
	s_and_not1_b32 vcc_lo, exec_lo, s34
	s_wait_alu 0xfffe
	s_cbranch_vccnz .LBB167_136
; %bb.135:                              ;   in Loop: Header=BB167_118 Depth=2
	v_div_scale_f32 v0, null, v6, v6, v7
	v_div_scale_f32 v5, vcc_lo, v7, v6, v7
	s_delay_alu instid0(VALU_DEP_2)
	v_rcp_f32_e32 v1, v0
	v_xor_b32_e32 v0, 0x80000000, v0
	s_delay_alu instid0(TRANS32_DEP_1) | instid1(VALU_DEP_1)
	v_fma_f32 v4, v0, v1, 1.0
	s_delay_alu instid0(VALU_DEP_1) | instskip(NEXT) | instid1(VALU_DEP_1)
	v_fmac_f32_e32 v1, v4, v1
	v_mul_f32_e32 v4, v5, v1
	s_delay_alu instid0(VALU_DEP_1) | instskip(NEXT) | instid1(VALU_DEP_1)
	v_fma_f32 v8, v0, v4, v5
	v_fmac_f32_e32 v4, v8, v1
	s_delay_alu instid0(VALU_DEP_1) | instskip(SKIP_1) | instid1(VALU_DEP_1)
	v_fmac_f32_e32 v5, v0, v4
	s_wait_alu 0xfffd
	v_div_fmas_f32 v0, v5, v1, v4
	s_delay_alu instid0(VALU_DEP_1) | instskip(NEXT) | instid1(VALU_DEP_1)
	v_div_fixup_f32 v0, v0, v6, v7
	v_fmac_f32_e32 v6, v7, v0
	s_delay_alu instid0(VALU_DEP_1) | instskip(SKIP_1) | instid1(VALU_DEP_2)
	v_div_scale_f32 v1, null, v6, v6, 1.0
	v_div_scale_f32 v7, vcc_lo, 1.0, v6, 1.0
	v_rcp_f32_e32 v4, v1
	v_xor_b32_e32 v1, 0x80000000, v1
	s_delay_alu instid0(TRANS32_DEP_1) | instid1(VALU_DEP_1)
	v_fma_f32 v5, v1, v4, 1.0
	s_delay_alu instid0(VALU_DEP_1) | instskip(NEXT) | instid1(VALU_DEP_1)
	v_fmac_f32_e32 v4, v5, v4
	v_mul_f32_e32 v5, v7, v4
	s_delay_alu instid0(VALU_DEP_1) | instskip(NEXT) | instid1(VALU_DEP_1)
	v_fma_f32 v8, v1, v5, v7
	v_fmac_f32_e32 v5, v8, v4
	s_delay_alu instid0(VALU_DEP_1) | instskip(SKIP_1) | instid1(VALU_DEP_1)
	v_fmac_f32_e32 v7, v1, v5
	s_wait_alu 0xfffd
	v_div_fmas_f32 v1, v7, v4, v5
	v_fma_f32 v4, v0, v3, v2
	v_fma_f32 v2, -v0, v2, v3
	s_delay_alu instid0(VALU_DEP_3) | instskip(NEXT) | instid1(VALU_DEP_1)
	v_div_fixup_f32 v1, v1, v6, 1.0
	v_mul_f32_e32 v0, v4, v1
	s_delay_alu instid0(VALU_DEP_3)
	v_mul_f32_e32 v1, v2, v1
.LBB167_136:                            ;   in Loop: Header=BB167_118 Depth=2
	s_add_co_i32 s34, s21, 4
	s_add_co_i32 s21, s21, 7
	s_addk_co_i32 s20, 0x380
	s_wait_alu 0xfffe
	s_cmp_ge_i32 s21, s24
	ds_store_b64 v19, v[0:1] offset:672
	s_cbranch_scc1 .LBB167_138
; %bb.137:                              ;   in Loop: Header=BB167_118 Depth=2
	s_mov_b32 s21, s34
	s_branch .LBB167_118
.LBB167_138:                            ;   in Loop: Header=BB167_3 Depth=1
	s_cmp_ge_i32 s34, s24
	s_cbranch_scc1 .LBB167_147
; %bb.139:                              ;   in Loop: Header=BB167_3 Depth=1
	s_mul_i32 s20, s34, 0xe0
	s_branch .LBB167_141
.LBB167_140:                            ;   in Loop: Header=BB167_141 Depth=2
	s_add_co_i32 s34, s34, 1
	s_addk_co_i32 s20, 0xe0
	s_wait_alu 0xfffe
	s_cmp_ge_i32 s34, s24
	ds_store_b64 v0, v[5:6]
	s_cbranch_scc1 .LBB167_147
.LBB167_141:                            ;   Parent Loop BB167_3 Depth=1
                                        ; =>  This Loop Header: Depth=2
                                        ;       Child Loop BB167_142 Depth 3
	v_mad_co_u64_u32 v[0:1], null, 0xe0, s34, v[14:15]
	v_mov_b32_e32 v3, v14
	s_cmp_eq_u32 s34, 0
	s_wait_alu 0xfffe
	s_mov_b32 s21, s20
	s_mov_b32 s35, s34
	ds_load_b64 v[1:2], v0
	s_cbranch_scc1 .LBB167_143
.LBB167_142:                            ;   Parent Loop BB167_3 Depth=1
                                        ;     Parent Loop BB167_141 Depth=2
                                        ; =>    This Inner Loop Header: Depth=3
	s_wait_alu 0xfffe
	v_mov_b32_e32 v6, s21
	s_add_co_i32 s35, s35, -1
	s_add_co_i32 s21, s21, 8
	s_wait_alu 0xfffe
	s_cmp_eq_u32 s35, 0
	ds_load_b64 v[4:5], v3
	ds_load_b64 v[6:7], v6
	s_wait_dscnt 0x0
	v_dual_mul_f32 v8, v7, v5 :: v_dual_add_nc_u32 v3, 0xe0, v3
	v_mul_f32_e32 v5, v6, v5
	s_delay_alu instid0(VALU_DEP_2) | instskip(NEXT) | instid1(VALU_DEP_2)
	v_fma_f32 v6, v6, v4, -v8
	v_fmac_f32_e32 v5, v7, v4
	s_delay_alu instid0(VALU_DEP_1)
	v_dual_sub_f32 v1, v1, v6 :: v_dual_sub_f32 v2, v2, v5
	s_cbranch_scc0 .LBB167_142
.LBB167_143:                            ;   in Loop: Header=BB167_141 Depth=2
	s_mul_i32 s21, s34, 0xe8
	s_wait_alu 0xfffe
	v_mov_b32_e32 v3, s21
	s_mov_b32 s21, -1
	ds_load_b64 v[3:4], v3
	s_wait_dscnt 0x0
	v_and_b32_e32 v5, 0x7fffffff, v3
	v_and_b32_e32 v6, 0x7fffffff, v4
	s_delay_alu instid0(VALU_DEP_1)
	v_cmp_ngt_f32_e32 vcc_lo, v5, v6
                                        ; implicit-def: $vgpr5
	s_cbranch_vccz .LBB167_145
; %bb.144:                              ;   in Loop: Header=BB167_141 Depth=2
	v_div_scale_f32 v5, null, v4, v4, v3
	v_div_scale_f32 v8, vcc_lo, v3, v4, v3
	s_mov_b32 s21, 0
	v_rcp_f32_e32 v6, v5
	v_xor_b32_e32 v5, 0x80000000, v5
	s_delay_alu instid0(TRANS32_DEP_1) | instid1(VALU_DEP_1)
	v_fma_f32 v7, v5, v6, 1.0
	s_delay_alu instid0(VALU_DEP_1) | instskip(NEXT) | instid1(VALU_DEP_1)
	v_fmac_f32_e32 v6, v7, v6
	v_mul_f32_e32 v7, v8, v6
	s_delay_alu instid0(VALU_DEP_1) | instskip(NEXT) | instid1(VALU_DEP_1)
	v_fma_f32 v9, v5, v7, v8
	v_fmac_f32_e32 v7, v9, v6
	s_delay_alu instid0(VALU_DEP_1) | instskip(SKIP_1) | instid1(VALU_DEP_1)
	v_fmac_f32_e32 v8, v5, v7
	s_wait_alu 0xfffd
	v_div_fmas_f32 v5, v8, v6, v7
	s_delay_alu instid0(VALU_DEP_1) | instskip(NEXT) | instid1(VALU_DEP_1)
	v_div_fixup_f32 v5, v5, v4, v3
	v_fma_f32 v6, v3, v5, v4
	s_delay_alu instid0(VALU_DEP_1) | instskip(SKIP_1) | instid1(VALU_DEP_2)
	v_div_scale_f32 v7, null, v6, v6, 1.0
	v_div_scale_f32 v10, vcc_lo, 1.0, v6, 1.0
	v_rcp_f32_e32 v8, v7
	v_xor_b32_e32 v7, 0x80000000, v7
	s_delay_alu instid0(TRANS32_DEP_1) | instid1(VALU_DEP_1)
	v_fma_f32 v9, v7, v8, 1.0
	s_delay_alu instid0(VALU_DEP_1) | instskip(NEXT) | instid1(VALU_DEP_1)
	v_fmac_f32_e32 v8, v9, v8
	v_mul_f32_e32 v9, v10, v8
	s_delay_alu instid0(VALU_DEP_1) | instskip(NEXT) | instid1(VALU_DEP_1)
	v_fma_f32 v11, v7, v9, v10
	v_fmac_f32_e32 v9, v11, v8
	s_delay_alu instid0(VALU_DEP_1) | instskip(SKIP_1) | instid1(VALU_DEP_1)
	v_fmac_f32_e32 v10, v7, v9
	s_wait_alu 0xfffd
	v_div_fmas_f32 v7, v10, v8, v9
	v_fma_f32 v8, v1, v5, v2
	s_delay_alu instid0(VALU_DEP_2) | instskip(SKIP_1) | instid1(VALU_DEP_2)
	v_div_fixup_f32 v6, v7, v6, 1.0
	v_fma_f32 v7, v2, v5, -v1
	v_mul_f32_e32 v5, v8, v6
	s_delay_alu instid0(VALU_DEP_2)
	v_mul_f32_e32 v6, v7, v6
.LBB167_145:                            ;   in Loop: Header=BB167_141 Depth=2
	s_wait_alu 0xfffe
	s_and_not1_b32 vcc_lo, exec_lo, s21
	s_wait_alu 0xfffe
	s_cbranch_vccnz .LBB167_140
; %bb.146:                              ;   in Loop: Header=BB167_141 Depth=2
	v_div_scale_f32 v5, null, v3, v3, v4
	v_div_scale_f32 v8, vcc_lo, v4, v3, v4
	s_delay_alu instid0(VALU_DEP_2)
	v_rcp_f32_e32 v6, v5
	v_xor_b32_e32 v5, 0x80000000, v5
	s_delay_alu instid0(TRANS32_DEP_1) | instid1(VALU_DEP_1)
	v_fma_f32 v7, v5, v6, 1.0
	s_delay_alu instid0(VALU_DEP_1) | instskip(NEXT) | instid1(VALU_DEP_1)
	v_fmac_f32_e32 v6, v7, v6
	v_mul_f32_e32 v7, v8, v6
	s_delay_alu instid0(VALU_DEP_1) | instskip(NEXT) | instid1(VALU_DEP_1)
	v_fma_f32 v9, v5, v7, v8
	v_fmac_f32_e32 v7, v9, v6
	s_delay_alu instid0(VALU_DEP_1) | instskip(SKIP_1) | instid1(VALU_DEP_1)
	v_fmac_f32_e32 v8, v5, v7
	s_wait_alu 0xfffd
	v_div_fmas_f32 v5, v8, v6, v7
	s_delay_alu instid0(VALU_DEP_1) | instskip(NEXT) | instid1(VALU_DEP_1)
	v_div_fixup_f32 v5, v5, v3, v4
	v_fmac_f32_e32 v3, v4, v5
	s_delay_alu instid0(VALU_DEP_1) | instskip(SKIP_1) | instid1(VALU_DEP_2)
	v_div_scale_f32 v4, null, v3, v3, 1.0
	v_div_scale_f32 v8, vcc_lo, 1.0, v3, 1.0
	v_rcp_f32_e32 v6, v4
	v_xor_b32_e32 v4, 0x80000000, v4
	s_delay_alu instid0(TRANS32_DEP_1) | instid1(VALU_DEP_1)
	v_fma_f32 v7, v4, v6, 1.0
	s_delay_alu instid0(VALU_DEP_1) | instskip(NEXT) | instid1(VALU_DEP_1)
	v_fmac_f32_e32 v6, v7, v6
	v_mul_f32_e32 v7, v8, v6
	s_delay_alu instid0(VALU_DEP_1) | instskip(NEXT) | instid1(VALU_DEP_1)
	v_fma_f32 v9, v4, v7, v8
	v_fmac_f32_e32 v7, v9, v6
	s_delay_alu instid0(VALU_DEP_1) | instskip(SKIP_1) | instid1(VALU_DEP_1)
	v_fmac_f32_e32 v8, v4, v7
	s_wait_alu 0xfffd
	v_div_fmas_f32 v4, v8, v6, v7
	v_fma_f32 v6, v2, v5, v1
	v_fma_f32 v1, -v1, v5, v2
	s_delay_alu instid0(VALU_DEP_3) | instskip(NEXT) | instid1(VALU_DEP_1)
	v_div_fixup_f32 v3, v4, v3, 1.0
	v_mul_f32_e32 v5, v6, v3
	s_delay_alu instid0(VALU_DEP_3)
	v_mul_f32_e32 v6, v1, v3
	s_branch .LBB167_140
.LBB167_147:                            ;   in Loop: Header=BB167_3 Depth=1
	s_and_saveexec_b32 s20, s23
	s_cbranch_execz .LBB167_2
; %bb.148:                              ;   in Loop: Header=BB167_3 Depth=1
	v_add_co_u32 v0, vcc_lo, v15, s6
	s_wait_alu 0xfffd
	v_add_co_ci_u32_e64 v1, null, s7, v16, vcc_lo
	v_mov_b32_e32 v2, v14
	s_delay_alu instid0(VALU_DEP_3) | instskip(SKIP_1) | instid1(VALU_DEP_3)
	v_add_co_u32 v0, vcc_lo, v0, s12
	s_wait_alu 0xfffd
	v_add_co_ci_u32_e64 v1, null, s13, v1, vcc_lo
	s_mov_b32 s21, s16
	v_add_co_u32 v0, vcc_lo, v0, v29
	s_wait_alu 0xfffd
	v_add_co_ci_u32_e64 v1, null, 0, v1, vcc_lo
.LBB167_149:                            ;   Parent Loop BB167_3 Depth=1
                                        ; =>  This Inner Loop Header: Depth=2
	ds_load_b64 v[3:4], v2
	v_add_nc_u32_e32 v2, 0xe0, v2
	s_wait_alu 0xfffe
	s_add_co_i32 s21, s21, -1
	s_wait_alu 0xfffe
	s_cmp_lg_u32 s21, 0
	s_wait_dscnt 0x0
	flat_store_b64 v[0:1], v[3:4]
	v_add_co_u32 v0, vcc_lo, v0, s14
	s_wait_alu 0xfffd
	v_add_co_ci_u32_e64 v1, null, s15, v1, vcc_lo
	s_cbranch_scc1 .LBB167_149
	s_branch .LBB167_2
.LBB167_150:
	s_endpgm
	.section	.rodata,"a",@progbits
	.p2align	6, 0x0
	.amdhsa_kernel _ZL31rocblas_trsm_small_right_deviceI19rocblas_complex_numIfES1_PKPKS1_PKPS1_Li28EEv13rocblas_fill_18rocblas_operation_17rocblas_diagonal_iiT0_T1_lilT2_lili
		.amdhsa_group_segment_fixed_size 12544
		.amdhsa_private_segment_fixed_size 0
		.amdhsa_kernarg_size 360
		.amdhsa_user_sgpr_count 2
		.amdhsa_user_sgpr_dispatch_ptr 0
		.amdhsa_user_sgpr_queue_ptr 0
		.amdhsa_user_sgpr_kernarg_segment_ptr 1
		.amdhsa_user_sgpr_dispatch_id 0
		.amdhsa_user_sgpr_private_segment_size 0
		.amdhsa_wavefront_size32 1
		.amdhsa_uses_dynamic_stack 0
		.amdhsa_enable_private_segment 0
		.amdhsa_system_sgpr_workgroup_id_x 1
		.amdhsa_system_sgpr_workgroup_id_y 0
		.amdhsa_system_sgpr_workgroup_id_z 1
		.amdhsa_system_sgpr_workgroup_info 0
		.amdhsa_system_vgpr_workitem_id 0
		.amdhsa_next_free_vgpr 241
		.amdhsa_next_free_sgpr 40
		.amdhsa_reserve_vcc 1
		.amdhsa_float_round_mode_32 0
		.amdhsa_float_round_mode_16_64 0
		.amdhsa_float_denorm_mode_32 3
		.amdhsa_float_denorm_mode_16_64 3
		.amdhsa_fp16_overflow 0
		.amdhsa_workgroup_processor_mode 1
		.amdhsa_memory_ordered 1
		.amdhsa_forward_progress 1
		.amdhsa_inst_pref_size 123
		.amdhsa_round_robin_scheduling 0
		.amdhsa_exception_fp_ieee_invalid_op 0
		.amdhsa_exception_fp_denorm_src 0
		.amdhsa_exception_fp_ieee_div_zero 0
		.amdhsa_exception_fp_ieee_overflow 0
		.amdhsa_exception_fp_ieee_underflow 0
		.amdhsa_exception_fp_ieee_inexact 0
		.amdhsa_exception_int_div_zero 0
	.end_amdhsa_kernel
	.section	.text._ZL31rocblas_trsm_small_right_deviceI19rocblas_complex_numIfES1_PKPKS1_PKPS1_Li28EEv13rocblas_fill_18rocblas_operation_17rocblas_diagonal_iiT0_T1_lilT2_lili,"axG",@progbits,_ZL31rocblas_trsm_small_right_deviceI19rocblas_complex_numIfES1_PKPKS1_PKPS1_Li28EEv13rocblas_fill_18rocblas_operation_17rocblas_diagonal_iiT0_T1_lilT2_lili,comdat
.Lfunc_end167:
	.size	_ZL31rocblas_trsm_small_right_deviceI19rocblas_complex_numIfES1_PKPKS1_PKPS1_Li28EEv13rocblas_fill_18rocblas_operation_17rocblas_diagonal_iiT0_T1_lilT2_lili, .Lfunc_end167-_ZL31rocblas_trsm_small_right_deviceI19rocblas_complex_numIfES1_PKPKS1_PKPS1_Li28EEv13rocblas_fill_18rocblas_operation_17rocblas_diagonal_iiT0_T1_lilT2_lili
                                        ; -- End function
	.set _ZL31rocblas_trsm_small_right_deviceI19rocblas_complex_numIfES1_PKPKS1_PKPS1_Li28EEv13rocblas_fill_18rocblas_operation_17rocblas_diagonal_iiT0_T1_lilT2_lili.num_vgpr, 42
	.set _ZL31rocblas_trsm_small_right_deviceI19rocblas_complex_numIfES1_PKPKS1_PKPS1_Li28EEv13rocblas_fill_18rocblas_operation_17rocblas_diagonal_iiT0_T1_lilT2_lili.num_agpr, 0
	.set _ZL31rocblas_trsm_small_right_deviceI19rocblas_complex_numIfES1_PKPKS1_PKPS1_Li28EEv13rocblas_fill_18rocblas_operation_17rocblas_diagonal_iiT0_T1_lilT2_lili.numbered_sgpr, 40
	.set _ZL31rocblas_trsm_small_right_deviceI19rocblas_complex_numIfES1_PKPKS1_PKPS1_Li28EEv13rocblas_fill_18rocblas_operation_17rocblas_diagonal_iiT0_T1_lilT2_lili.num_named_barrier, 0
	.set _ZL31rocblas_trsm_small_right_deviceI19rocblas_complex_numIfES1_PKPKS1_PKPS1_Li28EEv13rocblas_fill_18rocblas_operation_17rocblas_diagonal_iiT0_T1_lilT2_lili.private_seg_size, 0
	.set _ZL31rocblas_trsm_small_right_deviceI19rocblas_complex_numIfES1_PKPKS1_PKPS1_Li28EEv13rocblas_fill_18rocblas_operation_17rocblas_diagonal_iiT0_T1_lilT2_lili.uses_vcc, 1
	.set _ZL31rocblas_trsm_small_right_deviceI19rocblas_complex_numIfES1_PKPKS1_PKPS1_Li28EEv13rocblas_fill_18rocblas_operation_17rocblas_diagonal_iiT0_T1_lilT2_lili.uses_flat_scratch, 0
	.set _ZL31rocblas_trsm_small_right_deviceI19rocblas_complex_numIfES1_PKPKS1_PKPS1_Li28EEv13rocblas_fill_18rocblas_operation_17rocblas_diagonal_iiT0_T1_lilT2_lili.has_dyn_sized_stack, 0
	.set _ZL31rocblas_trsm_small_right_deviceI19rocblas_complex_numIfES1_PKPKS1_PKPS1_Li28EEv13rocblas_fill_18rocblas_operation_17rocblas_diagonal_iiT0_T1_lilT2_lili.has_recursion, 0
	.set _ZL31rocblas_trsm_small_right_deviceI19rocblas_complex_numIfES1_PKPKS1_PKPS1_Li28EEv13rocblas_fill_18rocblas_operation_17rocblas_diagonal_iiT0_T1_lilT2_lili.has_indirect_call, 0
	.section	.AMDGPU.csdata,"",@progbits
; Kernel info:
; codeLenInByte = 15732
; TotalNumSgprs: 42
; NumVgprs: 42
; ScratchSize: 0
; MemoryBound: 0
; FloatMode: 240
; IeeeMode: 1
; LDSByteSize: 12544 bytes/workgroup (compile time only)
; SGPRBlocks: 0
; VGPRBlocks: 30
; NumSGPRsForWavesPerEU: 42
; NumVGPRsForWavesPerEU: 241
; Occupancy: 3
; WaveLimiterHint : 0
; COMPUTE_PGM_RSRC2:SCRATCH_EN: 0
; COMPUTE_PGM_RSRC2:USER_SGPR: 2
; COMPUTE_PGM_RSRC2:TRAP_HANDLER: 0
; COMPUTE_PGM_RSRC2:TGID_X_EN: 1
; COMPUTE_PGM_RSRC2:TGID_Y_EN: 0
; COMPUTE_PGM_RSRC2:TGID_Z_EN: 1
; COMPUTE_PGM_RSRC2:TIDIG_COMP_CNT: 0
	.section	.text._ZL38rocblas_trsm_small_left_device_sharedBILi32ELi32ELb0E19rocblas_complex_numIfES1_PKPKS1_PKPS1_Ev13rocblas_fill_18rocblas_operation_17rocblas_diagonal_iiT3_T4_lilT5_lili,"axG",@progbits,_ZL38rocblas_trsm_small_left_device_sharedBILi32ELi32ELb0E19rocblas_complex_numIfES1_PKPKS1_PKPS1_Ev13rocblas_fill_18rocblas_operation_17rocblas_diagonal_iiT3_T4_lilT5_lili,comdat
	.globl	_ZL38rocblas_trsm_small_left_device_sharedBILi32ELi32ELb0E19rocblas_complex_numIfES1_PKPKS1_PKPS1_Ev13rocblas_fill_18rocblas_operation_17rocblas_diagonal_iiT3_T4_lilT5_lili ; -- Begin function _ZL38rocblas_trsm_small_left_device_sharedBILi32ELi32ELb0E19rocblas_complex_numIfES1_PKPKS1_PKPS1_Ev13rocblas_fill_18rocblas_operation_17rocblas_diagonal_iiT3_T4_lilT5_lili
	.p2align	8
	.type	_ZL38rocblas_trsm_small_left_device_sharedBILi32ELi32ELb0E19rocblas_complex_numIfES1_PKPKS1_PKPS1_Ev13rocblas_fill_18rocblas_operation_17rocblas_diagonal_iiT3_T4_lilT5_lili,@function
_ZL38rocblas_trsm_small_left_device_sharedBILi32ELi32ELb0E19rocblas_complex_numIfES1_PKPKS1_PKPS1_Ev13rocblas_fill_18rocblas_operation_17rocblas_diagonal_iiT3_T4_lilT5_lili: ; @_ZL38rocblas_trsm_small_left_device_sharedBILi32ELi32ELb0E19rocblas_complex_numIfES1_PKPKS1_PKPS1_Ev13rocblas_fill_18rocblas_operation_17rocblas_diagonal_iiT3_T4_lilT5_lili
; %bb.0:
	s_load_b32 s22, s[0:1], 0x60
	s_lshr_b32 s2, ttmp7, 16
	s_wait_kmcnt 0x0
	s_cmp_ge_u32 s2, s22
	s_cbranch_scc1 .LBB168_66
; %bb.1:
	s_clause 0x6
	s_load_b32 s20, s[0:1], 0x30
	s_load_b32 s30, s[0:1], 0x50
	s_load_b128 s[12:15], s[0:1], 0x4
	s_load_b32 s3, s[0:1], 0x68
	s_load_b128 s[4:7], s[0:1], 0x20
	s_load_b128 s[8:11], s[0:1], 0x40
	s_load_b64 s[16:17], s[0:1], 0x14
	v_dual_mov_b32 v1, 0 :: v_dual_lshlrev_b32 v10, 3, v0
	v_lshlrev_b32_e32 v6, 8, v0
	s_mov_b32 s19, 0
	s_delay_alu instid0(VALU_DEP_2) | instskip(NEXT) | instid1(VALU_DEP_2)
	v_or_b32_e32 v11, 0x2000, v10
	v_add_nc_u32_e32 v16, v10, v6
	s_wait_kmcnt 0x0
	s_ashr_i32 s21, s20, 31
	s_ashr_i32 s31, s30, 31
	s_cmp_lg_u32 s12, 0x71
	v_mad_co_i64_i32 v[2:3], null, s30, v0, 0
	s_cselect_b32 s1, -1, 0
	s_min_i32 s23, s14, 32
	s_lshl_b32 s28, ttmp9, 5
	s_add_co_i32 s3, s3, -1
	s_add_co_i32 s24, s23, -1
	s_sub_co_i32 s0, s15, s28
	s_cmp_ge_u32 ttmp9, s3
	v_lshlrev_b64_e32 v[2:3], 3, v[2:3]
	s_cselect_b32 s0, s0, 32
	s_ashr_i32 s29, s28, 31
	s_cmp_lg_u32 s13, 0x84
	v_cmp_gt_i32_e32 vcc_lo, s0, v0
	s_cselect_b32 s25, -1, 0
	s_cmp_gt_i32 s14, 0
	v_cmp_gt_i32_e64 s0, s23, v0
	s_cselect_b32 s3, -1, 0
	s_cmp_lg_u32 s12, 0x6f
	s_mul_u64 s[14:15], s[30:31], s[28:29]
	s_cselect_b32 s26, -1, 0
	s_lshl_b64 s[12:13], s[28:29], 3
	s_lshl_b64 s[28:29], s[6:7], 3
	v_or_b32_e32 v0, s12, v10
	s_lshl_b64 s[6:7], s[10:11], 3
	s_and_b32 s27, vcc_lo, s3
	s_lshl_b64 s[10:11], s[20:21], 3
	s_delay_alu instid0(VALU_DEP_1) | instskip(SKIP_2) | instid1(VALU_DEP_1)
	v_mul_lo_u32 v7, v0, s31
	v_mad_co_u64_u32 v[4:5], null, v0, s30, s[6:7]
	v_add_co_u32 v0, s3, s28, v10
	v_add_co_ci_u32_e64 v12, null, s29, 0, s3
	s_mul_i32 s3, s13, s30
	v_or_b32_e32 v13, 4, v0
	s_wait_alu 0xfffe
	v_add3_u32 v14, s3, v5, v7
	v_or_b32_e32 v15, 4, v4
	v_mov_b32_e32 v0, 1.0
	s_lshl_b32 s3, s23, 8
	s_or_b32 s28, 0, 4
	s_wait_alu 0xfffe
	s_add_co_i32 s20, s3, 0xffffff00
	s_lshl_b64 s[12:13], s[14:15], 3
	s_branch .LBB168_3
.LBB168_2:                              ;   in Loop: Header=BB168_3 Depth=1
	s_wait_alu 0xfffe
	s_or_b32 exec_lo, exec_lo, s3
	s_add_co_i32 s2, s2, 0x10000
	s_wait_alu 0xfffe
	s_cmp_lt_u32 s2, s22
	s_cbranch_scc0 .LBB168_66
.LBB168_3:                              ; =>This Loop Header: Depth=1
                                        ;     Child Loop BB168_6 Depth 2
                                        ;     Child Loop BB168_20 Depth 2
	;; [unrolled: 1-line block ×3, first 2 shown]
                                        ;       Child Loop BB168_27 Depth 3
                                        ;         Child Loop BB168_28 Depth 4
                                        ;         Child Loop BB168_31 Depth 4
                                        ;           Child Loop BB168_32 Depth 5
                                        ;         Child Loop BB168_36 Depth 4
                                        ;           Child Loop BB168_38 Depth 5
                                        ;     Child Loop BB168_46 Depth 2
                                        ;       Child Loop BB168_49 Depth 3
                                        ;         Child Loop BB168_50 Depth 4
                                        ;         Child Loop BB168_52 Depth 4
                                        ;           Child Loop BB168_53 Depth 5
                                        ;         Child Loop BB168_57 Depth 4
                                        ;           Child Loop BB168_59 Depth 5
                                        ;     Child Loop BB168_65 Depth 2
	s_mov_b32 s3, s19
	s_wait_alu 0xfffe
	s_lshl_b64 s[14:15], s[2:3], 3
	s_delay_alu instid0(SALU_CYCLE_1)
	s_add_nc_u64 s[30:31], s[8:9], s[14:15]
	global_load_b64 v[4:5], v1, s[30:31]
	s_and_saveexec_b32 s3, s0
	s_cbranch_execz .LBB168_18
; %bb.4:                                ;   in Loop: Header=BB168_3 Depth=1
	s_add_nc_u64 s[14:15], s[4:5], s[14:15]
	v_mov_b32_e32 v17, v10
	global_load_b64 v[6:7], v1, s[14:15]
	s_mov_b32 s14, s23
	s_wait_loadcnt 0x0
	v_add_co_u32 v6, vcc_lo, v6, v13
	s_wait_alu 0xfffd
	v_add_co_ci_u32_e64 v7, null, v7, v12, vcc_lo
	s_branch .LBB168_6
.LBB168_5:                              ;   in Loop: Header=BB168_6 Depth=2
	flat_load_b32 v8, v[6:7] offset:-4
	v_add_co_u32 v6, vcc_lo, v6, s10
	s_wait_alu 0xfffd
	v_add_co_ci_u32_e64 v7, null, s11, v7, vcc_lo
	s_add_co_i32 s14, s14, -1
	s_delay_alu instid0(SALU_CYCLE_1)
	s_cmp_eq_u32 s14, 0
	s_wait_loadcnt_dscnt 0x0
	ds_store_b64 v17, v[8:9]
	v_add_nc_u32_e32 v17, 0x100, v17
	s_cbranch_scc1 .LBB168_10
.LBB168_6:                              ;   Parent Loop BB168_3 Depth=1
                                        ; =>  This Inner Loop Header: Depth=2
	s_and_b32 vcc_lo, exec_lo, s1
	s_mov_b32 s15, -1
                                        ; implicit-def: $vgpr9
	s_wait_alu 0xfffe
	s_cbranch_vccz .LBB168_8
; %bb.7:                                ;   in Loop: Header=BB168_6 Depth=2
	flat_load_b32 v9, v[6:7]
	s_mov_b32 s15, 0
.LBB168_8:                              ;   in Loop: Header=BB168_6 Depth=2
	s_delay_alu instid0(SALU_CYCLE_1)
	s_and_not1_b32 vcc_lo, exec_lo, s15
	s_wait_alu 0xfffe
	s_cbranch_vccnz .LBB168_5
; %bb.9:                                ;   in Loop: Header=BB168_6 Depth=2
	flat_load_b32 v8, v[6:7]
	s_wait_loadcnt_dscnt 0x0
	v_xor_b32_e32 v9, 0x80000000, v8
	s_branch .LBB168_5
.LBB168_10:                             ;   in Loop: Header=BB168_3 Depth=1
	s_and_b32 vcc_lo, exec_lo, s25
	s_mov_b32 s14, -1
	s_wait_alu 0xfffe
	s_cbranch_vccz .LBB168_16
; %bb.11:                               ;   in Loop: Header=BB168_3 Depth=1
	ds_load_b64 v[6:7], v16
                                        ; implicit-def: $vgpr8
	s_wait_dscnt 0x0
	v_cmp_ngt_f32_e64 s14, |v6|, |v7|
	s_and_saveexec_b32 s15, s14
	s_delay_alu instid0(SALU_CYCLE_1)
	s_xor_b32 s14, exec_lo, s15
	s_cbranch_execz .LBB168_13
; %bb.12:                               ;   in Loop: Header=BB168_3 Depth=1
	v_div_scale_f32 v8, null, v7, v7, v6
	v_div_scale_f32 v18, vcc_lo, v6, v7, v6
	s_delay_alu instid0(VALU_DEP_2) | instskip(NEXT) | instid1(TRANS32_DEP_1)
	v_rcp_f32_e32 v9, v8
	v_fma_f32 v17, -v8, v9, 1.0
	s_delay_alu instid0(VALU_DEP_1) | instskip(NEXT) | instid1(VALU_DEP_1)
	v_fmac_f32_e32 v9, v17, v9
	v_mul_f32_e32 v17, v18, v9
	s_delay_alu instid0(VALU_DEP_1) | instskip(NEXT) | instid1(VALU_DEP_1)
	v_fma_f32 v19, -v8, v17, v18
	v_fmac_f32_e32 v17, v19, v9
	s_delay_alu instid0(VALU_DEP_1) | instskip(SKIP_1) | instid1(VALU_DEP_1)
	v_fma_f32 v8, -v8, v17, v18
	s_wait_alu 0xfffd
	v_div_fmas_f32 v8, v8, v9, v17
	s_delay_alu instid0(VALU_DEP_1) | instskip(NEXT) | instid1(VALU_DEP_1)
	v_div_fixup_f32 v8, v8, v7, v6
	v_fmac_f32_e32 v7, v6, v8
	s_delay_alu instid0(VALU_DEP_1) | instskip(SKIP_1) | instid1(VALU_DEP_2)
	v_div_scale_f32 v6, null, v7, v7, 1.0
	v_div_scale_f32 v18, vcc_lo, 1.0, v7, 1.0
	v_rcp_f32_e32 v9, v6
	s_delay_alu instid0(TRANS32_DEP_1) | instskip(NEXT) | instid1(VALU_DEP_1)
	v_fma_f32 v17, -v6, v9, 1.0
	v_fmac_f32_e32 v9, v17, v9
	s_delay_alu instid0(VALU_DEP_1) | instskip(NEXT) | instid1(VALU_DEP_1)
	v_mul_f32_e32 v17, v18, v9
	v_fma_f32 v19, -v6, v17, v18
	s_delay_alu instid0(VALU_DEP_1) | instskip(NEXT) | instid1(VALU_DEP_1)
	v_fmac_f32_e32 v17, v19, v9
	v_fma_f32 v6, -v6, v17, v18
	s_wait_alu 0xfffd
	s_delay_alu instid0(VALU_DEP_1) | instskip(SKIP_1) | instid1(VALU_DEP_2)
	v_div_fmas_f32 v6, v6, v9, v17
	v_add_f32_e32 v9, 0, v8
	v_div_fixup_f32 v6, v6, v7, 1.0
	v_fma_f32 v7, v8, 0, -1.0
	s_delay_alu instid0(VALU_DEP_2) | instskip(NEXT) | instid1(VALU_DEP_2)
	v_mul_f32_e32 v8, v9, v6
	v_mul_f32_e32 v9, v7, v6
                                        ; implicit-def: $vgpr6_vgpr7
.LBB168_13:                             ;   in Loop: Header=BB168_3 Depth=1
	s_and_not1_saveexec_b32 s14, s14
	s_cbranch_execz .LBB168_15
; %bb.14:                               ;   in Loop: Header=BB168_3 Depth=1
	v_div_scale_f32 v8, null, v6, v6, v7
	v_div_scale_f32 v18, vcc_lo, v7, v6, v7
	s_delay_alu instid0(VALU_DEP_2) | instskip(NEXT) | instid1(TRANS32_DEP_1)
	v_rcp_f32_e32 v9, v8
	v_fma_f32 v17, -v8, v9, 1.0
	s_delay_alu instid0(VALU_DEP_1) | instskip(NEXT) | instid1(VALU_DEP_1)
	v_fmac_f32_e32 v9, v17, v9
	v_mul_f32_e32 v17, v18, v9
	s_delay_alu instid0(VALU_DEP_1) | instskip(NEXT) | instid1(VALU_DEP_1)
	v_fma_f32 v19, -v8, v17, v18
	v_fmac_f32_e32 v17, v19, v9
	s_delay_alu instid0(VALU_DEP_1) | instskip(SKIP_1) | instid1(VALU_DEP_1)
	v_fma_f32 v8, -v8, v17, v18
	s_wait_alu 0xfffd
	v_div_fmas_f32 v8, v8, v9, v17
	s_delay_alu instid0(VALU_DEP_1) | instskip(NEXT) | instid1(VALU_DEP_1)
	v_div_fixup_f32 v9, v8, v6, v7
	v_fmac_f32_e32 v6, v7, v9
	s_delay_alu instid0(VALU_DEP_1) | instskip(SKIP_1) | instid1(VALU_DEP_2)
	v_div_scale_f32 v7, null, v6, v6, 1.0
	v_div_scale_f32 v18, vcc_lo, 1.0, v6, 1.0
	v_rcp_f32_e32 v8, v7
	s_delay_alu instid0(TRANS32_DEP_1) | instskip(NEXT) | instid1(VALU_DEP_1)
	v_fma_f32 v17, -v7, v8, 1.0
	v_fmac_f32_e32 v8, v17, v8
	s_delay_alu instid0(VALU_DEP_1) | instskip(NEXT) | instid1(VALU_DEP_1)
	v_mul_f32_e32 v17, v18, v8
	v_fma_f32 v19, -v7, v17, v18
	s_delay_alu instid0(VALU_DEP_1) | instskip(NEXT) | instid1(VALU_DEP_1)
	v_fmac_f32_e32 v17, v19, v8
	v_fma_f32 v7, -v7, v17, v18
	s_wait_alu 0xfffd
	s_delay_alu instid0(VALU_DEP_1) | instskip(SKIP_1) | instid1(VALU_DEP_2)
	v_div_fmas_f32 v7, v7, v8, v17
	v_fma_f32 v8, v9, 0, 1.0
	v_div_fixup_f32 v6, v7, v6, 1.0
	s_delay_alu instid0(VALU_DEP_1)
	v_mul_f32_e32 v8, v8, v6
	v_mul_f32_e64 v9, -v9, v6
.LBB168_15:                             ;   in Loop: Header=BB168_3 Depth=1
	s_or_b32 exec_lo, exec_lo, s14
	s_mov_b32 s14, 0
	ds_store_b64 v16, v[8:9]
.LBB168_16:                             ;   in Loop: Header=BB168_3 Depth=1
	s_and_b32 vcc_lo, exec_lo, s14
	s_wait_alu 0xfffe
	s_cbranch_vccz .LBB168_18
; %bb.17:                               ;   in Loop: Header=BB168_3 Depth=1
	ds_store_b64 v16, v[0:1]
.LBB168_18:                             ;   in Loop: Header=BB168_3 Depth=1
	s_wait_alu 0xfffe
	s_or_b32 exec_lo, exec_lo, s3
	s_and_saveexec_b32 s3, s27
	s_cbranch_execz .LBB168_21
; %bb.19:                               ;   in Loop: Header=BB168_3 Depth=1
	s_wait_loadcnt 0x0
	v_add_co_u32 v6, vcc_lo, v4, v15
	s_wait_alu 0xfffd
	v_add_co_ci_u32_e64 v7, null, v5, v14, vcc_lo
	v_mov_b32_e32 v8, v11
	s_mov_b32 s14, s23
.LBB168_20:                             ;   Parent Loop BB168_3 Depth=1
                                        ; =>  This Inner Loop Header: Depth=2
	flat_load_b64 v[17:18], v[6:7] offset:-4
	v_add_co_u32 v6, vcc_lo, v6, 8
	s_wait_alu 0xfffd
	v_add_co_ci_u32_e64 v7, null, 0, v7, vcc_lo
	s_add_co_i32 s14, s14, -1
	s_delay_alu instid0(SALU_CYCLE_1) | instskip(SKIP_3) | instid1(VALU_DEP_2)
	s_cmp_lg_u32 s14, 0
	s_wait_loadcnt_dscnt 0x0
	v_mul_f32_e32 v9, s17, v18
	v_mul_f32_e32 v19, s16, v18
	v_fma_f32 v18, s16, v17, -v9
	s_delay_alu instid0(VALU_DEP_2)
	v_fmac_f32_e32 v19, s17, v17
	ds_store_b64 v8, v[18:19]
	v_add_nc_u32_e32 v8, 0x100, v8
	s_cbranch_scc1 .LBB168_20
.LBB168_21:                             ;   in Loop: Header=BB168_3 Depth=1
	s_wait_alu 0xfffe
	s_or_b32 exec_lo, exec_lo, s3
	s_delay_alu instid0(SALU_CYCLE_1)
	s_and_not1_b32 vcc_lo, exec_lo, s26
	s_mov_b32 s3, -1
	; wave barrier
	s_wait_loadcnt_dscnt 0x0
	global_inv scope:SCOPE_SE
	s_wait_alu 0xfffe
	s_cbranch_vccnz .LBB168_43
; %bb.22:                               ;   in Loop: Header=BB168_3 Depth=1
	s_mov_b32 s18, 0
	s_delay_alu instid0(SALU_CYCLE_1)
	s_mov_b32 s3, s18
	s_branch .LBB168_24
.LBB168_23:                             ;   in Loop: Header=BB168_24 Depth=2
	s_cmp_lt_i32 s3, s23
	s_cselect_b32 s14, -1, 0
	s_add_co_i32 s15, s18, 1
	s_cmp_lt_u32 s18, 2
	s_cselect_b32 s18, -1, 0
	s_delay_alu instid0(SALU_CYCLE_1)
	s_and_b32 s14, s14, s18
	s_mov_b32 s18, s15
	s_and_b32 vcc_lo, exec_lo, s14
	s_wait_alu 0xfffe
	s_cbranch_vccz .LBB168_42
.LBB168_24:                             ;   Parent Loop BB168_3 Depth=1
                                        ; =>  This Loop Header: Depth=2
                                        ;       Child Loop BB168_27 Depth 3
                                        ;         Child Loop BB168_28 Depth 4
                                        ;         Child Loop BB168_31 Depth 4
                                        ;           Child Loop BB168_32 Depth 5
                                        ;         Child Loop BB168_36 Depth 4
                                        ;           Child Loop BB168_38 Depth 5
	s_getpc_b64 s[14:15]
	s_sext_i32_i16 s15, s15
	s_add_co_u32 s14, s14, __const._ZL38rocblas_trsm_small_left_device_sharedBILi32ELi32ELb0E19rocblas_complex_numIfES1_PKPKS1_PKPS1_Ev13rocblas_fill_18rocblas_operation_17rocblas_diagonal_iiT3_T4_lilT5_lili.step_sizes@rel32@lo+8
	s_add_co_ci_u32 s15, s15, __const._ZL38rocblas_trsm_small_left_device_sharedBILi32ELi32ELb0E19rocblas_complex_numIfES1_PKPKS1_PKPS1_Ev13rocblas_fill_18rocblas_operation_17rocblas_diagonal_iiT3_T4_lilT5_lili.step_sizes@rel32@hi+16
	s_lshl_b64 s[30:31], s[18:19], 2
	s_wait_alu 0xfffe
	s_add_nc_u64 s[14:15], s[14:15], s[30:31]
	s_load_b32 s14, s[14:15], 0x0
	s_wait_kmcnt 0x0
	s_add_co_i32 s15, s14, -1
	s_delay_alu instid0(SALU_CYCLE_1)
	s_add_co_i32 s21, s15, s3
	s_wait_alu 0xfffe
	s_cmp_ge_i32 s21, s23
	s_cbranch_scc1 .LBB168_23
; %bb.25:                               ;   in Loop: Header=BB168_24 Depth=2
	s_lshl_b32 s21, s3, 8
	s_max_i32 s29, s14, 1
	s_wait_alu 0xfffe
	v_add_nc_u32_e32 v8, s21, v11
	s_lshl_b32 s30, s14, 8
	s_mul_i32 s31, s3, 0x108
	s_mul_i32 s33, s14, 0x108
	s_branch .LBB168_27
.LBB168_26:                             ;   in Loop: Header=BB168_27 Depth=3
	s_add_co_i32 s3, s3, s14
	v_add_nc_u32_e32 v8, s30, v8
	s_wait_alu 0xfffe
	s_add_co_i32 s34, s15, s3
	s_add_co_i32 s21, s21, s30
	;; [unrolled: 1-line block ×3, first 2 shown]
	s_wait_alu 0xfffe
	s_cmp_ge_i32 s34, s23
	s_cbranch_scc1 .LBB168_23
.LBB168_27:                             ;   Parent Loop BB168_3 Depth=1
                                        ;     Parent Loop BB168_24 Depth=2
                                        ; =>    This Loop Header: Depth=3
                                        ;         Child Loop BB168_28 Depth 4
                                        ;         Child Loop BB168_31 Depth 4
                                        ;           Child Loop BB168_32 Depth 5
                                        ;         Child Loop BB168_36 Depth 4
                                        ;           Child Loop BB168_38 Depth 5
	v_mov_b32_e32 v6, v8
	s_mov_b32 s34, 0
	s_wait_alu 0xfffe
	s_mov_b32 s35, s29
.LBB168_28:                             ;   Parent Loop BB168_3 Depth=1
                                        ;     Parent Loop BB168_24 Depth=2
                                        ;       Parent Loop BB168_27 Depth=3
                                        ; =>      This Inner Loop Header: Depth=4
	ds_load_b64 v[17:18], v6
	v_add_nc_u32_e32 v6, 0x100, v6
	s_wait_alu 0xfffe
	s_add_co_i32 s35, s35, -1
	s_wait_dscnt 0x0
	scratch_store_b64 off, v[17:18], s34
	s_add_co_i32 s34, s34, 8
	s_wait_alu 0xfffe
	s_cmp_eq_u32 s35, 0
	s_cbranch_scc0 .LBB168_28
; %bb.29:                               ;   in Loop: Header=BB168_27 Depth=3
	s_cmp_lt_i32 s3, 1
	s_cbranch_scc1 .LBB168_34
; %bb.30:                               ;   in Loop: Header=BB168_27 Depth=3
	s_mov_b32 s34, 0
	s_mov_b32 s35, s21
.LBB168_31:                             ;   Parent Loop BB168_3 Depth=1
                                        ;     Parent Loop BB168_24 Depth=2
                                        ;       Parent Loop BB168_27 Depth=3
                                        ; =>      This Loop Header: Depth=4
                                        ;           Child Loop BB168_32 Depth 5
	s_wait_alu 0xfffe
	v_lshl_add_u32 v6, s34, 8, v11
	s_mov_b32 s36, s28
	s_mov_b32 s37, s35
	;; [unrolled: 1-line block ×3, first 2 shown]
	ds_load_b64 v[6:7], v6
.LBB168_32:                             ;   Parent Loop BB168_3 Depth=1
                                        ;     Parent Loop BB168_24 Depth=2
                                        ;       Parent Loop BB168_27 Depth=3
                                        ;         Parent Loop BB168_31 Depth=4
                                        ; =>        This Inner Loop Header: Depth=5
	scratch_load_b64 v[17:18], off, s36 offset:-4
	s_wait_alu 0xfffe
	v_mov_b32_e32 v9, s37
	s_add_co_i32 s38, s38, -1
	s_addk_co_i32 s37, 0x100
	ds_load_b64 v[19:20], v9
	s_wait_dscnt 0x0
	v_mul_f32_e32 v9, v20, v7
	v_mul_f32_e32 v20, v20, v6
	s_delay_alu instid0(VALU_DEP_1) | instskip(SKIP_1) | instid1(VALU_DEP_1)
	v_fmac_f32_e32 v20, v19, v7
	s_wait_loadcnt 0x0
	v_sub_f32_e32 v18, v18, v20
	v_fma_f32 v9, v19, v6, -v9
	s_delay_alu instid0(VALU_DEP_1)
	v_sub_f32_e32 v17, v17, v9
	scratch_store_b64 off, v[17:18], s36 offset:-4
	s_add_co_i32 s36, s36, 8
	s_wait_alu 0xfffe
	s_cmp_eq_u32 s38, 0
	s_cbranch_scc0 .LBB168_32
; %bb.33:                               ;   in Loop: Header=BB168_31 Depth=4
	s_add_co_i32 s34, s34, 1
	s_add_co_i32 s35, s35, 8
	s_wait_alu 0xfffe
	s_cmp_eq_u32 s34, s3
	s_cbranch_scc0 .LBB168_31
.LBB168_34:                             ;   in Loop: Header=BB168_27 Depth=3
	s_lshl_b32 s34, s3, 8
	s_mov_b32 s35, 0
	s_mov_b32 s36, s31
	s_branch .LBB168_36
.LBB168_35:                             ;   in Loop: Header=BB168_36 Depth=4
	s_wait_alu 0xfffe
	s_mulk_i32 s38, 0x108
	s_addk_co_i32 s36, 0x100
	s_wait_alu 0xfffe
	v_mov_b32_e32 v9, s38
	s_lshl_b32 s38, s35, 3
	s_add_co_i32 s35, s35, 1
	s_wait_alu 0xfffe
	s_cmp_eq_u32 s35, s29
	ds_load_b64 v[17:18], v9
	s_wait_loadcnt_dscnt 0x0
	v_mul_f32_e32 v9, v18, v7
	v_mul_f32_e32 v20, v17, v7
	v_add_nc_u32_e32 v7, s37, v11
	s_delay_alu instid0(VALU_DEP_3) | instskip(NEXT) | instid1(VALU_DEP_3)
	v_fma_f32 v19, v17, v6, -v9
	v_fmac_f32_e32 v20, v18, v6
	scratch_store_b64 off, v[19:20], s38
	ds_store_b64 v7, v[19:20]
	s_cbranch_scc1 .LBB168_26
.LBB168_36:                             ;   Parent Loop BB168_3 Depth=1
                                        ;     Parent Loop BB168_24 Depth=2
                                        ;       Parent Loop BB168_27 Depth=3
                                        ; =>      This Loop Header: Depth=4
                                        ;           Child Loop BB168_38 Depth 5
	s_wait_alu 0xfffe
	s_cmp_lg_u32 s35, 0
	s_cbranch_scc0 .LBB168_40
; %bb.37:                               ;   in Loop: Header=BB168_36 Depth=4
	s_lshl_b32 s39, s35, 3
	s_add_co_i32 s38, s35, s3
	scratch_load_b64 v[6:7], off, s39
	s_wait_alu 0xfffe
	s_lshl_b32 s37, s38, 8
	s_mov_b32 s40, 0
	s_mov_b32 s41, s36
	;; [unrolled: 1-line block ×3, first 2 shown]
.LBB168_38:                             ;   Parent Loop BB168_3 Depth=1
                                        ;     Parent Loop BB168_24 Depth=2
                                        ;       Parent Loop BB168_27 Depth=3
                                        ;         Parent Loop BB168_36 Depth=4
                                        ; =>        This Inner Loop Header: Depth=5
	scratch_load_b64 v[17:18], off, s40
	s_wait_alu 0xfffe
	v_mov_b32_e32 v9, s41
	s_add_co_i32 s42, s42, -1
	s_add_co_i32 s40, s40, 8
	s_add_co_i32 s41, s41, 8
	s_cmp_eq_u32 s42, 0
	ds_load_b64 v[19:20], v9
	s_wait_loadcnt_dscnt 0x0
	v_mul_f32_e32 v9, v20, v18
	v_mul_f32_e32 v18, v19, v18
	s_delay_alu instid0(VALU_DEP_2) | instskip(NEXT) | instid1(VALU_DEP_2)
	v_fma_f32 v9, v19, v17, -v9
	v_fmac_f32_e32 v18, v20, v17
	s_delay_alu instid0(VALU_DEP_1)
	v_dual_sub_f32 v6, v6, v9 :: v_dual_sub_f32 v7, v7, v18
	scratch_store_b64 off, v[6:7], s39
	s_cbranch_scc0 .LBB168_38
; %bb.39:                               ;   in Loop: Header=BB168_36 Depth=4
	s_branch .LBB168_35
.LBB168_40:                             ;   in Loop: Header=BB168_36 Depth=4
                                        ; implicit-def: $vgpr6
                                        ; implicit-def: $sgpr38
                                        ; implicit-def: $sgpr37
	s_cbranch_execz .LBB168_35
; %bb.41:                               ;   in Loop: Header=BB168_36 Depth=4
	scratch_load_b64 v[6:7], off, off
	s_mov_b32 s37, s34
	s_mov_b32 s38, s3
	s_branch .LBB168_35
.LBB168_42:                             ;   in Loop: Header=BB168_3 Depth=1
	s_mov_b32 s3, 0
.LBB168_43:                             ;   in Loop: Header=BB168_3 Depth=1
	s_wait_alu 0xfffe
	s_and_b32 vcc_lo, exec_lo, s3
	s_wait_alu 0xfffe
	s_cbranch_vccz .LBB168_63
; %bb.44:                               ;   in Loop: Header=BB168_3 Depth=1
	s_mov_b32 s18, 0
	s_mov_b32 s3, s24
	s_branch .LBB168_46
.LBB168_45:                             ;   in Loop: Header=BB168_46 Depth=2
	s_cmp_gt_i32 s3, -1
	s_cselect_b32 s14, -1, 0
	s_add_co_i32 s15, s18, 1
	s_cmp_lt_u32 s18, 2
	s_cselect_b32 s18, -1, 0
	s_delay_alu instid0(SALU_CYCLE_1)
	s_and_b32 s14, s14, s18
	s_mov_b32 s18, s15
	s_and_not1_b32 vcc_lo, exec_lo, s14
	s_wait_alu 0xfffe
	s_cbranch_vccnz .LBB168_63
.LBB168_46:                             ;   Parent Loop BB168_3 Depth=1
                                        ; =>  This Loop Header: Depth=2
                                        ;       Child Loop BB168_49 Depth 3
                                        ;         Child Loop BB168_50 Depth 4
                                        ;         Child Loop BB168_52 Depth 4
                                        ;           Child Loop BB168_53 Depth 5
                                        ;         Child Loop BB168_57 Depth 4
                                        ;           Child Loop BB168_59 Depth 5
	s_getpc_b64 s[14:15]
	s_sext_i32_i16 s15, s15
	s_add_co_u32 s14, s14, __const._ZL38rocblas_trsm_small_left_device_sharedBILi32ELi32ELb0E19rocblas_complex_numIfES1_PKPKS1_PKPS1_Ev13rocblas_fill_18rocblas_operation_17rocblas_diagonal_iiT3_T4_lilT5_lili.step_sizes@rel32@lo+8
	s_add_co_ci_u32 s15, s15, __const._ZL38rocblas_trsm_small_left_device_sharedBILi32ELi32ELb0E19rocblas_complex_numIfES1_PKPKS1_PKPS1_Ev13rocblas_fill_18rocblas_operation_17rocblas_diagonal_iiT3_T4_lilT5_lili.step_sizes@rel32@hi+16
	s_lshl_b64 s[30:31], s[18:19], 2
	s_wait_alu 0xfffe
	s_add_nc_u64 s[14:15], s[14:15], s[30:31]
	s_load_b32 s14, s[14:15], 0x0
	s_wait_kmcnt 0x0
	s_add_co_i32 s15, s14, -1
	s_delay_alu instid0(SALU_CYCLE_1)
	s_cmp_lt_i32 s3, s15
	s_cbranch_scc1 .LBB168_45
; %bb.47:                               ;   in Loop: Header=BB168_46 Depth=2
	v_lshl_add_u32 v8, s3, 8, v11
	s_lshl_b32 s29, s14, 8
	s_lshl_b32 s30, s3, 3
	;; [unrolled: 1-line block ×3, first 2 shown]
	s_max_i32 s21, s14, 1
	s_wait_alu 0xfffe
	s_sub_co_i32 s29, 0, s29
	s_add_co_i32 s30, s20, s30
	s_sub_co_i32 s31, 0, s31
	s_mul_i32 s33, s3, 0x108
	s_mul_i32 s34, s14, 0xfffffef8
	s_branch .LBB168_49
.LBB168_48:                             ;   in Loop: Header=BB168_49 Depth=3
	v_add_nc_u32_e32 v8, s29, v8
	s_sub_co_i32 s3, s3, s14
	s_add_co_i32 s30, s30, s31
	s_add_co_i32 s33, s33, s34
	s_wait_alu 0xfffe
	s_cmp_lt_i32 s3, s15
	s_cbranch_scc1 .LBB168_45
.LBB168_49:                             ;   Parent Loop BB168_3 Depth=1
                                        ;     Parent Loop BB168_46 Depth=2
                                        ; =>    This Loop Header: Depth=3
                                        ;         Child Loop BB168_50 Depth 4
                                        ;         Child Loop BB168_52 Depth 4
                                        ;           Child Loop BB168_53 Depth 5
                                        ;         Child Loop BB168_57 Depth 4
                                        ;           Child Loop BB168_59 Depth 5
	v_mov_b32_e32 v6, v8
	s_mov_b32 s35, 0
	s_mov_b32 s36, s21
.LBB168_50:                             ;   Parent Loop BB168_3 Depth=1
                                        ;     Parent Loop BB168_46 Depth=2
                                        ;       Parent Loop BB168_49 Depth=3
                                        ; =>      This Inner Loop Header: Depth=4
	ds_load_b64 v[17:18], v6
	v_add_nc_u32_e32 v6, 0xffffff00, v6
	s_wait_alu 0xfffe
	s_add_co_i32 s36, s36, -1
	s_wait_dscnt 0x0
	scratch_store_b64 off, v[17:18], s35
	s_add_co_i32 s35, s35, 8
	s_wait_alu 0xfffe
	s_cmp_eq_u32 s36, 0
	s_cbranch_scc0 .LBB168_50
; %bb.51:                               ;   in Loop: Header=BB168_49 Depth=3
	s_cmp_le_i32 s24, s3
	s_mov_b32 s35, s30
	s_mov_b32 s36, s24
	s_cbranch_scc1 .LBB168_55
.LBB168_52:                             ;   Parent Loop BB168_3 Depth=1
                                        ;     Parent Loop BB168_46 Depth=2
                                        ;       Parent Loop BB168_49 Depth=3
                                        ; =>      This Loop Header: Depth=4
                                        ;           Child Loop BB168_53 Depth 5
	s_wait_alu 0xfffe
	v_lshl_add_u32 v6, s36, 8, v11
	s_mov_b32 s37, s28
	s_mov_b32 s38, s35
	;; [unrolled: 1-line block ×3, first 2 shown]
	ds_load_b64 v[6:7], v6
.LBB168_53:                             ;   Parent Loop BB168_3 Depth=1
                                        ;     Parent Loop BB168_46 Depth=2
                                        ;       Parent Loop BB168_49 Depth=3
                                        ;         Parent Loop BB168_52 Depth=4
                                        ; =>        This Inner Loop Header: Depth=5
	scratch_load_b64 v[17:18], off, s37 offset:-4
	s_wait_alu 0xfffe
	v_mov_b32_e32 v9, s38
	s_add_co_i32 s39, s39, -1
	s_add_co_i32 s38, s38, -8
	ds_load_b64 v[19:20], v9
	s_wait_dscnt 0x0
	v_mul_f32_e32 v9, v20, v7
	v_mul_f32_e32 v20, v20, v6
	s_delay_alu instid0(VALU_DEP_1) | instskip(SKIP_1) | instid1(VALU_DEP_1)
	v_fmac_f32_e32 v20, v19, v7
	s_wait_loadcnt 0x0
	v_sub_f32_e32 v18, v18, v20
	v_fma_f32 v9, v19, v6, -v9
	s_delay_alu instid0(VALU_DEP_1)
	v_sub_f32_e32 v17, v17, v9
	scratch_store_b64 off, v[17:18], s37 offset:-4
	s_add_co_i32 s37, s37, 8
	s_wait_alu 0xfffe
	s_cmp_eq_u32 s39, 0
	s_cbranch_scc0 .LBB168_53
; %bb.54:                               ;   in Loop: Header=BB168_52 Depth=4
	s_add_co_i32 s36, s36, -1
	s_addk_co_i32 s35, 0xff00
	s_wait_alu 0xfffe
	s_cmp_le_i32 s36, s3
	s_cbranch_scc0 .LBB168_52
.LBB168_55:                             ;   in Loop: Header=BB168_49 Depth=3
	s_mov_b32 s35, 0
	s_mov_b32 s36, s33
	s_branch .LBB168_57
.LBB168_56:                             ;   in Loop: Header=BB168_57 Depth=4
	s_wait_alu 0xfffe
	s_mul_i32 s38, s37, 0x108
	s_add_co_i32 s36, s36, -8
	s_wait_alu 0xfffe
	v_mov_b32_e32 v9, s38
	s_lshl_b32 s38, s35, 3
	s_add_co_i32 s35, s35, 1
	s_wait_alu 0xfffe
	s_cmp_eq_u32 s35, s21
	ds_load_b64 v[17:18], v9
	s_wait_loadcnt_dscnt 0x0
	v_mul_f32_e32 v9, v18, v7
	v_mul_f32_e32 v20, v17, v7
	v_lshl_add_u32 v7, s37, 8, v11
	s_delay_alu instid0(VALU_DEP_3) | instskip(NEXT) | instid1(VALU_DEP_3)
	v_fma_f32 v19, v17, v6, -v9
	v_fmac_f32_e32 v20, v18, v6
	scratch_store_b64 off, v[19:20], s38
	ds_store_b64 v7, v[19:20]
	s_cbranch_scc1 .LBB168_48
.LBB168_57:                             ;   Parent Loop BB168_3 Depth=1
                                        ;     Parent Loop BB168_46 Depth=2
                                        ;       Parent Loop BB168_49 Depth=3
                                        ; =>      This Loop Header: Depth=4
                                        ;           Child Loop BB168_59 Depth 5
	s_wait_alu 0xfffe
	s_cmp_lg_u32 s35, 0
	s_cbranch_scc0 .LBB168_61
; %bb.58:                               ;   in Loop: Header=BB168_57 Depth=4
	s_lshl_b32 s38, s35, 3
	s_sub_co_i32 s37, s3, s35
	scratch_load_b64 v[6:7], off, s38
	s_mov_b32 s39, 0
	s_mov_b32 s40, s36
	;; [unrolled: 1-line block ×3, first 2 shown]
.LBB168_59:                             ;   Parent Loop BB168_3 Depth=1
                                        ;     Parent Loop BB168_46 Depth=2
                                        ;       Parent Loop BB168_49 Depth=3
                                        ;         Parent Loop BB168_57 Depth=4
                                        ; =>        This Inner Loop Header: Depth=5
	scratch_load_b64 v[17:18], off, s39
	s_wait_alu 0xfffe
	v_mov_b32_e32 v9, s40
	s_add_co_i32 s41, s41, -1
	s_addk_co_i32 s40, 0xff00
	s_add_co_i32 s39, s39, 8
	s_wait_alu 0xfffe
	s_cmp_eq_u32 s41, 0
	ds_load_b64 v[19:20], v9
	s_wait_loadcnt_dscnt 0x0
	v_mul_f32_e32 v9, v20, v18
	v_mul_f32_e32 v18, v19, v18
	s_delay_alu instid0(VALU_DEP_2) | instskip(NEXT) | instid1(VALU_DEP_2)
	v_fma_f32 v9, v19, v17, -v9
	v_fmac_f32_e32 v18, v20, v17
	s_delay_alu instid0(VALU_DEP_1)
	v_dual_sub_f32 v6, v6, v9 :: v_dual_sub_f32 v7, v7, v18
	scratch_store_b64 off, v[6:7], s38
	s_cbranch_scc0 .LBB168_59
; %bb.60:                               ;   in Loop: Header=BB168_57 Depth=4
	s_branch .LBB168_56
.LBB168_61:                             ;   in Loop: Header=BB168_57 Depth=4
                                        ; implicit-def: $vgpr6
                                        ; implicit-def: $sgpr37
	s_cbranch_execz .LBB168_56
; %bb.62:                               ;   in Loop: Header=BB168_57 Depth=4
	scratch_load_b64 v[6:7], off, off
	s_mov_b32 s37, s3
	s_branch .LBB168_56
.LBB168_63:                             ;   in Loop: Header=BB168_3 Depth=1
	s_wait_storecnt 0x0
	; wave barrier
	s_wait_loadcnt_dscnt 0x0
	global_inv scope:SCOPE_SE
	s_and_saveexec_b32 s3, s27
	s_cbranch_execz .LBB168_2
; %bb.64:                               ;   in Loop: Header=BB168_3 Depth=1
	v_add_co_u32 v4, vcc_lo, v4, s6
	s_wait_alu 0xfffd
	v_add_co_ci_u32_e64 v5, null, s7, v5, vcc_lo
	v_mov_b32_e32 v6, v11
	s_delay_alu instid0(VALU_DEP_3) | instskip(SKIP_1) | instid1(VALU_DEP_3)
	v_add_co_u32 v4, vcc_lo, v4, s12
	s_wait_alu 0xfffd
	v_add_co_ci_u32_e64 v5, null, s13, v5, vcc_lo
	s_mov_b32 s14, s23
	v_add_co_u32 v4, vcc_lo, v4, v2
	s_wait_alu 0xfffd
	v_add_co_ci_u32_e64 v5, null, v5, v3, vcc_lo
.LBB168_65:                             ;   Parent Loop BB168_3 Depth=1
                                        ; =>  This Inner Loop Header: Depth=2
	ds_load_b64 v[7:8], v6
	v_add_nc_u32_e32 v6, 0x100, v6
	s_add_co_i32 s14, s14, -1
	s_delay_alu instid0(SALU_CYCLE_1)
	s_cmp_lg_u32 s14, 0
	s_wait_dscnt 0x0
	flat_store_b64 v[4:5], v[7:8]
	v_add_co_u32 v4, vcc_lo, v4, 8
	s_wait_alu 0xfffd
	v_add_co_ci_u32_e64 v5, null, 0, v5, vcc_lo
	s_cbranch_scc1 .LBB168_65
	s_branch .LBB168_2
.LBB168_66:
	s_endpgm
	.section	.rodata,"a",@progbits
	.p2align	6, 0x0
	.amdhsa_kernel _ZL38rocblas_trsm_small_left_device_sharedBILi32ELi32ELb0E19rocblas_complex_numIfES1_PKPKS1_PKPS1_Ev13rocblas_fill_18rocblas_operation_17rocblas_diagonal_iiT3_T4_lilT5_lili
		.amdhsa_group_segment_fixed_size 16384
		.amdhsa_private_segment_fixed_size 272
		.amdhsa_kernarg_size 360
		.amdhsa_user_sgpr_count 2
		.amdhsa_user_sgpr_dispatch_ptr 0
		.amdhsa_user_sgpr_queue_ptr 0
		.amdhsa_user_sgpr_kernarg_segment_ptr 1
		.amdhsa_user_sgpr_dispatch_id 0
		.amdhsa_user_sgpr_private_segment_size 0
		.amdhsa_wavefront_size32 1
		.amdhsa_uses_dynamic_stack 0
		.amdhsa_enable_private_segment 1
		.amdhsa_system_sgpr_workgroup_id_x 1
		.amdhsa_system_sgpr_workgroup_id_y 0
		.amdhsa_system_sgpr_workgroup_id_z 1
		.amdhsa_system_sgpr_workgroup_info 0
		.amdhsa_system_vgpr_workitem_id 0
		.amdhsa_next_free_vgpr 241
		.amdhsa_next_free_sgpr 43
		.amdhsa_reserve_vcc 1
		.amdhsa_float_round_mode_32 0
		.amdhsa_float_round_mode_16_64 0
		.amdhsa_float_denorm_mode_32 3
		.amdhsa_float_denorm_mode_16_64 3
		.amdhsa_fp16_overflow 0
		.amdhsa_workgroup_processor_mode 1
		.amdhsa_memory_ordered 1
		.amdhsa_forward_progress 1
		.amdhsa_inst_pref_size 24
		.amdhsa_round_robin_scheduling 0
		.amdhsa_exception_fp_ieee_invalid_op 0
		.amdhsa_exception_fp_denorm_src 0
		.amdhsa_exception_fp_ieee_div_zero 0
		.amdhsa_exception_fp_ieee_overflow 0
		.amdhsa_exception_fp_ieee_underflow 0
		.amdhsa_exception_fp_ieee_inexact 0
		.amdhsa_exception_int_div_zero 0
	.end_amdhsa_kernel
	.section	.text._ZL38rocblas_trsm_small_left_device_sharedBILi32ELi32ELb0E19rocblas_complex_numIfES1_PKPKS1_PKPS1_Ev13rocblas_fill_18rocblas_operation_17rocblas_diagonal_iiT3_T4_lilT5_lili,"axG",@progbits,_ZL38rocblas_trsm_small_left_device_sharedBILi32ELi32ELb0E19rocblas_complex_numIfES1_PKPKS1_PKPS1_Ev13rocblas_fill_18rocblas_operation_17rocblas_diagonal_iiT3_T4_lilT5_lili,comdat
.Lfunc_end168:
	.size	_ZL38rocblas_trsm_small_left_device_sharedBILi32ELi32ELb0E19rocblas_complex_numIfES1_PKPKS1_PKPS1_Ev13rocblas_fill_18rocblas_operation_17rocblas_diagonal_iiT3_T4_lilT5_lili, .Lfunc_end168-_ZL38rocblas_trsm_small_left_device_sharedBILi32ELi32ELb0E19rocblas_complex_numIfES1_PKPKS1_PKPS1_Ev13rocblas_fill_18rocblas_operation_17rocblas_diagonal_iiT3_T4_lilT5_lili
                                        ; -- End function
	.set _ZL38rocblas_trsm_small_left_device_sharedBILi32ELi32ELb0E19rocblas_complex_numIfES1_PKPKS1_PKPS1_Ev13rocblas_fill_18rocblas_operation_17rocblas_diagonal_iiT3_T4_lilT5_lili.num_vgpr, 21
	.set _ZL38rocblas_trsm_small_left_device_sharedBILi32ELi32ELb0E19rocblas_complex_numIfES1_PKPKS1_PKPS1_Ev13rocblas_fill_18rocblas_operation_17rocblas_diagonal_iiT3_T4_lilT5_lili.num_agpr, 0
	.set _ZL38rocblas_trsm_small_left_device_sharedBILi32ELi32ELb0E19rocblas_complex_numIfES1_PKPKS1_PKPS1_Ev13rocblas_fill_18rocblas_operation_17rocblas_diagonal_iiT3_T4_lilT5_lili.numbered_sgpr, 43
	.set _ZL38rocblas_trsm_small_left_device_sharedBILi32ELi32ELb0E19rocblas_complex_numIfES1_PKPKS1_PKPS1_Ev13rocblas_fill_18rocblas_operation_17rocblas_diagonal_iiT3_T4_lilT5_lili.num_named_barrier, 0
	.set _ZL38rocblas_trsm_small_left_device_sharedBILi32ELi32ELb0E19rocblas_complex_numIfES1_PKPKS1_PKPS1_Ev13rocblas_fill_18rocblas_operation_17rocblas_diagonal_iiT3_T4_lilT5_lili.private_seg_size, 272
	.set _ZL38rocblas_trsm_small_left_device_sharedBILi32ELi32ELb0E19rocblas_complex_numIfES1_PKPKS1_PKPS1_Ev13rocblas_fill_18rocblas_operation_17rocblas_diagonal_iiT3_T4_lilT5_lili.uses_vcc, 1
	.set _ZL38rocblas_trsm_small_left_device_sharedBILi32ELi32ELb0E19rocblas_complex_numIfES1_PKPKS1_PKPS1_Ev13rocblas_fill_18rocblas_operation_17rocblas_diagonal_iiT3_T4_lilT5_lili.uses_flat_scratch, 0
	.set _ZL38rocblas_trsm_small_left_device_sharedBILi32ELi32ELb0E19rocblas_complex_numIfES1_PKPKS1_PKPS1_Ev13rocblas_fill_18rocblas_operation_17rocblas_diagonal_iiT3_T4_lilT5_lili.has_dyn_sized_stack, 0
	.set _ZL38rocblas_trsm_small_left_device_sharedBILi32ELi32ELb0E19rocblas_complex_numIfES1_PKPKS1_PKPS1_Ev13rocblas_fill_18rocblas_operation_17rocblas_diagonal_iiT3_T4_lilT5_lili.has_recursion, 0
	.set _ZL38rocblas_trsm_small_left_device_sharedBILi32ELi32ELb0E19rocblas_complex_numIfES1_PKPKS1_PKPS1_Ev13rocblas_fill_18rocblas_operation_17rocblas_diagonal_iiT3_T4_lilT5_lili.has_indirect_call, 0
	.section	.AMDGPU.csdata,"",@progbits
; Kernel info:
; codeLenInByte = 3032
; TotalNumSgprs: 45
; NumVgprs: 21
; ScratchSize: 272
; MemoryBound: 0
; FloatMode: 240
; IeeeMode: 1
; LDSByteSize: 16384 bytes/workgroup (compile time only)
; SGPRBlocks: 0
; VGPRBlocks: 30
; NumSGPRsForWavesPerEU: 45
; NumVGPRsForWavesPerEU: 241
; Occupancy: 2
; WaveLimiterHint : 0
; COMPUTE_PGM_RSRC2:SCRATCH_EN: 1
; COMPUTE_PGM_RSRC2:USER_SGPR: 2
; COMPUTE_PGM_RSRC2:TRAP_HANDLER: 0
; COMPUTE_PGM_RSRC2:TGID_X_EN: 1
; COMPUTE_PGM_RSRC2:TGID_Y_EN: 0
; COMPUTE_PGM_RSRC2:TGID_Z_EN: 1
; COMPUTE_PGM_RSRC2:TIDIG_COMP_CNT: 0
	.section	.text._ZL30rocblas_trsm_small_left_deviceILi32ELi32ELb0E19rocblas_complex_numIfES1_PKPKS1_PKPS1_Ev13rocblas_fill_18rocblas_operation_17rocblas_diagonal_iiT3_T4_lilT5_lili,"axG",@progbits,_ZL30rocblas_trsm_small_left_deviceILi32ELi32ELb0E19rocblas_complex_numIfES1_PKPKS1_PKPS1_Ev13rocblas_fill_18rocblas_operation_17rocblas_diagonal_iiT3_T4_lilT5_lili,comdat
	.globl	_ZL30rocblas_trsm_small_left_deviceILi32ELi32ELb0E19rocblas_complex_numIfES1_PKPKS1_PKPS1_Ev13rocblas_fill_18rocblas_operation_17rocblas_diagonal_iiT3_T4_lilT5_lili ; -- Begin function _ZL30rocblas_trsm_small_left_deviceILi32ELi32ELb0E19rocblas_complex_numIfES1_PKPKS1_PKPS1_Ev13rocblas_fill_18rocblas_operation_17rocblas_diagonal_iiT3_T4_lilT5_lili
	.p2align	8
	.type	_ZL30rocblas_trsm_small_left_deviceILi32ELi32ELb0E19rocblas_complex_numIfES1_PKPKS1_PKPS1_Ev13rocblas_fill_18rocblas_operation_17rocblas_diagonal_iiT3_T4_lilT5_lili,@function
_ZL30rocblas_trsm_small_left_deviceILi32ELi32ELb0E19rocblas_complex_numIfES1_PKPKS1_PKPS1_Ev13rocblas_fill_18rocblas_operation_17rocblas_diagonal_iiT3_T4_lilT5_lili: ; @_ZL30rocblas_trsm_small_left_deviceILi32ELi32ELb0E19rocblas_complex_numIfES1_PKPKS1_PKPS1_Ev13rocblas_fill_18rocblas_operation_17rocblas_diagonal_iiT3_T4_lilT5_lili
; %bb.0:
	s_load_b32 s26, s[0:1], 0x60
	s_lshr_b32 s2, ttmp7, 16
	s_wait_kmcnt 0x0
	s_cmp_ge_u32 s2, s26
	s_cbranch_scc1 .LBB169_63
; %bb.1:
	s_clause 0x5
	s_load_b32 s18, s[0:1], 0x30
	s_load_b128 s[12:15], s[0:1], 0x4
	s_load_b32 s3, s[0:1], 0x68
	s_load_b128 s[4:7], s[0:1], 0x20
	s_load_b128 s[8:11], s[0:1], 0x40
	s_load_b32 s20, s[0:1], 0x50
	v_dual_mov_b32 v1, 0 :: v_dual_lshlrev_b32 v10, 3, v0
	v_lshlrev_b32_e32 v2, 8, v0
	s_load_b64 s[16:17], s[0:1], 0x14
	s_mov_b32 s35, 0
                                        ; implicit-def: $sgpr36
                                        ; implicit-def: $sgpr37
	s_delay_alu instid0(VALU_DEP_1)
	v_add_nc_u32_e32 v11, v10, v2
	s_wait_kmcnt 0x0
	s_ashr_i32 s19, s18, 31
	s_cmp_lg_u32 s12, 0x71
	s_cselect_b32 s27, -1, 0
	s_lshl_b32 s0, ttmp9, 5
	s_min_i32 s28, s14, 32
	v_or_b32_e32 v2, s0, v0
	s_add_co_i32 s3, s3, -1
	s_add_co_i32 s29, s28, -1
	s_sub_co_i32 s1, s15, s0
	s_cmp_ge_u32 ttmp9, s3
	v_mad_co_i64_i32 v[2:3], null, s20, v2, 0
	s_wait_alu 0xfffe
	s_cselect_b32 s1, s1, 32
	s_cmp_lg_u32 s13, 0x84
	v_cmp_gt_i32_e64 s0, s28, v0
	s_cselect_b32 s30, -1, 0
	s_cmp_lg_u32 s12, 0x6f
	s_wait_alu 0xfffe
	v_cmp_gt_i32_e64 s1, s1, v0
	v_lshlrev_b64_e32 v[2:3], 3, v[2:3]
	s_cselect_b32 s31, -1, 0
	s_lshl_b64 s[12:13], s[6:7], 3
	s_lshl_b64 s[10:11], s[10:11], 3
	v_add_co_u32 v0, s3, s12, v10
	s_delay_alu instid0(VALU_DEP_2) | instskip(SKIP_1) | instid1(VALU_DEP_3)
	v_add_co_u32 v4, vcc_lo, v2, s10
	v_add_co_ci_u32_e64 v12, null, s13, 0, s3
	v_or_b32_e32 v13, 4, v0
	v_add_co_ci_u32_e64 v14, null, s11, v3, vcc_lo
	s_delay_alu instid0(VALU_DEP_4)
	v_or_b32_e32 v15, 4, v4
	v_mov_b32_e32 v0, 1.0
	s_lshl_b32 s34, s28, 8
	s_or_b32 s33, 0, 4
	s_lshl_b64 s[6:7], s[18:19], 3
	s_addk_co_i32 s34, 0xff00
	s_mov_b32 s13, 0
	s_branch .LBB169_4
.LBB169_2:                              ;   in Loop: Header=BB169_4 Depth=1
	s_add_co_i32 s2, s2, 0x10000
	s_wait_alu 0xfffe
	s_cmp_ge_u32 s2, s26
	s_cselect_b32 s12, -1, 0
	s_and_not1_b32 s37, s37, exec_lo
	s_wait_alu 0xfffe
	s_or_not1_b32 s12, s12, exec_lo
.LBB169_3:                              ;   in Loop: Header=BB169_4 Depth=1
	s_wait_alu 0xfffe
	s_or_b32 exec_lo, exec_lo, s3
	s_delay_alu instid0(SALU_CYCLE_1)
	s_and_b32 s3, exec_lo, s12
	s_wait_alu 0xfffe
	s_or_b32 s35, s3, s35
	s_and_not1_b32 s3, s36, exec_lo
	s_and_b32 s12, s37, exec_lo
	s_wait_alu 0xfffe
	s_or_b32 s36, s3, s12
	s_and_not1_b32 exec_lo, exec_lo, s35
	s_cbranch_execz .LBB169_62
.LBB169_4:                              ; =>This Loop Header: Depth=1
                                        ;     Child Loop BB169_7 Depth 2
                                        ;     Child Loop BB169_23 Depth 2
                                        ;       Child Loop BB169_26 Depth 3
                                        ;         Child Loop BB169_27 Depth 4
                                        ;         Child Loop BB169_30 Depth 4
                                        ;           Child Loop BB169_31 Depth 5
                                        ;         Child Loop BB169_35 Depth 4
                                        ;           Child Loop BB169_37 Depth 5
                                        ;     Child Loop BB169_45 Depth 2
                                        ;       Child Loop BB169_48 Depth 3
                                        ;         Child Loop BB169_49 Depth 4
                                        ;         Child Loop BB169_51 Depth 4
                                        ;           Child Loop BB169_52 Depth 5
                                        ;         Child Loop BB169_56 Depth 4
                                        ;           Child Loop BB169_58 Depth 5
	s_wait_alu 0xfffe
	s_mov_b32 s3, s13
	s_wait_alu 0xfffe
	s_lshl_b64 s[14:15], s[2:3], 3
	s_delay_alu instid0(SALU_CYCLE_1)
	s_add_nc_u64 s[18:19], s[8:9], s[14:15]
	global_load_b64 v[4:5], v1, s[18:19]
	s_and_saveexec_b32 s3, s0
	s_cbranch_execz .LBB169_19
; %bb.5:                                ;   in Loop: Header=BB169_4 Depth=1
	s_add_nc_u64 s[14:15], s[4:5], s[14:15]
	v_mov_b32_e32 v16, v10
	global_load_b64 v[6:7], v1, s[14:15]
	s_mov_b32 s12, s28
	s_wait_loadcnt 0x0
	v_add_co_u32 v6, vcc_lo, v6, v13
	s_wait_alu 0xfffd
	v_add_co_ci_u32_e64 v7, null, v7, v12, vcc_lo
	s_branch .LBB169_7
.LBB169_6:                              ;   in Loop: Header=BB169_7 Depth=2
	flat_load_b32 v8, v[6:7] offset:-4
	v_add_co_u32 v6, vcc_lo, v6, s6
	s_wait_alu 0xfffd
	v_add_co_ci_u32_e64 v7, null, s7, v7, vcc_lo
	s_add_co_i32 s12, s12, -1
	s_wait_alu 0xfffe
	s_cmp_eq_u32 s12, 0
	s_wait_loadcnt_dscnt 0x0
	ds_store_b64 v16, v[8:9]
	v_add_nc_u32_e32 v16, 0x100, v16
	s_cbranch_scc1 .LBB169_11
.LBB169_7:                              ;   Parent Loop BB169_4 Depth=1
                                        ; =>  This Inner Loop Header: Depth=2
	s_and_b32 vcc_lo, exec_lo, s27
	s_mov_b32 s14, -1
                                        ; implicit-def: $vgpr9
	s_wait_alu 0xfffe
	s_cbranch_vccz .LBB169_9
; %bb.8:                                ;   in Loop: Header=BB169_7 Depth=2
	flat_load_b32 v9, v[6:7]
	s_mov_b32 s14, 0
.LBB169_9:                              ;   in Loop: Header=BB169_7 Depth=2
	s_delay_alu instid0(SALU_CYCLE_1)
	s_and_not1_b32 vcc_lo, exec_lo, s14
	s_wait_alu 0xfffe
	s_cbranch_vccnz .LBB169_6
; %bb.10:                               ;   in Loop: Header=BB169_7 Depth=2
	flat_load_b32 v8, v[6:7]
	s_wait_loadcnt_dscnt 0x0
	v_xor_b32_e32 v9, 0x80000000, v8
	s_branch .LBB169_6
.LBB169_11:                             ;   in Loop: Header=BB169_4 Depth=1
	s_and_b32 vcc_lo, exec_lo, s30
	s_mov_b32 s12, -1
	s_wait_alu 0xfffe
	s_cbranch_vccz .LBB169_17
; %bb.12:                               ;   in Loop: Header=BB169_4 Depth=1
	ds_load_b64 v[6:7], v11
                                        ; implicit-def: $vgpr8
	s_wait_dscnt 0x0
	v_cmp_ngt_f32_e64 s12, |v6|, |v7|
	s_and_saveexec_b32 s14, s12
	s_delay_alu instid0(SALU_CYCLE_1)
	s_xor_b32 s12, exec_lo, s14
	s_cbranch_execz .LBB169_14
; %bb.13:                               ;   in Loop: Header=BB169_4 Depth=1
	v_div_scale_f32 v8, null, v7, v7, v6
	v_div_scale_f32 v17, vcc_lo, v6, v7, v6
	s_delay_alu instid0(VALU_DEP_2) | instskip(NEXT) | instid1(TRANS32_DEP_1)
	v_rcp_f32_e32 v9, v8
	v_fma_f32 v16, -v8, v9, 1.0
	s_delay_alu instid0(VALU_DEP_1) | instskip(NEXT) | instid1(VALU_DEP_1)
	v_fmac_f32_e32 v9, v16, v9
	v_mul_f32_e32 v16, v17, v9
	s_delay_alu instid0(VALU_DEP_1) | instskip(NEXT) | instid1(VALU_DEP_1)
	v_fma_f32 v18, -v8, v16, v17
	v_fmac_f32_e32 v16, v18, v9
	s_delay_alu instid0(VALU_DEP_1) | instskip(SKIP_1) | instid1(VALU_DEP_1)
	v_fma_f32 v8, -v8, v16, v17
	s_wait_alu 0xfffd
	v_div_fmas_f32 v8, v8, v9, v16
	s_delay_alu instid0(VALU_DEP_1) | instskip(NEXT) | instid1(VALU_DEP_1)
	v_div_fixup_f32 v8, v8, v7, v6
	v_fmac_f32_e32 v7, v6, v8
	s_delay_alu instid0(VALU_DEP_1) | instskip(SKIP_1) | instid1(VALU_DEP_2)
	v_div_scale_f32 v6, null, v7, v7, 1.0
	v_div_scale_f32 v17, vcc_lo, 1.0, v7, 1.0
	v_rcp_f32_e32 v9, v6
	s_delay_alu instid0(TRANS32_DEP_1) | instskip(NEXT) | instid1(VALU_DEP_1)
	v_fma_f32 v16, -v6, v9, 1.0
	v_fmac_f32_e32 v9, v16, v9
	s_delay_alu instid0(VALU_DEP_1) | instskip(NEXT) | instid1(VALU_DEP_1)
	v_mul_f32_e32 v16, v17, v9
	v_fma_f32 v18, -v6, v16, v17
	s_delay_alu instid0(VALU_DEP_1) | instskip(NEXT) | instid1(VALU_DEP_1)
	v_fmac_f32_e32 v16, v18, v9
	v_fma_f32 v6, -v6, v16, v17
	s_wait_alu 0xfffd
	s_delay_alu instid0(VALU_DEP_1) | instskip(SKIP_1) | instid1(VALU_DEP_2)
	v_div_fmas_f32 v6, v6, v9, v16
	v_add_f32_e32 v9, 0, v8
	v_div_fixup_f32 v6, v6, v7, 1.0
	v_fma_f32 v7, v8, 0, -1.0
	s_delay_alu instid0(VALU_DEP_2) | instskip(NEXT) | instid1(VALU_DEP_2)
	v_mul_f32_e32 v8, v9, v6
	v_mul_f32_e32 v9, v7, v6
                                        ; implicit-def: $vgpr6_vgpr7
.LBB169_14:                             ;   in Loop: Header=BB169_4 Depth=1
	s_wait_alu 0xfffe
	s_and_not1_saveexec_b32 s12, s12
	s_cbranch_execz .LBB169_16
; %bb.15:                               ;   in Loop: Header=BB169_4 Depth=1
	v_div_scale_f32 v8, null, v6, v6, v7
	v_div_scale_f32 v17, vcc_lo, v7, v6, v7
	s_delay_alu instid0(VALU_DEP_2) | instskip(NEXT) | instid1(TRANS32_DEP_1)
	v_rcp_f32_e32 v9, v8
	v_fma_f32 v16, -v8, v9, 1.0
	s_delay_alu instid0(VALU_DEP_1) | instskip(NEXT) | instid1(VALU_DEP_1)
	v_fmac_f32_e32 v9, v16, v9
	v_mul_f32_e32 v16, v17, v9
	s_delay_alu instid0(VALU_DEP_1) | instskip(NEXT) | instid1(VALU_DEP_1)
	v_fma_f32 v18, -v8, v16, v17
	v_fmac_f32_e32 v16, v18, v9
	s_delay_alu instid0(VALU_DEP_1) | instskip(SKIP_1) | instid1(VALU_DEP_1)
	v_fma_f32 v8, -v8, v16, v17
	s_wait_alu 0xfffd
	v_div_fmas_f32 v8, v8, v9, v16
	s_delay_alu instid0(VALU_DEP_1) | instskip(NEXT) | instid1(VALU_DEP_1)
	v_div_fixup_f32 v9, v8, v6, v7
	v_fmac_f32_e32 v6, v7, v9
	s_delay_alu instid0(VALU_DEP_1) | instskip(SKIP_1) | instid1(VALU_DEP_2)
	v_div_scale_f32 v7, null, v6, v6, 1.0
	v_div_scale_f32 v17, vcc_lo, 1.0, v6, 1.0
	v_rcp_f32_e32 v8, v7
	s_delay_alu instid0(TRANS32_DEP_1) | instskip(NEXT) | instid1(VALU_DEP_1)
	v_fma_f32 v16, -v7, v8, 1.0
	v_fmac_f32_e32 v8, v16, v8
	s_delay_alu instid0(VALU_DEP_1) | instskip(NEXT) | instid1(VALU_DEP_1)
	v_mul_f32_e32 v16, v17, v8
	v_fma_f32 v18, -v7, v16, v17
	s_delay_alu instid0(VALU_DEP_1) | instskip(NEXT) | instid1(VALU_DEP_1)
	v_fmac_f32_e32 v16, v18, v8
	v_fma_f32 v7, -v7, v16, v17
	s_wait_alu 0xfffd
	s_delay_alu instid0(VALU_DEP_1) | instskip(SKIP_1) | instid1(VALU_DEP_2)
	v_div_fmas_f32 v7, v7, v8, v16
	v_fma_f32 v8, v9, 0, 1.0
	v_div_fixup_f32 v6, v7, v6, 1.0
	s_delay_alu instid0(VALU_DEP_1)
	v_mul_f32_e32 v8, v8, v6
	v_mul_f32_e64 v9, -v9, v6
.LBB169_16:                             ;   in Loop: Header=BB169_4 Depth=1
	s_wait_alu 0xfffe
	s_or_b32 exec_lo, exec_lo, s12
	s_mov_b32 s12, 0
	ds_store_b64 v11, v[8:9]
.LBB169_17:                             ;   in Loop: Header=BB169_4 Depth=1
	s_wait_alu 0xfffe
	s_and_b32 vcc_lo, exec_lo, s12
	s_wait_alu 0xfffe
	s_cbranch_vccz .LBB169_19
; %bb.18:                               ;   in Loop: Header=BB169_4 Depth=1
	ds_store_b64 v11, v[0:1]
.LBB169_19:                             ;   in Loop: Header=BB169_4 Depth=1
	s_wait_alu 0xfffe
	s_or_b32 exec_lo, exec_lo, s3
	s_mov_b32 s12, -1
	s_or_b32 s37, s37, exec_lo
	; wave barrier
	s_wait_loadcnt_dscnt 0x0
	global_inv scope:SCOPE_SE
	s_and_saveexec_b32 s3, s1
	s_cbranch_execz .LBB169_3
; %bb.20:                               ;   in Loop: Header=BB169_4 Depth=1
	v_add_co_u32 v6, vcc_lo, v4, s10
	s_wait_alu 0xfffd
	v_add_co_ci_u32_e64 v7, null, s11, v5, vcc_lo
	s_delay_alu instid0(VALU_DEP_2) | instskip(SKIP_1) | instid1(VALU_DEP_2)
	v_add_co_u32 v16, vcc_lo, v6, v2
	s_wait_alu 0xfffd
	v_add_co_ci_u32_e64 v17, null, v7, v3, vcc_lo
	s_and_not1_b32 vcc_lo, exec_lo, s31
	s_wait_alu 0xfffe
	s_cbranch_vccnz .LBB169_42
; %bb.21:                               ;   in Loop: Header=BB169_4 Depth=1
	v_add_co_u32 v18, vcc_lo, v4, v15
	s_wait_alu 0xfffd
	v_add_co_ci_u32_e64 v19, null, v5, v14, vcc_lo
	s_mov_b32 s18, 0
	s_mov_b32 s14, 0
	s_branch .LBB169_23
.LBB169_22:                             ;   in Loop: Header=BB169_23 Depth=2
	s_cmp_lt_i32 s14, s28
	s_cselect_b32 s12, -1, 0
	s_add_co_i32 s15, s18, 1
	s_cmp_lt_u32 s18, 2
	s_cselect_b32 s18, -1, 0
	s_wait_alu 0xfffe
	s_and_b32 s12, s12, s18
	s_mov_b32 s18, s15
	s_wait_alu 0xfffe
	s_and_b32 vcc_lo, exec_lo, s12
	s_wait_alu 0xfffe
	s_cbranch_vccz .LBB169_41
.LBB169_23:                             ;   Parent Loop BB169_4 Depth=1
                                        ; =>  This Loop Header: Depth=2
                                        ;       Child Loop BB169_26 Depth 3
                                        ;         Child Loop BB169_27 Depth 4
                                        ;         Child Loop BB169_30 Depth 4
                                        ;           Child Loop BB169_31 Depth 5
                                        ;         Child Loop BB169_35 Depth 4
                                        ;           Child Loop BB169_37 Depth 5
	s_mov_b32 s19, s13
	s_getpc_b64 s[20:21]
	s_wait_alu 0xfffe
	s_sext_i32_i16 s21, s21
	s_add_co_u32 s20, s20, __const._ZL30rocblas_trsm_small_left_deviceILi32ELi32ELb0E19rocblas_complex_numIfES1_PKPKS1_PKPS1_Ev13rocblas_fill_18rocblas_operation_17rocblas_diagonal_iiT3_T4_lilT5_lili.step_sizes@rel32@lo+12
	s_wait_alu 0xfffe
	s_add_co_ci_u32 s21, s21, __const._ZL30rocblas_trsm_small_left_deviceILi32ELi32ELb0E19rocblas_complex_numIfES1_PKPKS1_PKPS1_Ev13rocblas_fill_18rocblas_operation_17rocblas_diagonal_iiT3_T4_lilT5_lili.step_sizes@rel32@hi+24
	s_lshl_b64 s[22:23], s[18:19], 2
	s_wait_alu 0xfffe
	s_add_nc_u64 s[20:21], s[20:21], s[22:23]
	s_load_b32 s20, s[20:21], 0x0
	s_wait_kmcnt 0x0
	s_add_co_i32 s19, s20, -1
	s_wait_alu 0xfffe
	s_add_co_i32 s12, s19, s14
	s_wait_alu 0xfffe
	s_cmp_ge_i32 s12, s28
	s_cbranch_scc1 .LBB169_22
; %bb.24:                               ;   in Loop: Header=BB169_23 Depth=2
	s_ashr_i32 s15, s14, 31
	s_ashr_i32 s21, s20, 31
	s_lshl_b64 s[22:23], s[14:15], 3
	s_max_i32 s38, s20, 1
	s_wait_alu 0xfffe
	v_add_co_u32 v6, vcc_lo, v18, s22
	s_wait_alu 0xfffd
	v_add_co_ci_u32_e64 v7, null, s23, v19, vcc_lo
	s_lshl_b64 s[22:23], s[20:21], 3
	s_lshl_b32 s15, s14, 8
	s_lshl_b32 s21, s20, 8
	s_mul_i32 s39, s14, 0x108
	s_mul_i32 s40, s20, 0x108
	s_branch .LBB169_26
.LBB169_25:                             ;   in Loop: Header=BB169_26 Depth=3
	v_add_co_u32 v6, vcc_lo, v6, s22
	s_add_co_i32 s14, s14, s20
	s_wait_alu 0xfffd
	v_add_co_ci_u32_e64 v7, null, s23, v7, vcc_lo
	s_add_co_i32 s12, s19, s14
	s_add_co_i32 s15, s15, s21
	;; [unrolled: 1-line block ×3, first 2 shown]
	s_wait_alu 0xfffe
	s_cmp_ge_i32 s12, s28
	s_cbranch_scc1 .LBB169_22
.LBB169_26:                             ;   Parent Loop BB169_4 Depth=1
                                        ;     Parent Loop BB169_23 Depth=2
                                        ; =>    This Loop Header: Depth=3
                                        ;         Child Loop BB169_27 Depth 4
                                        ;         Child Loop BB169_30 Depth 4
                                        ;           Child Loop BB169_31 Depth 5
                                        ;         Child Loop BB169_35 Depth 4
                                        ;           Child Loop BB169_37 Depth 5
	v_dual_mov_b32 v9, v7 :: v_dual_mov_b32 v8, v6
	s_mov_b32 s12, 4
	s_mov_b32 s24, s38
.LBB169_27:                             ;   Parent Loop BB169_4 Depth=1
                                        ;     Parent Loop BB169_23 Depth=2
                                        ;       Parent Loop BB169_26 Depth=3
                                        ; =>      This Inner Loop Header: Depth=4
	flat_load_b64 v[20:21], v[8:9] offset:-4
	v_add_co_u32 v8, vcc_lo, v8, 8
	s_wait_alu 0xfffd
	v_add_co_ci_u32_e64 v9, null, 0, v9, vcc_lo
	s_wait_alu 0xfffe
	s_add_co_i32 s24, s24, -1
	s_mov_b32 s25, s12
	s_add_co_i32 s12, s12, 8
	s_wait_alu 0xfffe
	s_cmp_eq_u32 s24, 0
	s_wait_loadcnt_dscnt 0x0
	v_mul_f32_e32 v22, s16, v21
	s_delay_alu instid0(VALU_DEP_1) | instskip(NEXT) | instid1(VALU_DEP_1)
	v_dual_mul_f32 v23, s17, v21 :: v_dual_fmac_f32 v22, s17, v20
	v_fma_f32 v21, v20, s16, -v23
	scratch_store_b64 off, v[21:22], s25 offset:-4
	s_cbranch_scc0 .LBB169_27
; %bb.28:                               ;   in Loop: Header=BB169_26 Depth=3
	s_cmp_lt_i32 s14, 1
	s_cbranch_scc1 .LBB169_33
; %bb.29:                               ;   in Loop: Header=BB169_26 Depth=3
	s_mov_b32 s12, 0
	s_mov_b32 s24, s15
.LBB169_30:                             ;   Parent Loop BB169_4 Depth=1
                                        ;     Parent Loop BB169_23 Depth=2
                                        ;       Parent Loop BB169_26 Depth=3
                                        ; =>      This Loop Header: Depth=4
                                        ;           Child Loop BB169_31 Depth 5
	s_wait_alu 0xfffe
	s_lshl_b64 s[42:43], s[12:13], 3
	s_mov_b32 s25, s33
	s_wait_alu 0xfffe
	v_add_co_u32 v8, vcc_lo, v16, s42
	s_wait_alu 0xfffd
	v_add_co_ci_u32_e64 v9, null, s43, v17, vcc_lo
	s_mov_b32 s41, s24
	s_mov_b32 s42, s38
	flat_load_b64 v[8:9], v[8:9]
.LBB169_31:                             ;   Parent Loop BB169_4 Depth=1
                                        ;     Parent Loop BB169_23 Depth=2
                                        ;       Parent Loop BB169_26 Depth=3
                                        ;         Parent Loop BB169_30 Depth=4
                                        ; =>        This Inner Loop Header: Depth=5
	scratch_load_b64 v[20:21], off, s25 offset:-4
	s_wait_alu 0xfffe
	v_mov_b32_e32 v22, s41
	s_add_co_i32 s42, s42, -1
	s_addk_co_i32 s41, 0x100
	ds_load_b64 v[22:23], v22
	s_wait_loadcnt_dscnt 0x100
	v_mul_f32_e32 v24, v23, v9
	v_mul_f32_e32 v23, v23, v8
	s_delay_alu instid0(VALU_DEP_1) | instskip(SKIP_1) | instid1(VALU_DEP_1)
	v_fmac_f32_e32 v23, v22, v9
	s_wait_loadcnt 0x0
	v_sub_f32_e32 v21, v21, v23
	v_fma_f32 v24, v22, v8, -v24
	s_delay_alu instid0(VALU_DEP_1)
	v_sub_f32_e32 v20, v20, v24
	scratch_store_b64 off, v[20:21], s25 offset:-4
	s_add_co_i32 s25, s25, 8
	s_wait_alu 0xfffe
	s_cmp_eq_u32 s42, 0
	s_cbranch_scc0 .LBB169_31
; %bb.32:                               ;   in Loop: Header=BB169_30 Depth=4
	s_add_co_i32 s12, s12, 1
	s_add_co_i32 s24, s24, 8
	s_wait_alu 0xfffe
	s_cmp_eq_u32 s12, s14
	s_cbranch_scc0 .LBB169_30
.LBB169_33:                             ;   in Loop: Header=BB169_26 Depth=3
	s_mov_b32 s12, 0
	s_mov_b32 s41, s39
	s_branch .LBB169_35
.LBB169_34:                             ;   in Loop: Header=BB169_35 Depth=4
	s_wait_alu 0xfffe
	s_mul_i32 s25, s24, 0x108
	s_lshl_b32 s42, s12, 3
	s_wait_alu 0xfffe
	v_mov_b32_e32 v20, s25
	s_ashr_i32 s25, s24, 31
	s_add_co_i32 s12, s12, 1
	s_wait_alu 0xfffe
	s_lshl_b64 s[24:25], s[24:25], 3
	s_addk_co_i32 s41, 0x100
	ds_load_b64 v[20:21], v20
	s_cmp_eq_u32 s12, s38
	s_wait_loadcnt_dscnt 0x0
	v_mul_f32_e32 v22, v21, v9
	v_mul_f32_e32 v23, v20, v9
	s_delay_alu instid0(VALU_DEP_2) | instskip(NEXT) | instid1(VALU_DEP_2)
	v_fma_f32 v22, v20, v8, -v22
	v_fmac_f32_e32 v23, v21, v8
	s_wait_alu 0xfffe
	v_add_co_u32 v8, vcc_lo, v16, s24
	s_wait_alu 0xfffd
	v_add_co_ci_u32_e64 v9, null, s25, v17, vcc_lo
	scratch_store_b64 off, v[22:23], s42
	flat_store_b64 v[8:9], v[22:23]
	s_cbranch_scc1 .LBB169_25
.LBB169_35:                             ;   Parent Loop BB169_4 Depth=1
                                        ;     Parent Loop BB169_23 Depth=2
                                        ;       Parent Loop BB169_26 Depth=3
                                        ; =>      This Loop Header: Depth=4
                                        ;           Child Loop BB169_37 Depth 5
	s_wait_alu 0xfffe
	s_cmp_lg_u32 s12, 0
	s_cbranch_scc0 .LBB169_39
; %bb.36:                               ;   in Loop: Header=BB169_35 Depth=4
	s_lshl_b32 s25, s12, 3
	s_add_co_i32 s24, s12, s14
	scratch_load_b64 v[8:9], off, s25
	s_mov_b32 s42, 0
	s_mov_b32 s43, s41
	;; [unrolled: 1-line block ×3, first 2 shown]
.LBB169_37:                             ;   Parent Loop BB169_4 Depth=1
                                        ;     Parent Loop BB169_23 Depth=2
                                        ;       Parent Loop BB169_26 Depth=3
                                        ;         Parent Loop BB169_35 Depth=4
                                        ; =>        This Inner Loop Header: Depth=5
	scratch_load_b64 v[20:21], off, s42
	s_wait_alu 0xfffe
	v_mov_b32_e32 v22, s43
	s_add_co_i32 s44, s44, -1
	s_add_co_i32 s42, s42, 8
	s_add_co_i32 s43, s43, 8
	s_cmp_eq_u32 s44, 0
	ds_load_b64 v[22:23], v22
	s_wait_loadcnt_dscnt 0x0
	v_mul_f32_e32 v24, v23, v21
	v_mul_f32_e32 v21, v22, v21
	s_delay_alu instid0(VALU_DEP_2) | instskip(NEXT) | instid1(VALU_DEP_1)
	v_fma_f32 v22, v22, v20, -v24
	v_dual_sub_f32 v8, v8, v22 :: v_dual_fmac_f32 v21, v23, v20
	s_delay_alu instid0(VALU_DEP_1)
	v_sub_f32_e32 v9, v9, v21
	scratch_store_b64 off, v[8:9], s25
	s_cbranch_scc0 .LBB169_37
; %bb.38:                               ;   in Loop: Header=BB169_35 Depth=4
	s_branch .LBB169_34
.LBB169_39:                             ;   in Loop: Header=BB169_35 Depth=4
                                        ; implicit-def: $vgpr8
                                        ; implicit-def: $sgpr24
	s_cbranch_execz .LBB169_34
; %bb.40:                               ;   in Loop: Header=BB169_35 Depth=4
	scratch_load_b64 v[8:9], off, off
	s_mov_b32 s24, s14
	s_branch .LBB169_34
.LBB169_41:                             ;   in Loop: Header=BB169_4 Depth=1
	s_mov_b32 s12, 0
.LBB169_42:                             ;   in Loop: Header=BB169_4 Depth=1
	s_wait_alu 0xfffe
	s_and_b32 vcc_lo, exec_lo, s12
	s_wait_alu 0xfffe
	s_cbranch_vccz .LBB169_2
; %bb.43:                               ;   in Loop: Header=BB169_4 Depth=1
	v_add_co_u32 v6, vcc_lo, v4, v15
	s_wait_alu 0xfffd
	v_add_co_ci_u32_e64 v7, null, v5, v14, vcc_lo
	s_mov_b32 s12, 0
	s_mov_b32 s14, s29
	s_branch .LBB169_45
.LBB169_44:                             ;   in Loop: Header=BB169_45 Depth=2
	s_cmp_gt_i32 s14, -1
	s_cselect_b32 s15, -1, 0
	s_add_co_i32 s18, s12, 1
	s_cmp_lt_u32 s12, 2
	s_cselect_b32 s12, -1, 0
	s_wait_alu 0xfffe
	s_and_b32 s12, s15, s12
	s_wait_alu 0xfffe
	s_and_not1_b32 vcc_lo, exec_lo, s12
	s_mov_b32 s12, s18
	s_wait_alu 0xfffe
	s_cbranch_vccnz .LBB169_2
.LBB169_45:                             ;   Parent Loop BB169_4 Depth=1
                                        ; =>  This Loop Header: Depth=2
                                        ;       Child Loop BB169_48 Depth 3
                                        ;         Child Loop BB169_49 Depth 4
                                        ;         Child Loop BB169_51 Depth 4
                                        ;           Child Loop BB169_52 Depth 5
                                        ;         Child Loop BB169_56 Depth 4
                                        ;           Child Loop BB169_58 Depth 5
	s_getpc_b64 s[18:19]
	s_wait_alu 0xfffe
	s_sext_i32_i16 s19, s19
	s_add_co_u32 s18, s18, __const._ZL30rocblas_trsm_small_left_deviceILi32ELi32ELb0E19rocblas_complex_numIfES1_PKPKS1_PKPS1_Ev13rocblas_fill_18rocblas_operation_17rocblas_diagonal_iiT3_T4_lilT5_lili.step_sizes@rel32@lo+12
	s_wait_alu 0xfffe
	s_add_co_ci_u32 s19, s19, __const._ZL30rocblas_trsm_small_left_deviceILi32ELi32ELb0E19rocblas_complex_numIfES1_PKPKS1_PKPS1_Ev13rocblas_fill_18rocblas_operation_17rocblas_diagonal_iiT3_T4_lilT5_lili.step_sizes@rel32@hi+24
	s_lshl_b64 s[20:21], s[12:13], 2
	s_wait_alu 0xfffe
	s_add_nc_u64 s[18:19], s[18:19], s[20:21]
	s_load_b32 s22, s[18:19], 0x0
	s_wait_kmcnt 0x0
	s_add_co_i32 s23, s22, -1
	s_wait_alu 0xfffe
	s_cmp_lt_i32 s14, s23
	s_cbranch_scc1 .LBB169_44
; %bb.46:                               ;   in Loop: Header=BB169_45 Depth=2
	s_lshl_b32 s15, s14, 3
	s_lshl_b32 s18, s22, 3
	s_max_i32 s24, s22, 1
	s_add_co_i32 s25, s34, s15
	s_wait_alu 0xfffe
	s_sub_co_i32 s38, 0, s18
	s_mul_i32 s39, s14, 0x108
	s_mul_i32 s40, s22, 0xfffffef8
	s_branch .LBB169_48
.LBB169_47:                             ;   in Loop: Header=BB169_48 Depth=3
	s_sub_co_i32 s14, s14, s22
	s_add_co_i32 s25, s25, s38
	s_add_co_i32 s39, s39, s40
	s_cmp_lt_i32 s14, s23
	s_cbranch_scc1 .LBB169_44
.LBB169_48:                             ;   Parent Loop BB169_4 Depth=1
                                        ;     Parent Loop BB169_45 Depth=2
                                        ; =>    This Loop Header: Depth=3
                                        ;         Child Loop BB169_49 Depth 4
                                        ;         Child Loop BB169_51 Depth 4
                                        ;           Child Loop BB169_52 Depth 5
                                        ;         Child Loop BB169_56 Depth 4
                                        ;           Child Loop BB169_58 Depth 5
	s_ashr_i32 s15, s14, 31
	s_delay_alu instid0(SALU_CYCLE_1)
	s_lshl_b64 s[18:19], s[14:15], 3
	s_wait_alu 0xfffe
	v_add_co_u32 v4, vcc_lo, v6, s18
	s_wait_alu 0xfffd
	v_add_co_ci_u32_e64 v5, null, s19, v7, vcc_lo
	s_mov_b32 s18, 4
	s_mov_b32 s19, s24
.LBB169_49:                             ;   Parent Loop BB169_4 Depth=1
                                        ;     Parent Loop BB169_45 Depth=2
                                        ;       Parent Loop BB169_48 Depth=3
                                        ; =>      This Inner Loop Header: Depth=4
	flat_load_b64 v[8:9], v[4:5] offset:-4
	v_add_co_u32 v4, vcc_lo, v4, -8
	s_wait_alu 0xfffd
	v_add_co_ci_u32_e64 v5, null, -1, v5, vcc_lo
	s_wait_alu 0xfffe
	s_add_co_i32 s19, s19, -1
	s_mov_b32 s20, s18
	s_add_co_i32 s18, s18, 8
	s_wait_alu 0xfffe
	s_cmp_eq_u32 s19, 0
	s_wait_loadcnt_dscnt 0x0
	v_mul_f32_e32 v19, s16, v9
	s_delay_alu instid0(VALU_DEP_1) | instskip(NEXT) | instid1(VALU_DEP_1)
	v_dual_mul_f32 v18, s17, v9 :: v_dual_fmac_f32 v19, s17, v8
	v_fma_f32 v18, v8, s16, -v18
	scratch_store_b64 off, v[18:19], s20 offset:-4
	s_cbranch_scc0 .LBB169_49
; %bb.50:                               ;   in Loop: Header=BB169_48 Depth=3
	s_cmp_le_i32 s29, s14
	s_mov_b32 s20, s25
	s_mov_b32 s18, s29
	s_cbranch_scc1 .LBB169_54
.LBB169_51:                             ;   Parent Loop BB169_4 Depth=1
                                        ;     Parent Loop BB169_45 Depth=2
                                        ;       Parent Loop BB169_48 Depth=3
                                        ; =>      This Loop Header: Depth=4
                                        ;           Child Loop BB169_52 Depth 5
	s_wait_alu 0xfffe
	s_ashr_i32 s19, s18, 31
	s_mov_b32 s21, s20
	s_wait_alu 0xfffe
	s_lshl_b64 s[42:43], s[18:19], 3
	s_mov_b32 s19, s33
	s_wait_alu 0xfffe
	v_add_co_u32 v4, vcc_lo, v16, s42
	s_wait_alu 0xfffd
	v_add_co_ci_u32_e64 v5, null, s43, v17, vcc_lo
	s_mov_b32 s41, s24
	flat_load_b64 v[4:5], v[4:5]
.LBB169_52:                             ;   Parent Loop BB169_4 Depth=1
                                        ;     Parent Loop BB169_45 Depth=2
                                        ;       Parent Loop BB169_48 Depth=3
                                        ;         Parent Loop BB169_51 Depth=4
                                        ; =>        This Inner Loop Header: Depth=5
	scratch_load_b64 v[8:9], off, s19 offset:-4
	v_mov_b32_e32 v18, s21
	s_wait_alu 0xfffe
	s_add_co_i32 s41, s41, -1
	s_add_co_i32 s21, s21, -8
	ds_load_b64 v[18:19], v18
	s_wait_loadcnt_dscnt 0x100
	v_mul_f32_e32 v20, v19, v5
	v_mul_f32_e32 v19, v19, v4
	s_delay_alu instid0(VALU_DEP_1) | instskip(SKIP_1) | instid1(VALU_DEP_1)
	v_fmac_f32_e32 v19, v18, v5
	s_wait_loadcnt 0x0
	v_sub_f32_e32 v9, v9, v19
	v_fma_f32 v20, v18, v4, -v20
	s_delay_alu instid0(VALU_DEP_1)
	v_sub_f32_e32 v8, v8, v20
	scratch_store_b64 off, v[8:9], s19 offset:-4
	s_add_co_i32 s19, s19, 8
	s_wait_alu 0xfffe
	s_cmp_eq_u32 s41, 0
	s_cbranch_scc0 .LBB169_52
; %bb.53:                               ;   in Loop: Header=BB169_51 Depth=4
	s_add_co_i32 s18, s18, -1
	s_addk_co_i32 s20, 0xff00
	s_wait_alu 0xfffe
	s_cmp_le_i32 s18, s14
	s_cbranch_scc0 .LBB169_51
.LBB169_54:                             ;   in Loop: Header=BB169_48 Depth=3
	s_mov_b32 s41, 0
	s_mov_b32 s42, s39
	s_branch .LBB169_56
.LBB169_55:                             ;   in Loop: Header=BB169_56 Depth=4
	s_wait_alu 0xfffe
	s_mulk_i32 s20, 0x108
	s_lshl_b64 s[18:19], s[18:19], 3
	s_wait_alu 0xfffe
	v_mov_b32_e32 v8, s20
	s_lshl_b32 s20, s41, 3
	s_add_co_i32 s41, s41, 1
	s_add_co_i32 s42, s42, -8
	s_wait_alu 0xfffe
	s_cmp_eq_u32 s41, s24
	ds_load_b64 v[8:9], v8
	s_wait_loadcnt_dscnt 0x0
	v_mul_f32_e32 v18, v9, v5
	v_mul_f32_e32 v19, v8, v5
	s_delay_alu instid0(VALU_DEP_2) | instskip(NEXT) | instid1(VALU_DEP_2)
	v_fma_f32 v18, v8, v4, -v18
	v_fmac_f32_e32 v19, v9, v4
	v_add_co_u32 v4, vcc_lo, v16, s18
	s_wait_alu 0xfffd
	v_add_co_ci_u32_e64 v5, null, s19, v17, vcc_lo
	scratch_store_b64 off, v[18:19], s20
	flat_store_b64 v[4:5], v[18:19]
	s_cbranch_scc1 .LBB169_47
.LBB169_56:                             ;   Parent Loop BB169_4 Depth=1
                                        ;     Parent Loop BB169_45 Depth=2
                                        ;       Parent Loop BB169_48 Depth=3
                                        ; =>      This Loop Header: Depth=4
                                        ;           Child Loop BB169_58 Depth 5
	s_wait_alu 0xfffe
	s_cmp_lg_u32 s41, 0
	s_cbranch_scc0 .LBB169_60
; %bb.57:                               ;   in Loop: Header=BB169_56 Depth=4
	s_lshl_b32 s18, s41, 3
	s_mov_b32 s19, 0
	scratch_load_b64 v[4:5], off, s18
	s_mov_b32 s20, s42
	s_mov_b32 s21, s41
.LBB169_58:                             ;   Parent Loop BB169_4 Depth=1
                                        ;     Parent Loop BB169_45 Depth=2
                                        ;       Parent Loop BB169_48 Depth=3
                                        ;         Parent Loop BB169_56 Depth=4
                                        ; =>        This Inner Loop Header: Depth=5
	scratch_load_b64 v[8:9], off, s19
	s_wait_alu 0xfffe
	v_mov_b32_e32 v18, s20
	s_add_co_i32 s21, s21, -1
	s_addk_co_i32 s20, 0xff00
	s_add_co_i32 s19, s19, 8
	s_wait_alu 0xfffe
	s_cmp_eq_u32 s21, 0
	ds_load_b64 v[18:19], v18
	s_wait_loadcnt_dscnt 0x0
	v_mul_f32_e32 v20, v19, v9
	v_mul_f32_e32 v9, v18, v9
	s_delay_alu instid0(VALU_DEP_2) | instskip(NEXT) | instid1(VALU_DEP_1)
	v_fma_f32 v18, v18, v8, -v20
	v_dual_sub_f32 v4, v4, v18 :: v_dual_fmac_f32 v9, v19, v8
	s_delay_alu instid0(VALU_DEP_1)
	v_sub_f32_e32 v5, v5, v9
	scratch_store_b64 off, v[4:5], s18
	s_cbranch_scc0 .LBB169_58
; %bb.59:                               ;   in Loop: Header=BB169_56 Depth=4
	s_sub_co_i32 s20, s14, s41
	s_wait_alu 0xfffe
	s_ashr_i32 s21, s20, 31
	s_wait_alu 0xfffe
	s_mov_b64 s[18:19], s[20:21]
	s_branch .LBB169_55
.LBB169_60:                             ;   in Loop: Header=BB169_56 Depth=4
                                        ; implicit-def: $vgpr4
                                        ; implicit-def: $sgpr20
                                        ; implicit-def: $sgpr18_sgpr19
	s_cbranch_execz .LBB169_55
; %bb.61:                               ;   in Loop: Header=BB169_56 Depth=4
	scratch_load_b64 v[4:5], off, off
	s_mov_b64 s[18:19], s[14:15]
	s_mov_b32 s20, s14
	s_branch .LBB169_55
.LBB169_62:
	s_or_b32 exec_lo, exec_lo, s35
	s_and_saveexec_b32 s0, s36
	s_wait_alu 0xfffe
	s_xor_b32 s0, exec_lo, s0
.LBB169_63:
	s_endpgm
	.section	.rodata,"a",@progbits
	.p2align	6, 0x0
	.amdhsa_kernel _ZL30rocblas_trsm_small_left_deviceILi32ELi32ELb0E19rocblas_complex_numIfES1_PKPKS1_PKPS1_Ev13rocblas_fill_18rocblas_operation_17rocblas_diagonal_iiT3_T4_lilT5_lili
		.amdhsa_group_segment_fixed_size 8192
		.amdhsa_private_segment_fixed_size 272
		.amdhsa_kernarg_size 360
		.amdhsa_user_sgpr_count 2
		.amdhsa_user_sgpr_dispatch_ptr 0
		.amdhsa_user_sgpr_queue_ptr 0
		.amdhsa_user_sgpr_kernarg_segment_ptr 1
		.amdhsa_user_sgpr_dispatch_id 0
		.amdhsa_user_sgpr_private_segment_size 0
		.amdhsa_wavefront_size32 1
		.amdhsa_uses_dynamic_stack 0
		.amdhsa_enable_private_segment 1
		.amdhsa_system_sgpr_workgroup_id_x 1
		.amdhsa_system_sgpr_workgroup_id_y 0
		.amdhsa_system_sgpr_workgroup_id_z 1
		.amdhsa_system_sgpr_workgroup_info 0
		.amdhsa_system_vgpr_workitem_id 0
		.amdhsa_next_free_vgpr 241
		.amdhsa_next_free_sgpr 45
		.amdhsa_reserve_vcc 1
		.amdhsa_float_round_mode_32 0
		.amdhsa_float_round_mode_16_64 0
		.amdhsa_float_denorm_mode_32 3
		.amdhsa_float_denorm_mode_16_64 3
		.amdhsa_fp16_overflow 0
		.amdhsa_workgroup_processor_mode 1
		.amdhsa_memory_ordered 1
		.amdhsa_forward_progress 1
		.amdhsa_inst_pref_size 25
		.amdhsa_round_robin_scheduling 0
		.amdhsa_exception_fp_ieee_invalid_op 0
		.amdhsa_exception_fp_denorm_src 0
		.amdhsa_exception_fp_ieee_div_zero 0
		.amdhsa_exception_fp_ieee_overflow 0
		.amdhsa_exception_fp_ieee_underflow 0
		.amdhsa_exception_fp_ieee_inexact 0
		.amdhsa_exception_int_div_zero 0
	.end_amdhsa_kernel
	.section	.text._ZL30rocblas_trsm_small_left_deviceILi32ELi32ELb0E19rocblas_complex_numIfES1_PKPKS1_PKPS1_Ev13rocblas_fill_18rocblas_operation_17rocblas_diagonal_iiT3_T4_lilT5_lili,"axG",@progbits,_ZL30rocblas_trsm_small_left_deviceILi32ELi32ELb0E19rocblas_complex_numIfES1_PKPKS1_PKPS1_Ev13rocblas_fill_18rocblas_operation_17rocblas_diagonal_iiT3_T4_lilT5_lili,comdat
.Lfunc_end169:
	.size	_ZL30rocblas_trsm_small_left_deviceILi32ELi32ELb0E19rocblas_complex_numIfES1_PKPKS1_PKPS1_Ev13rocblas_fill_18rocblas_operation_17rocblas_diagonal_iiT3_T4_lilT5_lili, .Lfunc_end169-_ZL30rocblas_trsm_small_left_deviceILi32ELi32ELb0E19rocblas_complex_numIfES1_PKPKS1_PKPS1_Ev13rocblas_fill_18rocblas_operation_17rocblas_diagonal_iiT3_T4_lilT5_lili
                                        ; -- End function
	.set _ZL30rocblas_trsm_small_left_deviceILi32ELi32ELb0E19rocblas_complex_numIfES1_PKPKS1_PKPS1_Ev13rocblas_fill_18rocblas_operation_17rocblas_diagonal_iiT3_T4_lilT5_lili.num_vgpr, 25
	.set _ZL30rocblas_trsm_small_left_deviceILi32ELi32ELb0E19rocblas_complex_numIfES1_PKPKS1_PKPS1_Ev13rocblas_fill_18rocblas_operation_17rocblas_diagonal_iiT3_T4_lilT5_lili.num_agpr, 0
	.set _ZL30rocblas_trsm_small_left_deviceILi32ELi32ELb0E19rocblas_complex_numIfES1_PKPKS1_PKPS1_Ev13rocblas_fill_18rocblas_operation_17rocblas_diagonal_iiT3_T4_lilT5_lili.numbered_sgpr, 45
	.set _ZL30rocblas_trsm_small_left_deviceILi32ELi32ELb0E19rocblas_complex_numIfES1_PKPKS1_PKPS1_Ev13rocblas_fill_18rocblas_operation_17rocblas_diagonal_iiT3_T4_lilT5_lili.num_named_barrier, 0
	.set _ZL30rocblas_trsm_small_left_deviceILi32ELi32ELb0E19rocblas_complex_numIfES1_PKPKS1_PKPS1_Ev13rocblas_fill_18rocblas_operation_17rocblas_diagonal_iiT3_T4_lilT5_lili.private_seg_size, 272
	.set _ZL30rocblas_trsm_small_left_deviceILi32ELi32ELb0E19rocblas_complex_numIfES1_PKPKS1_PKPS1_Ev13rocblas_fill_18rocblas_operation_17rocblas_diagonal_iiT3_T4_lilT5_lili.uses_vcc, 1
	.set _ZL30rocblas_trsm_small_left_deviceILi32ELi32ELb0E19rocblas_complex_numIfES1_PKPKS1_PKPS1_Ev13rocblas_fill_18rocblas_operation_17rocblas_diagonal_iiT3_T4_lilT5_lili.uses_flat_scratch, 0
	.set _ZL30rocblas_trsm_small_left_deviceILi32ELi32ELb0E19rocblas_complex_numIfES1_PKPKS1_PKPS1_Ev13rocblas_fill_18rocblas_operation_17rocblas_diagonal_iiT3_T4_lilT5_lili.has_dyn_sized_stack, 0
	.set _ZL30rocblas_trsm_small_left_deviceILi32ELi32ELb0E19rocblas_complex_numIfES1_PKPKS1_PKPS1_Ev13rocblas_fill_18rocblas_operation_17rocblas_diagonal_iiT3_T4_lilT5_lili.has_recursion, 0
	.set _ZL30rocblas_trsm_small_left_deviceILi32ELi32ELb0E19rocblas_complex_numIfES1_PKPKS1_PKPS1_Ev13rocblas_fill_18rocblas_operation_17rocblas_diagonal_iiT3_T4_lilT5_lili.has_indirect_call, 0
	.section	.AMDGPU.csdata,"",@progbits
; Kernel info:
; codeLenInByte = 3128
; TotalNumSgprs: 47
; NumVgprs: 25
; ScratchSize: 272
; MemoryBound: 0
; FloatMode: 240
; IeeeMode: 1
; LDSByteSize: 8192 bytes/workgroup (compile time only)
; SGPRBlocks: 0
; VGPRBlocks: 30
; NumSGPRsForWavesPerEU: 47
; NumVGPRsForWavesPerEU: 241
; Occupancy: 4
; WaveLimiterHint : 1
; COMPUTE_PGM_RSRC2:SCRATCH_EN: 1
; COMPUTE_PGM_RSRC2:USER_SGPR: 2
; COMPUTE_PGM_RSRC2:TRAP_HANDLER: 0
; COMPUTE_PGM_RSRC2:TGID_X_EN: 1
; COMPUTE_PGM_RSRC2:TGID_Y_EN: 0
; COMPUTE_PGM_RSRC2:TGID_Z_EN: 1
; COMPUTE_PGM_RSRC2:TIDIG_COMP_CNT: 0
	.section	.text._ZL38rocblas_trsm_small_left_device_sharedBILi32ELi32ELb1E19rocblas_complex_numIfES1_PKPKS1_PKPS1_Ev13rocblas_fill_18rocblas_operation_17rocblas_diagonal_iiT3_T4_lilT5_lili,"axG",@progbits,_ZL38rocblas_trsm_small_left_device_sharedBILi32ELi32ELb1E19rocblas_complex_numIfES1_PKPKS1_PKPS1_Ev13rocblas_fill_18rocblas_operation_17rocblas_diagonal_iiT3_T4_lilT5_lili,comdat
	.globl	_ZL38rocblas_trsm_small_left_device_sharedBILi32ELi32ELb1E19rocblas_complex_numIfES1_PKPKS1_PKPS1_Ev13rocblas_fill_18rocblas_operation_17rocblas_diagonal_iiT3_T4_lilT5_lili ; -- Begin function _ZL38rocblas_trsm_small_left_device_sharedBILi32ELi32ELb1E19rocblas_complex_numIfES1_PKPKS1_PKPS1_Ev13rocblas_fill_18rocblas_operation_17rocblas_diagonal_iiT3_T4_lilT5_lili
	.p2align	8
	.type	_ZL38rocblas_trsm_small_left_device_sharedBILi32ELi32ELb1E19rocblas_complex_numIfES1_PKPKS1_PKPS1_Ev13rocblas_fill_18rocblas_operation_17rocblas_diagonal_iiT3_T4_lilT5_lili,@function
_ZL38rocblas_trsm_small_left_device_sharedBILi32ELi32ELb1E19rocblas_complex_numIfES1_PKPKS1_PKPS1_Ev13rocblas_fill_18rocblas_operation_17rocblas_diagonal_iiT3_T4_lilT5_lili: ; @_ZL38rocblas_trsm_small_left_device_sharedBILi32ELi32ELb1E19rocblas_complex_numIfES1_PKPKS1_PKPS1_Ev13rocblas_fill_18rocblas_operation_17rocblas_diagonal_iiT3_T4_lilT5_lili
; %bb.0:
	s_load_b32 s22, s[0:1], 0x60
	s_lshr_b32 s2, ttmp7, 16
	s_wait_kmcnt 0x0
	s_cmp_ge_u32 s2, s22
	s_cbranch_scc1 .LBB170_66
; %bb.1:
	s_clause 0x6
	s_load_b32 s20, s[0:1], 0x30
	s_load_b32 s30, s[0:1], 0x50
	s_load_b128 s[12:15], s[0:1], 0x4
	s_load_b32 s3, s[0:1], 0x68
	s_load_b128 s[4:7], s[0:1], 0x20
	s_load_b128 s[8:11], s[0:1], 0x40
	s_load_b64 s[16:17], s[0:1], 0x14
	v_dual_mov_b32 v1, 0 :: v_dual_lshlrev_b32 v10, 3, v0
	v_lshlrev_b32_e32 v6, 8, v0
	s_mov_b32 s19, 0
	s_delay_alu instid0(VALU_DEP_2) | instskip(NEXT) | instid1(VALU_DEP_2)
	v_or_b32_e32 v11, 0x2000, v10
	v_add_nc_u32_e32 v16, v10, v6
	s_wait_kmcnt 0x0
	s_ashr_i32 s21, s20, 31
	s_ashr_i32 s31, s30, 31
	s_cmp_lg_u32 s12, 0x71
	v_mad_co_i64_i32 v[2:3], null, s30, v0, 0
	s_cselect_b32 s1, -1, 0
	s_min_i32 s23, s14, 32
	s_lshl_b32 s28, ttmp9, 5
	s_add_co_i32 s3, s3, -1
	s_add_co_i32 s24, s23, -1
	s_sub_co_i32 s0, s15, s28
	s_cmp_ge_u32 ttmp9, s3
	v_lshlrev_b64_e32 v[2:3], 3, v[2:3]
	s_cselect_b32 s0, s0, 32
	s_ashr_i32 s29, s28, 31
	s_cmp_lg_u32 s13, 0x84
	v_cmp_gt_i32_e32 vcc_lo, s0, v0
	s_cselect_b32 s25, -1, 0
	s_cmp_gt_i32 s14, 0
	v_cmp_gt_i32_e64 s0, s23, v0
	s_cselect_b32 s3, -1, 0
	s_cmp_lg_u32 s12, 0x6f
	s_mul_u64 s[14:15], s[30:31], s[28:29]
	s_cselect_b32 s26, -1, 0
	s_lshl_b64 s[12:13], s[28:29], 3
	s_lshl_b64 s[28:29], s[6:7], 3
	v_or_b32_e32 v0, s12, v10
	s_lshl_b64 s[6:7], s[10:11], 3
	s_and_b32 s27, vcc_lo, s3
	s_lshl_b64 s[10:11], s[20:21], 3
	s_delay_alu instid0(VALU_DEP_1) | instskip(SKIP_2) | instid1(VALU_DEP_1)
	v_mul_lo_u32 v7, v0, s31
	v_mad_co_u64_u32 v[4:5], null, v0, s30, s[6:7]
	v_add_co_u32 v0, s3, s28, v10
	v_add_co_ci_u32_e64 v12, null, s29, 0, s3
	s_mul_i32 s3, s13, s30
	v_or_b32_e32 v13, 4, v0
	s_wait_alu 0xfffe
	v_add3_u32 v14, s3, v5, v7
	v_or_b32_e32 v15, 4, v4
	v_mov_b32_e32 v0, 1.0
	s_lshl_b32 s3, s23, 3
	s_or_b32 s28, 0, 4
	s_wait_alu 0xfffe
	s_add_co_i32 s20, s3, -8
	s_lshl_b64 s[12:13], s[14:15], 3
	s_branch .LBB170_3
.LBB170_2:                              ;   in Loop: Header=BB170_3 Depth=1
	s_wait_alu 0xfffe
	s_or_b32 exec_lo, exec_lo, s3
	s_add_co_i32 s2, s2, 0x10000
	s_wait_alu 0xfffe
	s_cmp_lt_u32 s2, s22
	s_cbranch_scc0 .LBB170_66
.LBB170_3:                              ; =>This Loop Header: Depth=1
                                        ;     Child Loop BB170_6 Depth 2
                                        ;     Child Loop BB170_20 Depth 2
	;; [unrolled: 1-line block ×3, first 2 shown]
                                        ;       Child Loop BB170_27 Depth 3
                                        ;         Child Loop BB170_28 Depth 4
                                        ;         Child Loop BB170_30 Depth 4
                                        ;           Child Loop BB170_31 Depth 5
                                        ;         Child Loop BB170_35 Depth 4
                                        ;           Child Loop BB170_37 Depth 5
                                        ;     Child Loop BB170_45 Depth 2
                                        ;       Child Loop BB170_48 Depth 3
                                        ;         Child Loop BB170_49 Depth 4
                                        ;         Child Loop BB170_52 Depth 4
                                        ;           Child Loop BB170_53 Depth 5
                                        ;         Child Loop BB170_57 Depth 4
                                        ;           Child Loop BB170_59 Depth 5
                                        ;     Child Loop BB170_65 Depth 2
	s_mov_b32 s3, s19
	s_wait_alu 0xfffe
	s_lshl_b64 s[14:15], s[2:3], 3
	s_delay_alu instid0(SALU_CYCLE_1)
	s_add_nc_u64 s[30:31], s[8:9], s[14:15]
	global_load_b64 v[4:5], v1, s[30:31]
	s_and_saveexec_b32 s3, s0
	s_cbranch_execz .LBB170_18
; %bb.4:                                ;   in Loop: Header=BB170_3 Depth=1
	s_add_nc_u64 s[14:15], s[4:5], s[14:15]
	v_mov_b32_e32 v17, v10
	global_load_b64 v[6:7], v1, s[14:15]
	s_mov_b32 s14, s23
	s_wait_loadcnt 0x0
	v_add_co_u32 v6, vcc_lo, v6, v13
	s_wait_alu 0xfffd
	v_add_co_ci_u32_e64 v7, null, v7, v12, vcc_lo
	s_branch .LBB170_6
.LBB170_5:                              ;   in Loop: Header=BB170_6 Depth=2
	flat_load_b32 v8, v[6:7] offset:-4
	v_add_co_u32 v6, vcc_lo, v6, s10
	s_wait_alu 0xfffd
	v_add_co_ci_u32_e64 v7, null, s11, v7, vcc_lo
	s_add_co_i32 s14, s14, -1
	s_delay_alu instid0(SALU_CYCLE_1)
	s_cmp_eq_u32 s14, 0
	s_wait_loadcnt_dscnt 0x0
	ds_store_b64 v17, v[8:9]
	v_add_nc_u32_e32 v17, 0x100, v17
	s_cbranch_scc1 .LBB170_10
.LBB170_6:                              ;   Parent Loop BB170_3 Depth=1
                                        ; =>  This Inner Loop Header: Depth=2
	s_and_b32 vcc_lo, exec_lo, s1
	s_mov_b32 s15, -1
                                        ; implicit-def: $vgpr9
	s_wait_alu 0xfffe
	s_cbranch_vccz .LBB170_8
; %bb.7:                                ;   in Loop: Header=BB170_6 Depth=2
	flat_load_b32 v9, v[6:7]
	s_mov_b32 s15, 0
.LBB170_8:                              ;   in Loop: Header=BB170_6 Depth=2
	s_delay_alu instid0(SALU_CYCLE_1)
	s_and_not1_b32 vcc_lo, exec_lo, s15
	s_wait_alu 0xfffe
	s_cbranch_vccnz .LBB170_5
; %bb.9:                                ;   in Loop: Header=BB170_6 Depth=2
	flat_load_b32 v8, v[6:7]
	s_wait_loadcnt_dscnt 0x0
	v_xor_b32_e32 v9, 0x80000000, v8
	s_branch .LBB170_5
.LBB170_10:                             ;   in Loop: Header=BB170_3 Depth=1
	s_and_b32 vcc_lo, exec_lo, s25
	s_mov_b32 s14, -1
	s_wait_alu 0xfffe
	s_cbranch_vccz .LBB170_16
; %bb.11:                               ;   in Loop: Header=BB170_3 Depth=1
	ds_load_b64 v[6:7], v16
                                        ; implicit-def: $vgpr8
	s_wait_dscnt 0x0
	v_cmp_ngt_f32_e64 s14, |v6|, |v7|
	s_and_saveexec_b32 s15, s14
	s_delay_alu instid0(SALU_CYCLE_1)
	s_xor_b32 s14, exec_lo, s15
	s_cbranch_execz .LBB170_13
; %bb.12:                               ;   in Loop: Header=BB170_3 Depth=1
	v_div_scale_f32 v8, null, v7, v7, v6
	v_div_scale_f32 v18, vcc_lo, v6, v7, v6
	s_delay_alu instid0(VALU_DEP_2) | instskip(NEXT) | instid1(TRANS32_DEP_1)
	v_rcp_f32_e32 v9, v8
	v_fma_f32 v17, -v8, v9, 1.0
	s_delay_alu instid0(VALU_DEP_1) | instskip(NEXT) | instid1(VALU_DEP_1)
	v_fmac_f32_e32 v9, v17, v9
	v_mul_f32_e32 v17, v18, v9
	s_delay_alu instid0(VALU_DEP_1) | instskip(NEXT) | instid1(VALU_DEP_1)
	v_fma_f32 v19, -v8, v17, v18
	v_fmac_f32_e32 v17, v19, v9
	s_delay_alu instid0(VALU_DEP_1) | instskip(SKIP_1) | instid1(VALU_DEP_1)
	v_fma_f32 v8, -v8, v17, v18
	s_wait_alu 0xfffd
	v_div_fmas_f32 v8, v8, v9, v17
	s_delay_alu instid0(VALU_DEP_1) | instskip(NEXT) | instid1(VALU_DEP_1)
	v_div_fixup_f32 v8, v8, v7, v6
	v_fmac_f32_e32 v7, v6, v8
	s_delay_alu instid0(VALU_DEP_1) | instskip(SKIP_1) | instid1(VALU_DEP_2)
	v_div_scale_f32 v6, null, v7, v7, 1.0
	v_div_scale_f32 v18, vcc_lo, 1.0, v7, 1.0
	v_rcp_f32_e32 v9, v6
	s_delay_alu instid0(TRANS32_DEP_1) | instskip(NEXT) | instid1(VALU_DEP_1)
	v_fma_f32 v17, -v6, v9, 1.0
	v_fmac_f32_e32 v9, v17, v9
	s_delay_alu instid0(VALU_DEP_1) | instskip(NEXT) | instid1(VALU_DEP_1)
	v_mul_f32_e32 v17, v18, v9
	v_fma_f32 v19, -v6, v17, v18
	s_delay_alu instid0(VALU_DEP_1) | instskip(NEXT) | instid1(VALU_DEP_1)
	v_fmac_f32_e32 v17, v19, v9
	v_fma_f32 v6, -v6, v17, v18
	s_wait_alu 0xfffd
	s_delay_alu instid0(VALU_DEP_1) | instskip(SKIP_1) | instid1(VALU_DEP_2)
	v_div_fmas_f32 v6, v6, v9, v17
	v_add_f32_e32 v9, 0, v8
	v_div_fixup_f32 v6, v6, v7, 1.0
	v_fma_f32 v7, v8, 0, -1.0
	s_delay_alu instid0(VALU_DEP_2) | instskip(NEXT) | instid1(VALU_DEP_2)
	v_mul_f32_e32 v8, v9, v6
	v_mul_f32_e32 v9, v7, v6
                                        ; implicit-def: $vgpr6_vgpr7
.LBB170_13:                             ;   in Loop: Header=BB170_3 Depth=1
	s_and_not1_saveexec_b32 s14, s14
	s_cbranch_execz .LBB170_15
; %bb.14:                               ;   in Loop: Header=BB170_3 Depth=1
	v_div_scale_f32 v8, null, v6, v6, v7
	v_div_scale_f32 v18, vcc_lo, v7, v6, v7
	s_delay_alu instid0(VALU_DEP_2) | instskip(NEXT) | instid1(TRANS32_DEP_1)
	v_rcp_f32_e32 v9, v8
	v_fma_f32 v17, -v8, v9, 1.0
	s_delay_alu instid0(VALU_DEP_1) | instskip(NEXT) | instid1(VALU_DEP_1)
	v_fmac_f32_e32 v9, v17, v9
	v_mul_f32_e32 v17, v18, v9
	s_delay_alu instid0(VALU_DEP_1) | instskip(NEXT) | instid1(VALU_DEP_1)
	v_fma_f32 v19, -v8, v17, v18
	v_fmac_f32_e32 v17, v19, v9
	s_delay_alu instid0(VALU_DEP_1) | instskip(SKIP_1) | instid1(VALU_DEP_1)
	v_fma_f32 v8, -v8, v17, v18
	s_wait_alu 0xfffd
	v_div_fmas_f32 v8, v8, v9, v17
	s_delay_alu instid0(VALU_DEP_1) | instskip(NEXT) | instid1(VALU_DEP_1)
	v_div_fixup_f32 v9, v8, v6, v7
	v_fmac_f32_e32 v6, v7, v9
	s_delay_alu instid0(VALU_DEP_1) | instskip(SKIP_1) | instid1(VALU_DEP_2)
	v_div_scale_f32 v7, null, v6, v6, 1.0
	v_div_scale_f32 v18, vcc_lo, 1.0, v6, 1.0
	v_rcp_f32_e32 v8, v7
	s_delay_alu instid0(TRANS32_DEP_1) | instskip(NEXT) | instid1(VALU_DEP_1)
	v_fma_f32 v17, -v7, v8, 1.0
	v_fmac_f32_e32 v8, v17, v8
	s_delay_alu instid0(VALU_DEP_1) | instskip(NEXT) | instid1(VALU_DEP_1)
	v_mul_f32_e32 v17, v18, v8
	v_fma_f32 v19, -v7, v17, v18
	s_delay_alu instid0(VALU_DEP_1) | instskip(NEXT) | instid1(VALU_DEP_1)
	v_fmac_f32_e32 v17, v19, v8
	v_fma_f32 v7, -v7, v17, v18
	s_wait_alu 0xfffd
	s_delay_alu instid0(VALU_DEP_1) | instskip(SKIP_1) | instid1(VALU_DEP_2)
	v_div_fmas_f32 v7, v7, v8, v17
	v_fma_f32 v8, v9, 0, 1.0
	v_div_fixup_f32 v6, v7, v6, 1.0
	s_delay_alu instid0(VALU_DEP_1)
	v_mul_f32_e32 v8, v8, v6
	v_mul_f32_e64 v9, -v9, v6
.LBB170_15:                             ;   in Loop: Header=BB170_3 Depth=1
	s_or_b32 exec_lo, exec_lo, s14
	s_mov_b32 s14, 0
	ds_store_b64 v16, v[8:9]
.LBB170_16:                             ;   in Loop: Header=BB170_3 Depth=1
	s_and_b32 vcc_lo, exec_lo, s14
	s_wait_alu 0xfffe
	s_cbranch_vccz .LBB170_18
; %bb.17:                               ;   in Loop: Header=BB170_3 Depth=1
	ds_store_b64 v16, v[0:1]
.LBB170_18:                             ;   in Loop: Header=BB170_3 Depth=1
	s_wait_alu 0xfffe
	s_or_b32 exec_lo, exec_lo, s3
	s_and_saveexec_b32 s3, s27
	s_cbranch_execz .LBB170_21
; %bb.19:                               ;   in Loop: Header=BB170_3 Depth=1
	s_wait_loadcnt 0x0
	v_add_co_u32 v6, vcc_lo, v4, v15
	s_wait_alu 0xfffd
	v_add_co_ci_u32_e64 v7, null, v5, v14, vcc_lo
	v_mov_b32_e32 v8, v11
	s_mov_b32 s14, s23
.LBB170_20:                             ;   Parent Loop BB170_3 Depth=1
                                        ; =>  This Inner Loop Header: Depth=2
	flat_load_b64 v[17:18], v[6:7] offset:-4
	v_add_co_u32 v6, vcc_lo, v6, 8
	s_wait_alu 0xfffd
	v_add_co_ci_u32_e64 v7, null, 0, v7, vcc_lo
	s_add_co_i32 s14, s14, -1
	s_delay_alu instid0(SALU_CYCLE_1) | instskip(SKIP_3) | instid1(VALU_DEP_2)
	s_cmp_lg_u32 s14, 0
	s_wait_loadcnt_dscnt 0x0
	v_mul_f32_e32 v9, s17, v18
	v_mul_f32_e32 v19, s16, v18
	v_fma_f32 v18, s16, v17, -v9
	s_delay_alu instid0(VALU_DEP_2)
	v_fmac_f32_e32 v19, s17, v17
	ds_store_b64 v8, v[18:19]
	v_add_nc_u32_e32 v8, 0x100, v8
	s_cbranch_scc1 .LBB170_20
.LBB170_21:                             ;   in Loop: Header=BB170_3 Depth=1
	s_wait_alu 0xfffe
	s_or_b32 exec_lo, exec_lo, s3
	s_delay_alu instid0(SALU_CYCLE_1)
	s_and_not1_b32 vcc_lo, exec_lo, s26
	s_mov_b32 s3, -1
	; wave barrier
	s_wait_loadcnt_dscnt 0x0
	global_inv scope:SCOPE_SE
	s_wait_alu 0xfffe
	s_cbranch_vccnz .LBB170_42
; %bb.22:                               ;   in Loop: Header=BB170_3 Depth=1
	s_mov_b32 s18, 0
	s_mov_b32 s3, s24
	s_branch .LBB170_24
.LBB170_23:                             ;   in Loop: Header=BB170_24 Depth=2
	s_cmp_gt_i32 s3, -1
	s_cselect_b32 s14, -1, 0
	s_add_co_i32 s15, s18, 1
	s_cmp_lt_u32 s18, 2
	s_cselect_b32 s18, -1, 0
	s_delay_alu instid0(SALU_CYCLE_1)
	s_and_b32 s14, s14, s18
	s_mov_b32 s18, s15
	s_and_b32 vcc_lo, exec_lo, s14
	s_wait_alu 0xfffe
	s_cbranch_vccz .LBB170_41
.LBB170_24:                             ;   Parent Loop BB170_3 Depth=1
                                        ; =>  This Loop Header: Depth=2
                                        ;       Child Loop BB170_27 Depth 3
                                        ;         Child Loop BB170_28 Depth 4
                                        ;         Child Loop BB170_30 Depth 4
                                        ;           Child Loop BB170_31 Depth 5
                                        ;         Child Loop BB170_35 Depth 4
                                        ;           Child Loop BB170_37 Depth 5
	s_getpc_b64 s[14:15]
	s_sext_i32_i16 s15, s15
	s_add_co_u32 s14, s14, __const._ZL38rocblas_trsm_small_left_device_sharedBILi32ELi32ELb1E19rocblas_complex_numIfES1_PKPKS1_PKPS1_Ev13rocblas_fill_18rocblas_operation_17rocblas_diagonal_iiT3_T4_lilT5_lili.step_sizes@rel32@lo+8
	s_add_co_ci_u32 s15, s15, __const._ZL38rocblas_trsm_small_left_device_sharedBILi32ELi32ELb1E19rocblas_complex_numIfES1_PKPKS1_PKPS1_Ev13rocblas_fill_18rocblas_operation_17rocblas_diagonal_iiT3_T4_lilT5_lili.step_sizes@rel32@hi+16
	s_lshl_b64 s[30:31], s[18:19], 2
	s_wait_alu 0xfffe
	s_add_nc_u64 s[14:15], s[14:15], s[30:31]
	s_load_b32 s14, s[14:15], 0x0
	s_wait_kmcnt 0x0
	s_add_co_i32 s15, s14, -1
	s_delay_alu instid0(SALU_CYCLE_1)
	s_cmp_lt_i32 s3, s15
	s_cbranch_scc1 .LBB170_23
; %bb.25:                               ;   in Loop: Header=BB170_24 Depth=2
	s_lshl_b32 s30, s3, 8
	s_lshl_b32 s29, s14, 8
	s_wait_alu 0xfffe
	v_add_nc_u32_e32 v8, s30, v11
	s_max_i32 s21, s14, 1
	s_sub_co_i32 s29, 0, s29
	s_add_co_i32 s30, s20, s30
	s_mul_i32 s31, s3, 0x108
	s_mul_i32 s33, s14, 0xfffffef8
	s_branch .LBB170_27
.LBB170_26:                             ;   in Loop: Header=BB170_27 Depth=3
	v_add_nc_u32_e32 v8, s29, v8
	s_sub_co_i32 s3, s3, s14
	s_add_co_i32 s30, s30, s29
	s_add_co_i32 s31, s31, s33
	s_wait_alu 0xfffe
	s_cmp_lt_i32 s3, s15
	s_cbranch_scc1 .LBB170_23
.LBB170_27:                             ;   Parent Loop BB170_3 Depth=1
                                        ;     Parent Loop BB170_24 Depth=2
                                        ; =>    This Loop Header: Depth=3
                                        ;         Child Loop BB170_28 Depth 4
                                        ;         Child Loop BB170_30 Depth 4
                                        ;           Child Loop BB170_31 Depth 5
                                        ;         Child Loop BB170_35 Depth 4
                                        ;           Child Loop BB170_37 Depth 5
	v_mov_b32_e32 v6, v8
	s_mov_b32 s34, 0
	s_mov_b32 s35, s21
.LBB170_28:                             ;   Parent Loop BB170_3 Depth=1
                                        ;     Parent Loop BB170_24 Depth=2
                                        ;       Parent Loop BB170_27 Depth=3
                                        ; =>      This Inner Loop Header: Depth=4
	ds_load_b64 v[17:18], v6
	v_add_nc_u32_e32 v6, 0xffffff00, v6
	s_wait_alu 0xfffe
	s_add_co_i32 s35, s35, -1
	s_wait_dscnt 0x0
	scratch_store_b64 off, v[17:18], s34
	s_add_co_i32 s34, s34, 8
	s_wait_alu 0xfffe
	s_cmp_eq_u32 s35, 0
	s_cbranch_scc0 .LBB170_28
; %bb.29:                               ;   in Loop: Header=BB170_27 Depth=3
	s_cmp_le_i32 s24, s3
	s_mov_b32 s34, s30
	s_mov_b32 s35, s24
	s_cbranch_scc1 .LBB170_33
.LBB170_30:                             ;   Parent Loop BB170_3 Depth=1
                                        ;     Parent Loop BB170_24 Depth=2
                                        ;       Parent Loop BB170_27 Depth=3
                                        ; =>      This Loop Header: Depth=4
                                        ;           Child Loop BB170_31 Depth 5
	s_wait_alu 0xfffe
	v_lshl_add_u32 v6, s35, 8, v11
	s_mov_b32 s36, s28
	s_mov_b32 s37, s34
	s_mov_b32 s38, s21
	ds_load_b64 v[6:7], v6
.LBB170_31:                             ;   Parent Loop BB170_3 Depth=1
                                        ;     Parent Loop BB170_24 Depth=2
                                        ;       Parent Loop BB170_27 Depth=3
                                        ;         Parent Loop BB170_30 Depth=4
                                        ; =>        This Inner Loop Header: Depth=5
	scratch_load_b64 v[17:18], off, s36 offset:-4
	s_wait_alu 0xfffe
	v_mov_b32_e32 v9, s37
	s_add_co_i32 s38, s38, -1
	s_addk_co_i32 s37, 0xff00
	ds_load_b64 v[19:20], v9
	s_wait_dscnt 0x0
	v_mul_f32_e32 v9, v20, v7
	v_mul_f32_e32 v20, v20, v6
	s_delay_alu instid0(VALU_DEP_1) | instskip(SKIP_1) | instid1(VALU_DEP_1)
	v_fmac_f32_e32 v20, v19, v7
	s_wait_loadcnt 0x0
	v_sub_f32_e32 v18, v18, v20
	v_fma_f32 v9, v19, v6, -v9
	s_delay_alu instid0(VALU_DEP_1)
	v_sub_f32_e32 v17, v17, v9
	scratch_store_b64 off, v[17:18], s36 offset:-4
	s_add_co_i32 s36, s36, 8
	s_wait_alu 0xfffe
	s_cmp_eq_u32 s38, 0
	s_cbranch_scc0 .LBB170_31
; %bb.32:                               ;   in Loop: Header=BB170_30 Depth=4
	s_add_co_i32 s35, s35, -1
	s_add_co_i32 s34, s34, -8
	s_wait_alu 0xfffe
	s_cmp_le_i32 s35, s3
	s_cbranch_scc0 .LBB170_30
.LBB170_33:                             ;   in Loop: Header=BB170_27 Depth=3
	s_lshl_b32 s34, s3, 8
	s_mov_b32 s35, 0
	s_mov_b32 s36, s31
	s_branch .LBB170_35
.LBB170_34:                             ;   in Loop: Header=BB170_35 Depth=4
	s_wait_alu 0xfffe
	s_mulk_i32 s38, 0x108
	s_addk_co_i32 s36, 0xff00
	s_wait_alu 0xfffe
	v_mov_b32_e32 v9, s38
	s_lshl_b32 s38, s35, 3
	s_add_co_i32 s35, s35, 1
	s_wait_alu 0xfffe
	s_cmp_eq_u32 s35, s21
	ds_load_b64 v[17:18], v9
	s_wait_loadcnt_dscnt 0x0
	v_mul_f32_e32 v9, v18, v7
	v_mul_f32_e32 v20, v17, v7
	v_add_nc_u32_e32 v7, s37, v11
	s_delay_alu instid0(VALU_DEP_3) | instskip(NEXT) | instid1(VALU_DEP_3)
	v_fma_f32 v19, v17, v6, -v9
	v_fmac_f32_e32 v20, v18, v6
	scratch_store_b64 off, v[19:20], s38
	ds_store_b64 v7, v[19:20]
	s_cbranch_scc1 .LBB170_26
.LBB170_35:                             ;   Parent Loop BB170_3 Depth=1
                                        ;     Parent Loop BB170_24 Depth=2
                                        ;       Parent Loop BB170_27 Depth=3
                                        ; =>      This Loop Header: Depth=4
                                        ;           Child Loop BB170_37 Depth 5
	s_wait_alu 0xfffe
	s_cmp_lg_u32 s35, 0
	s_cbranch_scc0 .LBB170_39
; %bb.36:                               ;   in Loop: Header=BB170_35 Depth=4
	s_lshl_b32 s39, s35, 3
	s_sub_co_i32 s38, s3, s35
	scratch_load_b64 v[6:7], off, s39
	s_wait_alu 0xfffe
	s_lshl_b32 s37, s38, 8
	s_mov_b32 s40, 0
	s_mov_b32 s41, s36
	;; [unrolled: 1-line block ×3, first 2 shown]
.LBB170_37:                             ;   Parent Loop BB170_3 Depth=1
                                        ;     Parent Loop BB170_24 Depth=2
                                        ;       Parent Loop BB170_27 Depth=3
                                        ;         Parent Loop BB170_35 Depth=4
                                        ; =>        This Inner Loop Header: Depth=5
	scratch_load_b64 v[17:18], off, s40
	s_wait_alu 0xfffe
	v_mov_b32_e32 v9, s41
	s_add_co_i32 s42, s42, -1
	s_add_co_i32 s41, s41, -8
	s_add_co_i32 s40, s40, 8
	s_cmp_eq_u32 s42, 0
	ds_load_b64 v[19:20], v9
	s_wait_loadcnt_dscnt 0x0
	v_mul_f32_e32 v9, v20, v18
	v_mul_f32_e32 v18, v19, v18
	s_delay_alu instid0(VALU_DEP_2) | instskip(NEXT) | instid1(VALU_DEP_2)
	v_fma_f32 v9, v19, v17, -v9
	v_fmac_f32_e32 v18, v20, v17
	s_delay_alu instid0(VALU_DEP_1)
	v_dual_sub_f32 v6, v6, v9 :: v_dual_sub_f32 v7, v7, v18
	scratch_store_b64 off, v[6:7], s39
	s_cbranch_scc0 .LBB170_37
; %bb.38:                               ;   in Loop: Header=BB170_35 Depth=4
	s_branch .LBB170_34
.LBB170_39:                             ;   in Loop: Header=BB170_35 Depth=4
                                        ; implicit-def: $vgpr6
                                        ; implicit-def: $sgpr38
                                        ; implicit-def: $sgpr37
	s_cbranch_execz .LBB170_34
; %bb.40:                               ;   in Loop: Header=BB170_35 Depth=4
	scratch_load_b64 v[6:7], off, off
	s_mov_b32 s37, s34
	s_mov_b32 s38, s3
	s_branch .LBB170_34
.LBB170_41:                             ;   in Loop: Header=BB170_3 Depth=1
	s_mov_b32 s3, 0
.LBB170_42:                             ;   in Loop: Header=BB170_3 Depth=1
	s_wait_alu 0xfffe
	s_and_b32 vcc_lo, exec_lo, s3
	s_wait_alu 0xfffe
	s_cbranch_vccz .LBB170_63
; %bb.43:                               ;   in Loop: Header=BB170_3 Depth=1
	s_mov_b32 s18, 0
	s_delay_alu instid0(SALU_CYCLE_1)
	s_mov_b32 s3, s18
	s_branch .LBB170_45
.LBB170_44:                             ;   in Loop: Header=BB170_45 Depth=2
	s_cmp_lt_i32 s3, s23
	s_cselect_b32 s14, -1, 0
	s_add_co_i32 s15, s18, 1
	s_cmp_lt_u32 s18, 2
	s_cselect_b32 s18, -1, 0
	s_delay_alu instid0(SALU_CYCLE_1)
	s_and_b32 s14, s14, s18
	s_mov_b32 s18, s15
	s_and_not1_b32 vcc_lo, exec_lo, s14
	s_wait_alu 0xfffe
	s_cbranch_vccnz .LBB170_63
.LBB170_45:                             ;   Parent Loop BB170_3 Depth=1
                                        ; =>  This Loop Header: Depth=2
                                        ;       Child Loop BB170_48 Depth 3
                                        ;         Child Loop BB170_49 Depth 4
                                        ;         Child Loop BB170_52 Depth 4
                                        ;           Child Loop BB170_53 Depth 5
                                        ;         Child Loop BB170_57 Depth 4
                                        ;           Child Loop BB170_59 Depth 5
	s_getpc_b64 s[14:15]
	s_sext_i32_i16 s15, s15
	s_add_co_u32 s14, s14, __const._ZL38rocblas_trsm_small_left_device_sharedBILi32ELi32ELb1E19rocblas_complex_numIfES1_PKPKS1_PKPS1_Ev13rocblas_fill_18rocblas_operation_17rocblas_diagonal_iiT3_T4_lilT5_lili.step_sizes@rel32@lo+8
	s_add_co_ci_u32 s15, s15, __const._ZL38rocblas_trsm_small_left_device_sharedBILi32ELi32ELb1E19rocblas_complex_numIfES1_PKPKS1_PKPS1_Ev13rocblas_fill_18rocblas_operation_17rocblas_diagonal_iiT3_T4_lilT5_lili.step_sizes@rel32@hi+16
	s_lshl_b64 s[30:31], s[18:19], 2
	s_wait_alu 0xfffe
	s_add_nc_u64 s[14:15], s[14:15], s[30:31]
	s_load_b32 s14, s[14:15], 0x0
	s_wait_kmcnt 0x0
	s_add_co_i32 s15, s14, -1
	s_delay_alu instid0(SALU_CYCLE_1) | instskip(NEXT) | instid1(SALU_CYCLE_1)
	s_add_co_i32 s21, s15, s3
	s_cmp_ge_i32 s21, s23
	s_cbranch_scc1 .LBB170_44
; %bb.46:                               ;   in Loop: Header=BB170_45 Depth=2
	v_lshl_add_u32 v8, s3, 8, v11
	s_max_i32 s21, s14, 1
	s_lshl_b32 s29, s14, 8
	s_lshl_b32 s30, s3, 3
	;; [unrolled: 1-line block ×3, first 2 shown]
	s_mul_i32 s33, s3, 0x108
	s_mul_i32 s34, s14, 0x108
	s_branch .LBB170_48
.LBB170_47:                             ;   in Loop: Header=BB170_48 Depth=3
	s_add_co_i32 s3, s3, s14
	v_add_nc_u32_e32 v8, s29, v8
	s_wait_alu 0xfffe
	s_add_co_i32 s35, s15, s3
	s_add_co_i32 s30, s30, s31
	;; [unrolled: 1-line block ×3, first 2 shown]
	s_wait_alu 0xfffe
	s_cmp_ge_i32 s35, s23
	s_cbranch_scc1 .LBB170_44
.LBB170_48:                             ;   Parent Loop BB170_3 Depth=1
                                        ;     Parent Loop BB170_45 Depth=2
                                        ; =>    This Loop Header: Depth=3
                                        ;         Child Loop BB170_49 Depth 4
                                        ;         Child Loop BB170_52 Depth 4
                                        ;           Child Loop BB170_53 Depth 5
                                        ;         Child Loop BB170_57 Depth 4
                                        ;           Child Loop BB170_59 Depth 5
	v_mov_b32_e32 v6, v8
	s_mov_b32 s35, 0
	s_mov_b32 s36, s21
.LBB170_49:                             ;   Parent Loop BB170_3 Depth=1
                                        ;     Parent Loop BB170_45 Depth=2
                                        ;       Parent Loop BB170_48 Depth=3
                                        ; =>      This Inner Loop Header: Depth=4
	ds_load_b64 v[17:18], v6
	v_add_nc_u32_e32 v6, 0x100, v6
	s_wait_alu 0xfffe
	s_add_co_i32 s36, s36, -1
	s_wait_dscnt 0x0
	scratch_store_b64 off, v[17:18], s35
	s_add_co_i32 s35, s35, 8
	s_wait_alu 0xfffe
	s_cmp_eq_u32 s36, 0
	s_cbranch_scc0 .LBB170_49
; %bb.50:                               ;   in Loop: Header=BB170_48 Depth=3
	s_cmp_lt_i32 s3, 1
	s_cbranch_scc1 .LBB170_55
; %bb.51:                               ;   in Loop: Header=BB170_48 Depth=3
	s_mov_b32 s35, 0
	s_mov_b32 s36, s30
.LBB170_52:                             ;   Parent Loop BB170_3 Depth=1
                                        ;     Parent Loop BB170_45 Depth=2
                                        ;       Parent Loop BB170_48 Depth=3
                                        ; =>      This Loop Header: Depth=4
                                        ;           Child Loop BB170_53 Depth 5
	s_wait_alu 0xfffe
	v_lshl_add_u32 v6, s35, 8, v11
	s_mov_b32 s37, s28
	s_mov_b32 s38, s36
	;; [unrolled: 1-line block ×3, first 2 shown]
	ds_load_b64 v[6:7], v6
.LBB170_53:                             ;   Parent Loop BB170_3 Depth=1
                                        ;     Parent Loop BB170_45 Depth=2
                                        ;       Parent Loop BB170_48 Depth=3
                                        ;         Parent Loop BB170_52 Depth=4
                                        ; =>        This Inner Loop Header: Depth=5
	scratch_load_b64 v[17:18], off, s37 offset:-4
	s_wait_alu 0xfffe
	v_mov_b32_e32 v9, s38
	s_add_co_i32 s39, s39, -1
	s_add_co_i32 s38, s38, 8
	ds_load_b64 v[19:20], v9
	s_wait_dscnt 0x0
	v_mul_f32_e32 v9, v20, v7
	v_mul_f32_e32 v20, v20, v6
	s_delay_alu instid0(VALU_DEP_1) | instskip(SKIP_1) | instid1(VALU_DEP_1)
	v_fmac_f32_e32 v20, v19, v7
	s_wait_loadcnt 0x0
	v_sub_f32_e32 v18, v18, v20
	v_fma_f32 v9, v19, v6, -v9
	s_delay_alu instid0(VALU_DEP_1)
	v_sub_f32_e32 v17, v17, v9
	scratch_store_b64 off, v[17:18], s37 offset:-4
	s_add_co_i32 s37, s37, 8
	s_wait_alu 0xfffe
	s_cmp_eq_u32 s39, 0
	s_cbranch_scc0 .LBB170_53
; %bb.54:                               ;   in Loop: Header=BB170_52 Depth=4
	s_add_co_i32 s35, s35, 1
	s_addk_co_i32 s36, 0x100
	s_wait_alu 0xfffe
	s_cmp_eq_u32 s35, s3
	s_cbranch_scc0 .LBB170_52
.LBB170_55:                             ;   in Loop: Header=BB170_48 Depth=3
	s_mov_b32 s35, 0
	s_mov_b32 s36, s33
	s_branch .LBB170_57
.LBB170_56:                             ;   in Loop: Header=BB170_57 Depth=4
	s_add_co_i32 s37, s35, s3
	s_add_co_i32 s36, s36, 8
	s_wait_alu 0xfffe
	s_mul_i32 s38, s37, 0x108
	s_wait_alu 0xfffe
	v_mov_b32_e32 v9, s38
	s_lshl_b32 s38, s35, 3
	s_add_co_i32 s35, s35, 1
	s_wait_alu 0xfffe
	s_cmp_eq_u32 s35, s21
	ds_load_b64 v[17:18], v9
	s_wait_loadcnt_dscnt 0x0
	v_mul_f32_e32 v9, v18, v7
	v_mul_f32_e32 v20, v17, v7
	s_delay_alu instid0(VALU_DEP_2) | instskip(NEXT) | instid1(VALU_DEP_2)
	v_fma_f32 v19, v17, v6, -v9
	v_fmac_f32_e32 v20, v18, v6
	v_lshl_add_u32 v6, s37, 8, v11
	scratch_store_b64 off, v[19:20], s38
	ds_store_b64 v6, v[19:20]
	s_cbranch_scc1 .LBB170_47
.LBB170_57:                             ;   Parent Loop BB170_3 Depth=1
                                        ;     Parent Loop BB170_45 Depth=2
                                        ;       Parent Loop BB170_48 Depth=3
                                        ; =>      This Loop Header: Depth=4
                                        ;           Child Loop BB170_59 Depth 5
	s_wait_alu 0xfffe
	s_cmp_lg_u32 s35, 0
	s_cbranch_scc0 .LBB170_61
; %bb.58:                               ;   in Loop: Header=BB170_57 Depth=4
	s_lshl_b32 s37, s35, 3
	s_mov_b32 s38, 0
	scratch_load_b64 v[6:7], off, s37
	s_mov_b32 s39, s36
	s_mov_b32 s40, s35
.LBB170_59:                             ;   Parent Loop BB170_3 Depth=1
                                        ;     Parent Loop BB170_45 Depth=2
                                        ;       Parent Loop BB170_48 Depth=3
                                        ;         Parent Loop BB170_57 Depth=4
                                        ; =>        This Inner Loop Header: Depth=5
	scratch_load_b64 v[17:18], off, s38
	s_wait_alu 0xfffe
	v_mov_b32_e32 v9, s39
	s_add_co_i32 s40, s40, -1
	s_addk_co_i32 s39, 0x100
	s_add_co_i32 s38, s38, 8
	s_wait_alu 0xfffe
	s_cmp_eq_u32 s40, 0
	ds_load_b64 v[19:20], v9
	s_wait_loadcnt_dscnt 0x0
	v_mul_f32_e32 v9, v20, v18
	v_mul_f32_e32 v18, v19, v18
	s_delay_alu instid0(VALU_DEP_2) | instskip(NEXT) | instid1(VALU_DEP_2)
	v_fma_f32 v9, v19, v17, -v9
	v_fmac_f32_e32 v18, v20, v17
	s_delay_alu instid0(VALU_DEP_1)
	v_dual_sub_f32 v6, v6, v9 :: v_dual_sub_f32 v7, v7, v18
	scratch_store_b64 off, v[6:7], s37
	s_cbranch_scc0 .LBB170_59
; %bb.60:                               ;   in Loop: Header=BB170_57 Depth=4
	s_branch .LBB170_56
.LBB170_61:                             ;   in Loop: Header=BB170_57 Depth=4
                                        ; implicit-def: $vgpr6
	s_cbranch_execz .LBB170_56
; %bb.62:                               ;   in Loop: Header=BB170_57 Depth=4
	scratch_load_b64 v[6:7], off, off
	s_branch .LBB170_56
.LBB170_63:                             ;   in Loop: Header=BB170_3 Depth=1
	s_wait_storecnt 0x0
	; wave barrier
	s_wait_loadcnt_dscnt 0x0
	global_inv scope:SCOPE_SE
	s_and_saveexec_b32 s3, s27
	s_cbranch_execz .LBB170_2
; %bb.64:                               ;   in Loop: Header=BB170_3 Depth=1
	v_add_co_u32 v4, vcc_lo, v4, s6
	s_wait_alu 0xfffd
	v_add_co_ci_u32_e64 v5, null, s7, v5, vcc_lo
	v_mov_b32_e32 v6, v11
	s_delay_alu instid0(VALU_DEP_3) | instskip(SKIP_1) | instid1(VALU_DEP_3)
	v_add_co_u32 v4, vcc_lo, v4, s12
	s_wait_alu 0xfffd
	v_add_co_ci_u32_e64 v5, null, s13, v5, vcc_lo
	s_mov_b32 s14, s23
	v_add_co_u32 v4, vcc_lo, v4, v2
	s_wait_alu 0xfffd
	v_add_co_ci_u32_e64 v5, null, v5, v3, vcc_lo
.LBB170_65:                             ;   Parent Loop BB170_3 Depth=1
                                        ; =>  This Inner Loop Header: Depth=2
	ds_load_b64 v[7:8], v6
	v_add_nc_u32_e32 v6, 0x100, v6
	s_add_co_i32 s14, s14, -1
	s_delay_alu instid0(SALU_CYCLE_1)
	s_cmp_lg_u32 s14, 0
	s_wait_dscnt 0x0
	flat_store_b64 v[4:5], v[7:8]
	v_add_co_u32 v4, vcc_lo, v4, 8
	s_wait_alu 0xfffd
	v_add_co_ci_u32_e64 v5, null, 0, v5, vcc_lo
	s_cbranch_scc1 .LBB170_65
	s_branch .LBB170_2
.LBB170_66:
	s_endpgm
	.section	.rodata,"a",@progbits
	.p2align	6, 0x0
	.amdhsa_kernel _ZL38rocblas_trsm_small_left_device_sharedBILi32ELi32ELb1E19rocblas_complex_numIfES1_PKPKS1_PKPS1_Ev13rocblas_fill_18rocblas_operation_17rocblas_diagonal_iiT3_T4_lilT5_lili
		.amdhsa_group_segment_fixed_size 16384
		.amdhsa_private_segment_fixed_size 272
		.amdhsa_kernarg_size 360
		.amdhsa_user_sgpr_count 2
		.amdhsa_user_sgpr_dispatch_ptr 0
		.amdhsa_user_sgpr_queue_ptr 0
		.amdhsa_user_sgpr_kernarg_segment_ptr 1
		.amdhsa_user_sgpr_dispatch_id 0
		.amdhsa_user_sgpr_private_segment_size 0
		.amdhsa_wavefront_size32 1
		.amdhsa_uses_dynamic_stack 0
		.amdhsa_enable_private_segment 1
		.amdhsa_system_sgpr_workgroup_id_x 1
		.amdhsa_system_sgpr_workgroup_id_y 0
		.amdhsa_system_sgpr_workgroup_id_z 1
		.amdhsa_system_sgpr_workgroup_info 0
		.amdhsa_system_vgpr_workitem_id 0
		.amdhsa_next_free_vgpr 241
		.amdhsa_next_free_sgpr 43
		.amdhsa_reserve_vcc 1
		.amdhsa_float_round_mode_32 0
		.amdhsa_float_round_mode_16_64 0
		.amdhsa_float_denorm_mode_32 3
		.amdhsa_float_denorm_mode_16_64 3
		.amdhsa_fp16_overflow 0
		.amdhsa_workgroup_processor_mode 1
		.amdhsa_memory_ordered 1
		.amdhsa_forward_progress 1
		.amdhsa_inst_pref_size 24
		.amdhsa_round_robin_scheduling 0
		.amdhsa_exception_fp_ieee_invalid_op 0
		.amdhsa_exception_fp_denorm_src 0
		.amdhsa_exception_fp_ieee_div_zero 0
		.amdhsa_exception_fp_ieee_overflow 0
		.amdhsa_exception_fp_ieee_underflow 0
		.amdhsa_exception_fp_ieee_inexact 0
		.amdhsa_exception_int_div_zero 0
	.end_amdhsa_kernel
	.section	.text._ZL38rocblas_trsm_small_left_device_sharedBILi32ELi32ELb1E19rocblas_complex_numIfES1_PKPKS1_PKPS1_Ev13rocblas_fill_18rocblas_operation_17rocblas_diagonal_iiT3_T4_lilT5_lili,"axG",@progbits,_ZL38rocblas_trsm_small_left_device_sharedBILi32ELi32ELb1E19rocblas_complex_numIfES1_PKPKS1_PKPS1_Ev13rocblas_fill_18rocblas_operation_17rocblas_diagonal_iiT3_T4_lilT5_lili,comdat
.Lfunc_end170:
	.size	_ZL38rocblas_trsm_small_left_device_sharedBILi32ELi32ELb1E19rocblas_complex_numIfES1_PKPKS1_PKPS1_Ev13rocblas_fill_18rocblas_operation_17rocblas_diagonal_iiT3_T4_lilT5_lili, .Lfunc_end170-_ZL38rocblas_trsm_small_left_device_sharedBILi32ELi32ELb1E19rocblas_complex_numIfES1_PKPKS1_PKPS1_Ev13rocblas_fill_18rocblas_operation_17rocblas_diagonal_iiT3_T4_lilT5_lili
                                        ; -- End function
	.set _ZL38rocblas_trsm_small_left_device_sharedBILi32ELi32ELb1E19rocblas_complex_numIfES1_PKPKS1_PKPS1_Ev13rocblas_fill_18rocblas_operation_17rocblas_diagonal_iiT3_T4_lilT5_lili.num_vgpr, 21
	.set _ZL38rocblas_trsm_small_left_device_sharedBILi32ELi32ELb1E19rocblas_complex_numIfES1_PKPKS1_PKPS1_Ev13rocblas_fill_18rocblas_operation_17rocblas_diagonal_iiT3_T4_lilT5_lili.num_agpr, 0
	.set _ZL38rocblas_trsm_small_left_device_sharedBILi32ELi32ELb1E19rocblas_complex_numIfES1_PKPKS1_PKPS1_Ev13rocblas_fill_18rocblas_operation_17rocblas_diagonal_iiT3_T4_lilT5_lili.numbered_sgpr, 43
	.set _ZL38rocblas_trsm_small_left_device_sharedBILi32ELi32ELb1E19rocblas_complex_numIfES1_PKPKS1_PKPS1_Ev13rocblas_fill_18rocblas_operation_17rocblas_diagonal_iiT3_T4_lilT5_lili.num_named_barrier, 0
	.set _ZL38rocblas_trsm_small_left_device_sharedBILi32ELi32ELb1E19rocblas_complex_numIfES1_PKPKS1_PKPS1_Ev13rocblas_fill_18rocblas_operation_17rocblas_diagonal_iiT3_T4_lilT5_lili.private_seg_size, 272
	.set _ZL38rocblas_trsm_small_left_device_sharedBILi32ELi32ELb1E19rocblas_complex_numIfES1_PKPKS1_PKPS1_Ev13rocblas_fill_18rocblas_operation_17rocblas_diagonal_iiT3_T4_lilT5_lili.uses_vcc, 1
	.set _ZL38rocblas_trsm_small_left_device_sharedBILi32ELi32ELb1E19rocblas_complex_numIfES1_PKPKS1_PKPS1_Ev13rocblas_fill_18rocblas_operation_17rocblas_diagonal_iiT3_T4_lilT5_lili.uses_flat_scratch, 0
	.set _ZL38rocblas_trsm_small_left_device_sharedBILi32ELi32ELb1E19rocblas_complex_numIfES1_PKPKS1_PKPS1_Ev13rocblas_fill_18rocblas_operation_17rocblas_diagonal_iiT3_T4_lilT5_lili.has_dyn_sized_stack, 0
	.set _ZL38rocblas_trsm_small_left_device_sharedBILi32ELi32ELb1E19rocblas_complex_numIfES1_PKPKS1_PKPS1_Ev13rocblas_fill_18rocblas_operation_17rocblas_diagonal_iiT3_T4_lilT5_lili.has_recursion, 0
	.set _ZL38rocblas_trsm_small_left_device_sharedBILi32ELi32ELb1E19rocblas_complex_numIfES1_PKPKS1_PKPS1_Ev13rocblas_fill_18rocblas_operation_17rocblas_diagonal_iiT3_T4_lilT5_lili.has_indirect_call, 0
	.section	.AMDGPU.csdata,"",@progbits
; Kernel info:
; codeLenInByte = 3008
; TotalNumSgprs: 45
; NumVgprs: 21
; ScratchSize: 272
; MemoryBound: 0
; FloatMode: 240
; IeeeMode: 1
; LDSByteSize: 16384 bytes/workgroup (compile time only)
; SGPRBlocks: 0
; VGPRBlocks: 30
; NumSGPRsForWavesPerEU: 45
; NumVGPRsForWavesPerEU: 241
; Occupancy: 2
; WaveLimiterHint : 0
; COMPUTE_PGM_RSRC2:SCRATCH_EN: 1
; COMPUTE_PGM_RSRC2:USER_SGPR: 2
; COMPUTE_PGM_RSRC2:TRAP_HANDLER: 0
; COMPUTE_PGM_RSRC2:TGID_X_EN: 1
; COMPUTE_PGM_RSRC2:TGID_Y_EN: 0
; COMPUTE_PGM_RSRC2:TGID_Z_EN: 1
; COMPUTE_PGM_RSRC2:TIDIG_COMP_CNT: 0
	.section	.text._ZL30rocblas_trsm_small_left_deviceILi32ELi32ELb1E19rocblas_complex_numIfES1_PKPKS1_PKPS1_Ev13rocblas_fill_18rocblas_operation_17rocblas_diagonal_iiT3_T4_lilT5_lili,"axG",@progbits,_ZL30rocblas_trsm_small_left_deviceILi32ELi32ELb1E19rocblas_complex_numIfES1_PKPKS1_PKPS1_Ev13rocblas_fill_18rocblas_operation_17rocblas_diagonal_iiT3_T4_lilT5_lili,comdat
	.globl	_ZL30rocblas_trsm_small_left_deviceILi32ELi32ELb1E19rocblas_complex_numIfES1_PKPKS1_PKPS1_Ev13rocblas_fill_18rocblas_operation_17rocblas_diagonal_iiT3_T4_lilT5_lili ; -- Begin function _ZL30rocblas_trsm_small_left_deviceILi32ELi32ELb1E19rocblas_complex_numIfES1_PKPKS1_PKPS1_Ev13rocblas_fill_18rocblas_operation_17rocblas_diagonal_iiT3_T4_lilT5_lili
	.p2align	8
	.type	_ZL30rocblas_trsm_small_left_deviceILi32ELi32ELb1E19rocblas_complex_numIfES1_PKPKS1_PKPS1_Ev13rocblas_fill_18rocblas_operation_17rocblas_diagonal_iiT3_T4_lilT5_lili,@function
_ZL30rocblas_trsm_small_left_deviceILi32ELi32ELb1E19rocblas_complex_numIfES1_PKPKS1_PKPS1_Ev13rocblas_fill_18rocblas_operation_17rocblas_diagonal_iiT3_T4_lilT5_lili: ; @_ZL30rocblas_trsm_small_left_deviceILi32ELi32ELb1E19rocblas_complex_numIfES1_PKPKS1_PKPS1_Ev13rocblas_fill_18rocblas_operation_17rocblas_diagonal_iiT3_T4_lilT5_lili
; %bb.0:
	s_load_b32 s24, s[0:1], 0x60
	s_lshr_b32 s2, ttmp7, 16
	s_wait_kmcnt 0x0
	s_cmp_ge_u32 s2, s24
	s_cbranch_scc1 .LBB171_63
; %bb.1:
	s_clause 0x5
	s_load_b32 s18, s[0:1], 0x30
	s_load_b128 s[12:15], s[0:1], 0x4
	s_load_b32 s3, s[0:1], 0x68
	s_load_b128 s[4:7], s[0:1], 0x20
	s_load_b128 s[8:11], s[0:1], 0x40
	s_load_b32 s20, s[0:1], 0x50
	v_dual_mov_b32 v1, 0 :: v_dual_lshlrev_b32 v10, 3, v0
	v_lshlrev_b32_e32 v2, 8, v0
	s_load_b64 s[16:17], s[0:1], 0x14
	s_mov_b32 s33, 0
                                        ; implicit-def: $sgpr34
                                        ; implicit-def: $sgpr35
	s_delay_alu instid0(VALU_DEP_1)
	v_add_nc_u32_e32 v11, v10, v2
	s_wait_kmcnt 0x0
	s_ashr_i32 s19, s18, 31
	s_cmp_lg_u32 s12, 0x71
	s_cselect_b32 s25, -1, 0
	s_lshl_b32 s0, ttmp9, 5
	s_min_i32 s26, s14, 32
	v_or_b32_e32 v2, s0, v0
	s_add_co_i32 s3, s3, -1
	s_add_co_i32 s27, s26, -1
	s_sub_co_i32 s1, s15, s0
	s_cmp_ge_u32 ttmp9, s3
	v_mad_co_i64_i32 v[2:3], null, s20, v2, 0
	s_wait_alu 0xfffe
	s_cselect_b32 s1, s1, 32
	s_cmp_lg_u32 s13, 0x84
	v_cmp_gt_i32_e64 s0, s26, v0
	s_cselect_b32 s28, -1, 0
	s_cmp_lg_u32 s12, 0x6f
	s_wait_alu 0xfffe
	v_cmp_gt_i32_e64 s1, s1, v0
	v_lshlrev_b64_e32 v[2:3], 3, v[2:3]
	s_cselect_b32 s29, -1, 0
	s_lshl_b64 s[12:13], s[6:7], 3
	s_lshl_b64 s[10:11], s[10:11], 3
	v_add_co_u32 v0, s3, s12, v10
	s_delay_alu instid0(VALU_DEP_2) | instskip(SKIP_1) | instid1(VALU_DEP_3)
	v_add_co_u32 v4, vcc_lo, v2, s10
	v_add_co_ci_u32_e64 v12, null, s13, 0, s3
	v_or_b32_e32 v13, 4, v0
	v_add_co_ci_u32_e64 v14, null, s11, v3, vcc_lo
	s_delay_alu instid0(VALU_DEP_4)
	v_or_b32_e32 v15, 4, v4
	v_mov_b32_e32 v0, 1.0
	s_lshl_b32 s31, s26, 3
	s_or_b32 s30, 0, 4
	s_lshl_b64 s[6:7], s[18:19], 3
	s_add_co_i32 s31, s31, -8
	s_mov_b32 s13, 0
	s_branch .LBB171_4
.LBB171_2:                              ;   in Loop: Header=BB171_4 Depth=1
	s_add_co_i32 s2, s2, 0x10000
	s_wait_alu 0xfffe
	s_cmp_ge_u32 s2, s24
	s_cselect_b32 s12, -1, 0
	s_and_not1_b32 s35, s35, exec_lo
	s_wait_alu 0xfffe
	s_or_not1_b32 s12, s12, exec_lo
.LBB171_3:                              ;   in Loop: Header=BB171_4 Depth=1
	s_wait_alu 0xfffe
	s_or_b32 exec_lo, exec_lo, s3
	s_delay_alu instid0(SALU_CYCLE_1)
	s_and_b32 s3, exec_lo, s12
	s_wait_alu 0xfffe
	s_or_b32 s33, s3, s33
	s_and_not1_b32 s3, s34, exec_lo
	s_and_b32 s12, s35, exec_lo
	s_wait_alu 0xfffe
	s_or_b32 s34, s3, s12
	s_and_not1_b32 exec_lo, exec_lo, s33
	s_cbranch_execz .LBB171_62
.LBB171_4:                              ; =>This Loop Header: Depth=1
                                        ;     Child Loop BB171_7 Depth 2
                                        ;     Child Loop BB171_23 Depth 2
                                        ;       Child Loop BB171_26 Depth 3
                                        ;         Child Loop BB171_27 Depth 4
                                        ;         Child Loop BB171_29 Depth 4
                                        ;           Child Loop BB171_30 Depth 5
                                        ;         Child Loop BB171_34 Depth 4
                                        ;           Child Loop BB171_36 Depth 5
                                        ;     Child Loop BB171_44 Depth 2
                                        ;       Child Loop BB171_47 Depth 3
                                        ;         Child Loop BB171_48 Depth 4
                                        ;         Child Loop BB171_51 Depth 4
                                        ;           Child Loop BB171_52 Depth 5
                                        ;         Child Loop BB171_56 Depth 4
                                        ;           Child Loop BB171_58 Depth 5
	s_wait_alu 0xfffe
	s_mov_b32 s3, s13
	s_wait_alu 0xfffe
	s_lshl_b64 s[14:15], s[2:3], 3
	s_delay_alu instid0(SALU_CYCLE_1)
	s_add_nc_u64 s[18:19], s[8:9], s[14:15]
	global_load_b64 v[4:5], v1, s[18:19]
	s_and_saveexec_b32 s3, s0
	s_cbranch_execz .LBB171_19
; %bb.5:                                ;   in Loop: Header=BB171_4 Depth=1
	s_add_nc_u64 s[14:15], s[4:5], s[14:15]
	v_mov_b32_e32 v16, v10
	global_load_b64 v[6:7], v1, s[14:15]
	s_mov_b32 s12, s26
	s_wait_loadcnt 0x0
	v_add_co_u32 v6, vcc_lo, v6, v13
	s_wait_alu 0xfffd
	v_add_co_ci_u32_e64 v7, null, v7, v12, vcc_lo
	s_branch .LBB171_7
.LBB171_6:                              ;   in Loop: Header=BB171_7 Depth=2
	flat_load_b32 v8, v[6:7] offset:-4
	v_add_co_u32 v6, vcc_lo, v6, s6
	s_wait_alu 0xfffd
	v_add_co_ci_u32_e64 v7, null, s7, v7, vcc_lo
	s_add_co_i32 s12, s12, -1
	s_wait_alu 0xfffe
	s_cmp_eq_u32 s12, 0
	s_wait_loadcnt_dscnt 0x0
	ds_store_b64 v16, v[8:9]
	v_add_nc_u32_e32 v16, 0x100, v16
	s_cbranch_scc1 .LBB171_11
.LBB171_7:                              ;   Parent Loop BB171_4 Depth=1
                                        ; =>  This Inner Loop Header: Depth=2
	s_and_b32 vcc_lo, exec_lo, s25
	s_mov_b32 s14, -1
                                        ; implicit-def: $vgpr9
	s_wait_alu 0xfffe
	s_cbranch_vccz .LBB171_9
; %bb.8:                                ;   in Loop: Header=BB171_7 Depth=2
	flat_load_b32 v9, v[6:7]
	s_mov_b32 s14, 0
.LBB171_9:                              ;   in Loop: Header=BB171_7 Depth=2
	s_delay_alu instid0(SALU_CYCLE_1)
	s_and_not1_b32 vcc_lo, exec_lo, s14
	s_wait_alu 0xfffe
	s_cbranch_vccnz .LBB171_6
; %bb.10:                               ;   in Loop: Header=BB171_7 Depth=2
	flat_load_b32 v8, v[6:7]
	s_wait_loadcnt_dscnt 0x0
	v_xor_b32_e32 v9, 0x80000000, v8
	s_branch .LBB171_6
.LBB171_11:                             ;   in Loop: Header=BB171_4 Depth=1
	s_and_b32 vcc_lo, exec_lo, s28
	s_mov_b32 s12, -1
	s_wait_alu 0xfffe
	s_cbranch_vccz .LBB171_17
; %bb.12:                               ;   in Loop: Header=BB171_4 Depth=1
	ds_load_b64 v[6:7], v11
                                        ; implicit-def: $vgpr8
	s_wait_dscnt 0x0
	v_cmp_ngt_f32_e64 s12, |v6|, |v7|
	s_and_saveexec_b32 s14, s12
	s_delay_alu instid0(SALU_CYCLE_1)
	s_xor_b32 s12, exec_lo, s14
	s_cbranch_execz .LBB171_14
; %bb.13:                               ;   in Loop: Header=BB171_4 Depth=1
	v_div_scale_f32 v8, null, v7, v7, v6
	v_div_scale_f32 v17, vcc_lo, v6, v7, v6
	s_delay_alu instid0(VALU_DEP_2) | instskip(NEXT) | instid1(TRANS32_DEP_1)
	v_rcp_f32_e32 v9, v8
	v_fma_f32 v16, -v8, v9, 1.0
	s_delay_alu instid0(VALU_DEP_1) | instskip(NEXT) | instid1(VALU_DEP_1)
	v_fmac_f32_e32 v9, v16, v9
	v_mul_f32_e32 v16, v17, v9
	s_delay_alu instid0(VALU_DEP_1) | instskip(NEXT) | instid1(VALU_DEP_1)
	v_fma_f32 v18, -v8, v16, v17
	v_fmac_f32_e32 v16, v18, v9
	s_delay_alu instid0(VALU_DEP_1) | instskip(SKIP_1) | instid1(VALU_DEP_1)
	v_fma_f32 v8, -v8, v16, v17
	s_wait_alu 0xfffd
	v_div_fmas_f32 v8, v8, v9, v16
	s_delay_alu instid0(VALU_DEP_1) | instskip(NEXT) | instid1(VALU_DEP_1)
	v_div_fixup_f32 v8, v8, v7, v6
	v_fmac_f32_e32 v7, v6, v8
	s_delay_alu instid0(VALU_DEP_1) | instskip(SKIP_1) | instid1(VALU_DEP_2)
	v_div_scale_f32 v6, null, v7, v7, 1.0
	v_div_scale_f32 v17, vcc_lo, 1.0, v7, 1.0
	v_rcp_f32_e32 v9, v6
	s_delay_alu instid0(TRANS32_DEP_1) | instskip(NEXT) | instid1(VALU_DEP_1)
	v_fma_f32 v16, -v6, v9, 1.0
	v_fmac_f32_e32 v9, v16, v9
	s_delay_alu instid0(VALU_DEP_1) | instskip(NEXT) | instid1(VALU_DEP_1)
	v_mul_f32_e32 v16, v17, v9
	v_fma_f32 v18, -v6, v16, v17
	s_delay_alu instid0(VALU_DEP_1) | instskip(NEXT) | instid1(VALU_DEP_1)
	v_fmac_f32_e32 v16, v18, v9
	v_fma_f32 v6, -v6, v16, v17
	s_wait_alu 0xfffd
	s_delay_alu instid0(VALU_DEP_1) | instskip(SKIP_1) | instid1(VALU_DEP_2)
	v_div_fmas_f32 v6, v6, v9, v16
	v_add_f32_e32 v9, 0, v8
	v_div_fixup_f32 v6, v6, v7, 1.0
	v_fma_f32 v7, v8, 0, -1.0
	s_delay_alu instid0(VALU_DEP_2) | instskip(NEXT) | instid1(VALU_DEP_2)
	v_mul_f32_e32 v8, v9, v6
	v_mul_f32_e32 v9, v7, v6
                                        ; implicit-def: $vgpr6_vgpr7
.LBB171_14:                             ;   in Loop: Header=BB171_4 Depth=1
	s_wait_alu 0xfffe
	s_and_not1_saveexec_b32 s12, s12
	s_cbranch_execz .LBB171_16
; %bb.15:                               ;   in Loop: Header=BB171_4 Depth=1
	v_div_scale_f32 v8, null, v6, v6, v7
	v_div_scale_f32 v17, vcc_lo, v7, v6, v7
	s_delay_alu instid0(VALU_DEP_2) | instskip(NEXT) | instid1(TRANS32_DEP_1)
	v_rcp_f32_e32 v9, v8
	v_fma_f32 v16, -v8, v9, 1.0
	s_delay_alu instid0(VALU_DEP_1) | instskip(NEXT) | instid1(VALU_DEP_1)
	v_fmac_f32_e32 v9, v16, v9
	v_mul_f32_e32 v16, v17, v9
	s_delay_alu instid0(VALU_DEP_1) | instskip(NEXT) | instid1(VALU_DEP_1)
	v_fma_f32 v18, -v8, v16, v17
	v_fmac_f32_e32 v16, v18, v9
	s_delay_alu instid0(VALU_DEP_1) | instskip(SKIP_1) | instid1(VALU_DEP_1)
	v_fma_f32 v8, -v8, v16, v17
	s_wait_alu 0xfffd
	v_div_fmas_f32 v8, v8, v9, v16
	s_delay_alu instid0(VALU_DEP_1) | instskip(NEXT) | instid1(VALU_DEP_1)
	v_div_fixup_f32 v9, v8, v6, v7
	v_fmac_f32_e32 v6, v7, v9
	s_delay_alu instid0(VALU_DEP_1) | instskip(SKIP_1) | instid1(VALU_DEP_2)
	v_div_scale_f32 v7, null, v6, v6, 1.0
	v_div_scale_f32 v17, vcc_lo, 1.0, v6, 1.0
	v_rcp_f32_e32 v8, v7
	s_delay_alu instid0(TRANS32_DEP_1) | instskip(NEXT) | instid1(VALU_DEP_1)
	v_fma_f32 v16, -v7, v8, 1.0
	v_fmac_f32_e32 v8, v16, v8
	s_delay_alu instid0(VALU_DEP_1) | instskip(NEXT) | instid1(VALU_DEP_1)
	v_mul_f32_e32 v16, v17, v8
	v_fma_f32 v18, -v7, v16, v17
	s_delay_alu instid0(VALU_DEP_1) | instskip(NEXT) | instid1(VALU_DEP_1)
	v_fmac_f32_e32 v16, v18, v8
	v_fma_f32 v7, -v7, v16, v17
	s_wait_alu 0xfffd
	s_delay_alu instid0(VALU_DEP_1) | instskip(SKIP_1) | instid1(VALU_DEP_2)
	v_div_fmas_f32 v7, v7, v8, v16
	v_fma_f32 v8, v9, 0, 1.0
	v_div_fixup_f32 v6, v7, v6, 1.0
	s_delay_alu instid0(VALU_DEP_1)
	v_mul_f32_e32 v8, v8, v6
	v_mul_f32_e64 v9, -v9, v6
.LBB171_16:                             ;   in Loop: Header=BB171_4 Depth=1
	s_wait_alu 0xfffe
	s_or_b32 exec_lo, exec_lo, s12
	s_mov_b32 s12, 0
	ds_store_b64 v11, v[8:9]
.LBB171_17:                             ;   in Loop: Header=BB171_4 Depth=1
	s_wait_alu 0xfffe
	s_and_b32 vcc_lo, exec_lo, s12
	s_wait_alu 0xfffe
	s_cbranch_vccz .LBB171_19
; %bb.18:                               ;   in Loop: Header=BB171_4 Depth=1
	ds_store_b64 v11, v[0:1]
.LBB171_19:                             ;   in Loop: Header=BB171_4 Depth=1
	s_wait_alu 0xfffe
	s_or_b32 exec_lo, exec_lo, s3
	s_mov_b32 s12, -1
	s_or_b32 s35, s35, exec_lo
	; wave barrier
	s_wait_loadcnt_dscnt 0x0
	global_inv scope:SCOPE_SE
	s_and_saveexec_b32 s3, s1
	s_cbranch_execz .LBB171_3
; %bb.20:                               ;   in Loop: Header=BB171_4 Depth=1
	v_add_co_u32 v6, vcc_lo, v4, s10
	s_wait_alu 0xfffd
	v_add_co_ci_u32_e64 v7, null, s11, v5, vcc_lo
	s_delay_alu instid0(VALU_DEP_2) | instskip(SKIP_1) | instid1(VALU_DEP_2)
	v_add_co_u32 v8, vcc_lo, v6, v2
	s_wait_alu 0xfffd
	v_add_co_ci_u32_e64 v9, null, v7, v3, vcc_lo
	s_and_not1_b32 vcc_lo, exec_lo, s29
	s_wait_alu 0xfffe
	s_cbranch_vccnz .LBB171_41
; %bb.21:                               ;   in Loop: Header=BB171_4 Depth=1
	v_add_co_u32 v16, vcc_lo, v4, v15
	s_wait_alu 0xfffd
	v_add_co_ci_u32_e64 v17, null, v5, v14, vcc_lo
	s_mov_b32 s12, 0
	s_mov_b32 s14, s27
	s_branch .LBB171_23
.LBB171_22:                             ;   in Loop: Header=BB171_23 Depth=2
	s_cmp_gt_i32 s14, -1
	s_cselect_b32 s15, -1, 0
	s_add_co_i32 s18, s12, 1
	s_cmp_lt_u32 s12, 2
	s_cselect_b32 s12, -1, 0
	s_wait_alu 0xfffe
	s_and_b32 s12, s15, s12
	s_wait_alu 0xfffe
	s_and_b32 vcc_lo, exec_lo, s12
	s_mov_b32 s12, s18
	s_wait_alu 0xfffe
	s_cbranch_vccz .LBB171_40
.LBB171_23:                             ;   Parent Loop BB171_4 Depth=1
                                        ; =>  This Loop Header: Depth=2
                                        ;       Child Loop BB171_26 Depth 3
                                        ;         Child Loop BB171_27 Depth 4
                                        ;         Child Loop BB171_29 Depth 4
                                        ;           Child Loop BB171_30 Depth 5
                                        ;         Child Loop BB171_34 Depth 4
                                        ;           Child Loop BB171_36 Depth 5
	s_getpc_b64 s[18:19]
	s_wait_alu 0xfffe
	s_sext_i32_i16 s19, s19
	s_add_co_u32 s18, s18, __const._ZL30rocblas_trsm_small_left_deviceILi32ELi32ELb1E19rocblas_complex_numIfES1_PKPKS1_PKPS1_Ev13rocblas_fill_18rocblas_operation_17rocblas_diagonal_iiT3_T4_lilT5_lili.step_sizes@rel32@lo+12
	s_wait_alu 0xfffe
	s_add_co_ci_u32 s19, s19, __const._ZL30rocblas_trsm_small_left_deviceILi32ELi32ELb1E19rocblas_complex_numIfES1_PKPKS1_PKPS1_Ev13rocblas_fill_18rocblas_operation_17rocblas_diagonal_iiT3_T4_lilT5_lili.step_sizes@rel32@hi+24
	s_lshl_b64 s[20:21], s[12:13], 2
	s_wait_alu 0xfffe
	s_add_nc_u64 s[18:19], s[18:19], s[20:21]
	s_load_b32 s22, s[18:19], 0x0
	s_wait_kmcnt 0x0
	s_add_co_i32 s23, s22, -1
	s_wait_alu 0xfffe
	s_cmp_lt_i32 s14, s23
	s_cbranch_scc1 .LBB171_22
; %bb.24:                               ;   in Loop: Header=BB171_23 Depth=2
	s_lshl_b32 s15, s14, 8
	s_lshl_b32 s18, s22, 8
	s_max_i32 s36, s22, 1
	s_add_co_i32 s37, s31, s15
	s_wait_alu 0xfffe
	s_sub_co_i32 s38, 0, s18
	s_mul_i32 s39, s14, 0x108
	s_mul_i32 s40, s22, 0xfffffef8
	s_branch .LBB171_26
.LBB171_25:                             ;   in Loop: Header=BB171_26 Depth=3
	s_sub_co_i32 s14, s14, s22
	s_add_co_i32 s37, s37, s38
	s_add_co_i32 s39, s39, s40
	s_cmp_lt_i32 s14, s23
	s_cbranch_scc1 .LBB171_22
.LBB171_26:                             ;   Parent Loop BB171_4 Depth=1
                                        ;     Parent Loop BB171_23 Depth=2
                                        ; =>    This Loop Header: Depth=3
                                        ;         Child Loop BB171_27 Depth 4
                                        ;         Child Loop BB171_29 Depth 4
                                        ;           Child Loop BB171_30 Depth 5
                                        ;         Child Loop BB171_34 Depth 4
                                        ;           Child Loop BB171_36 Depth 5
	s_ashr_i32 s15, s14, 31
	s_delay_alu instid0(SALU_CYCLE_1)
	s_lshl_b64 s[18:19], s[14:15], 3
	s_wait_alu 0xfffe
	v_add_co_u32 v6, vcc_lo, v16, s18
	s_wait_alu 0xfffd
	v_add_co_ci_u32_e64 v7, null, s19, v17, vcc_lo
	s_mov_b32 s18, 4
	s_mov_b32 s19, s36
.LBB171_27:                             ;   Parent Loop BB171_4 Depth=1
                                        ;     Parent Loop BB171_23 Depth=2
                                        ;       Parent Loop BB171_26 Depth=3
                                        ; =>      This Inner Loop Header: Depth=4
	flat_load_b64 v[18:19], v[6:7] offset:-4
	v_add_co_u32 v6, vcc_lo, v6, -8
	s_wait_alu 0xfffd
	v_add_co_ci_u32_e64 v7, null, -1, v7, vcc_lo
	s_wait_alu 0xfffe
	s_add_co_i32 s19, s19, -1
	s_mov_b32 s20, s18
	s_add_co_i32 s18, s18, 8
	s_wait_alu 0xfffe
	s_cmp_eq_u32 s19, 0
	s_wait_loadcnt_dscnt 0x0
	v_mul_f32_e32 v20, s16, v19
	s_delay_alu instid0(VALU_DEP_1) | instskip(NEXT) | instid1(VALU_DEP_1)
	v_dual_mul_f32 v21, s17, v19 :: v_dual_fmac_f32 v20, s17, v18
	v_fma_f32 v19, v18, s16, -v21
	scratch_store_b64 off, v[19:20], s20 offset:-4
	s_cbranch_scc0 .LBB171_27
; %bb.28:                               ;   in Loop: Header=BB171_26 Depth=3
	s_cmp_le_i32 s27, s14
	s_mov_b32 s20, s37
	s_mov_b32 s18, s27
	s_cbranch_scc1 .LBB171_32
.LBB171_29:                             ;   Parent Loop BB171_4 Depth=1
                                        ;     Parent Loop BB171_23 Depth=2
                                        ;       Parent Loop BB171_26 Depth=3
                                        ; =>      This Loop Header: Depth=4
                                        ;           Child Loop BB171_30 Depth 5
	s_wait_alu 0xfffe
	s_ashr_i32 s19, s18, 31
	s_mov_b32 s21, s20
	s_wait_alu 0xfffe
	s_lshl_b64 s[42:43], s[18:19], 3
	s_mov_b32 s19, s30
	s_wait_alu 0xfffe
	v_add_co_u32 v6, vcc_lo, v8, s42
	s_wait_alu 0xfffd
	v_add_co_ci_u32_e64 v7, null, s43, v9, vcc_lo
	s_mov_b32 s41, s36
	flat_load_b64 v[6:7], v[6:7]
.LBB171_30:                             ;   Parent Loop BB171_4 Depth=1
                                        ;     Parent Loop BB171_23 Depth=2
                                        ;       Parent Loop BB171_26 Depth=3
                                        ;         Parent Loop BB171_29 Depth=4
                                        ; =>        This Inner Loop Header: Depth=5
	scratch_load_b64 v[18:19], off, s19 offset:-4
	v_mov_b32_e32 v20, s21
	s_wait_alu 0xfffe
	s_add_co_i32 s41, s41, -1
	s_addk_co_i32 s21, 0xff00
	ds_load_b64 v[20:21], v20
	s_wait_loadcnt_dscnt 0x100
	v_mul_f32_e32 v22, v21, v7
	v_mul_f32_e32 v21, v21, v6
	s_delay_alu instid0(VALU_DEP_1) | instskip(SKIP_1) | instid1(VALU_DEP_1)
	v_fmac_f32_e32 v21, v20, v7
	s_wait_loadcnt 0x0
	v_sub_f32_e32 v19, v19, v21
	v_fma_f32 v22, v20, v6, -v22
	s_delay_alu instid0(VALU_DEP_1)
	v_sub_f32_e32 v18, v18, v22
	scratch_store_b64 off, v[18:19], s19 offset:-4
	s_add_co_i32 s19, s19, 8
	s_wait_alu 0xfffe
	s_cmp_eq_u32 s41, 0
	s_cbranch_scc0 .LBB171_30
; %bb.31:                               ;   in Loop: Header=BB171_29 Depth=4
	s_add_co_i32 s18, s18, -1
	s_add_co_i32 s20, s20, -8
	s_wait_alu 0xfffe
	s_cmp_le_i32 s18, s14
	s_cbranch_scc0 .LBB171_29
.LBB171_32:                             ;   in Loop: Header=BB171_26 Depth=3
	s_mov_b32 s41, 0
	s_mov_b32 s42, s39
	s_branch .LBB171_34
.LBB171_33:                             ;   in Loop: Header=BB171_34 Depth=4
	s_wait_alu 0xfffe
	s_mulk_i32 s20, 0x108
	s_lshl_b64 s[18:19], s[18:19], 3
	s_wait_alu 0xfffe
	v_mov_b32_e32 v18, s20
	s_lshl_b32 s20, s41, 3
	s_add_co_i32 s41, s41, 1
	s_addk_co_i32 s42, 0xff00
	s_wait_alu 0xfffe
	s_cmp_eq_u32 s41, s36
	ds_load_b64 v[18:19], v18
	s_wait_loadcnt_dscnt 0x0
	v_mul_f32_e32 v20, v19, v7
	v_mul_f32_e32 v21, v18, v7
	s_delay_alu instid0(VALU_DEP_2) | instskip(NEXT) | instid1(VALU_DEP_2)
	v_fma_f32 v20, v18, v6, -v20
	v_fmac_f32_e32 v21, v19, v6
	v_add_co_u32 v6, vcc_lo, v8, s18
	s_wait_alu 0xfffd
	v_add_co_ci_u32_e64 v7, null, s19, v9, vcc_lo
	scratch_store_b64 off, v[20:21], s20
	flat_store_b64 v[6:7], v[20:21]
	s_cbranch_scc1 .LBB171_25
.LBB171_34:                             ;   Parent Loop BB171_4 Depth=1
                                        ;     Parent Loop BB171_23 Depth=2
                                        ;       Parent Loop BB171_26 Depth=3
                                        ; =>      This Loop Header: Depth=4
                                        ;           Child Loop BB171_36 Depth 5
	s_wait_alu 0xfffe
	s_cmp_lg_u32 s41, 0
	s_cbranch_scc0 .LBB171_38
; %bb.35:                               ;   in Loop: Header=BB171_34 Depth=4
	s_lshl_b32 s18, s41, 3
	s_mov_b32 s19, 0
	scratch_load_b64 v[6:7], off, s18
	s_mov_b32 s20, s42
	s_mov_b32 s21, s41
.LBB171_36:                             ;   Parent Loop BB171_4 Depth=1
                                        ;     Parent Loop BB171_23 Depth=2
                                        ;       Parent Loop BB171_26 Depth=3
                                        ;         Parent Loop BB171_34 Depth=4
                                        ; =>        This Inner Loop Header: Depth=5
	scratch_load_b64 v[18:19], off, s19
	s_wait_alu 0xfffe
	v_mov_b32_e32 v20, s20
	s_add_co_i32 s21, s21, -1
	s_add_co_i32 s20, s20, -8
	s_add_co_i32 s19, s19, 8
	s_wait_alu 0xfffe
	s_cmp_eq_u32 s21, 0
	ds_load_b64 v[20:21], v20
	s_wait_loadcnt_dscnt 0x0
	v_mul_f32_e32 v22, v21, v19
	v_mul_f32_e32 v19, v20, v19
	s_delay_alu instid0(VALU_DEP_2) | instskip(NEXT) | instid1(VALU_DEP_1)
	v_fma_f32 v20, v20, v18, -v22
	v_dual_sub_f32 v6, v6, v20 :: v_dual_fmac_f32 v19, v21, v18
	s_delay_alu instid0(VALU_DEP_1)
	v_sub_f32_e32 v7, v7, v19
	scratch_store_b64 off, v[6:7], s18
	s_cbranch_scc0 .LBB171_36
; %bb.37:                               ;   in Loop: Header=BB171_34 Depth=4
	s_sub_co_i32 s20, s14, s41
	s_wait_alu 0xfffe
	s_ashr_i32 s21, s20, 31
	s_wait_alu 0xfffe
	s_mov_b64 s[18:19], s[20:21]
	s_branch .LBB171_33
.LBB171_38:                             ;   in Loop: Header=BB171_34 Depth=4
                                        ; implicit-def: $vgpr6
                                        ; implicit-def: $sgpr20
                                        ; implicit-def: $sgpr18_sgpr19
	s_cbranch_execz .LBB171_33
; %bb.39:                               ;   in Loop: Header=BB171_34 Depth=4
	scratch_load_b64 v[6:7], off, off
	s_mov_b64 s[18:19], s[14:15]
	s_mov_b32 s20, s14
	s_branch .LBB171_33
.LBB171_40:                             ;   in Loop: Header=BB171_4 Depth=1
	s_mov_b32 s12, 0
.LBB171_41:                             ;   in Loop: Header=BB171_4 Depth=1
	s_wait_alu 0xfffe
	s_and_b32 vcc_lo, exec_lo, s12
	s_wait_alu 0xfffe
	s_cbranch_vccz .LBB171_2
; %bb.42:                               ;   in Loop: Header=BB171_4 Depth=1
	v_add_co_u32 v16, vcc_lo, v4, v15
	s_wait_alu 0xfffd
	v_add_co_ci_u32_e64 v17, null, v5, v14, vcc_lo
	s_mov_b32 s14, 0
	s_mov_b32 s18, 0
	s_branch .LBB171_44
.LBB171_43:                             ;   in Loop: Header=BB171_44 Depth=2
	s_cmp_lt_i32 s14, s26
	s_cselect_b32 s12, -1, 0
	s_add_co_i32 s15, s18, 1
	s_cmp_lt_u32 s18, 2
	s_cselect_b32 s18, -1, 0
	s_wait_alu 0xfffe
	s_and_b32 s12, s12, s18
	s_mov_b32 s18, s15
	s_wait_alu 0xfffe
	s_and_not1_b32 vcc_lo, exec_lo, s12
	s_wait_alu 0xfffe
	s_cbranch_vccnz .LBB171_2
.LBB171_44:                             ;   Parent Loop BB171_4 Depth=1
                                        ; =>  This Loop Header: Depth=2
                                        ;       Child Loop BB171_47 Depth 3
                                        ;         Child Loop BB171_48 Depth 4
                                        ;         Child Loop BB171_51 Depth 4
                                        ;           Child Loop BB171_52 Depth 5
                                        ;         Child Loop BB171_56 Depth 4
                                        ;           Child Loop BB171_58 Depth 5
	s_mov_b32 s19, s13
	s_getpc_b64 s[20:21]
	s_wait_alu 0xfffe
	s_sext_i32_i16 s21, s21
	s_add_co_u32 s20, s20, __const._ZL30rocblas_trsm_small_left_deviceILi32ELi32ELb1E19rocblas_complex_numIfES1_PKPKS1_PKPS1_Ev13rocblas_fill_18rocblas_operation_17rocblas_diagonal_iiT3_T4_lilT5_lili.step_sizes@rel32@lo+12
	s_wait_alu 0xfffe
	s_add_co_ci_u32 s21, s21, __const._ZL30rocblas_trsm_small_left_deviceILi32ELi32ELb1E19rocblas_complex_numIfES1_PKPKS1_PKPS1_Ev13rocblas_fill_18rocblas_operation_17rocblas_diagonal_iiT3_T4_lilT5_lili.step_sizes@rel32@hi+24
	s_lshl_b64 s[22:23], s[18:19], 2
	s_wait_alu 0xfffe
	s_add_nc_u64 s[20:21], s[20:21], s[22:23]
	s_load_b32 s20, s[20:21], 0x0
	s_wait_kmcnt 0x0
	s_add_co_i32 s19, s20, -1
	s_wait_alu 0xfffe
	s_add_co_i32 s12, s19, s14
	s_wait_alu 0xfffe
	s_cmp_ge_i32 s12, s26
	s_cbranch_scc1 .LBB171_43
; %bb.45:                               ;   in Loop: Header=BB171_44 Depth=2
	s_ashr_i32 s15, s14, 31
	s_ashr_i32 s21, s20, 31
	s_lshl_b64 s[22:23], s[14:15], 3
	s_max_i32 s36, s20, 1
	s_wait_alu 0xfffe
	v_add_co_u32 v4, vcc_lo, v16, s22
	s_wait_alu 0xfffd
	v_add_co_ci_u32_e64 v5, null, s23, v17, vcc_lo
	s_lshl_b64 s[22:23], s[20:21], 3
	s_lshl_b32 s15, s14, 3
	s_lshl_b32 s21, s20, 3
	s_mul_i32 s37, s14, 0x108
	s_mul_i32 s38, s20, 0x108
	s_branch .LBB171_47
.LBB171_46:                             ;   in Loop: Header=BB171_47 Depth=3
	v_add_co_u32 v4, vcc_lo, v4, s22
	s_add_co_i32 s14, s14, s20
	s_wait_alu 0xfffd
	v_add_co_ci_u32_e64 v5, null, s23, v5, vcc_lo
	s_add_co_i32 s12, s19, s14
	s_add_co_i32 s15, s15, s21
	s_add_co_i32 s37, s37, s38
	s_wait_alu 0xfffe
	s_cmp_ge_i32 s12, s26
	s_cbranch_scc1 .LBB171_43
.LBB171_47:                             ;   Parent Loop BB171_4 Depth=1
                                        ;     Parent Loop BB171_44 Depth=2
                                        ; =>    This Loop Header: Depth=3
                                        ;         Child Loop BB171_48 Depth 4
                                        ;         Child Loop BB171_51 Depth 4
                                        ;           Child Loop BB171_52 Depth 5
                                        ;         Child Loop BB171_56 Depth 4
                                        ;           Child Loop BB171_58 Depth 5
	v_dual_mov_b32 v7, v5 :: v_dual_mov_b32 v6, v4
	s_mov_b32 s12, 4
	s_mov_b32 s39, s36
.LBB171_48:                             ;   Parent Loop BB171_4 Depth=1
                                        ;     Parent Loop BB171_44 Depth=2
                                        ;       Parent Loop BB171_47 Depth=3
                                        ; =>      This Inner Loop Header: Depth=4
	flat_load_b64 v[18:19], v[6:7] offset:-4
	v_add_co_u32 v6, vcc_lo, v6, 8
	s_wait_alu 0xfffd
	v_add_co_ci_u32_e64 v7, null, 0, v7, vcc_lo
	s_add_co_i32 s39, s39, -1
	s_wait_alu 0xfffe
	s_mov_b32 s40, s12
	s_add_co_i32 s12, s12, 8
	s_cmp_eq_u32 s39, 0
	s_wait_loadcnt_dscnt 0x0
	v_mul_f32_e32 v20, s16, v19
	s_delay_alu instid0(VALU_DEP_1) | instskip(NEXT) | instid1(VALU_DEP_1)
	v_dual_mul_f32 v21, s17, v19 :: v_dual_fmac_f32 v20, s17, v18
	v_fma_f32 v19, v18, s16, -v21
	scratch_store_b64 off, v[19:20], s40 offset:-4
	s_cbranch_scc0 .LBB171_48
; %bb.49:                               ;   in Loop: Header=BB171_47 Depth=3
	s_cmp_lt_i32 s14, 1
	s_cbranch_scc1 .LBB171_54
; %bb.50:                               ;   in Loop: Header=BB171_47 Depth=3
	s_mov_b32 s12, 0
	s_mov_b32 s39, s15
.LBB171_51:                             ;   Parent Loop BB171_4 Depth=1
                                        ;     Parent Loop BB171_44 Depth=2
                                        ;       Parent Loop BB171_47 Depth=3
                                        ; =>      This Loop Header: Depth=4
                                        ;           Child Loop BB171_52 Depth 5
	s_wait_alu 0xfffe
	s_lshl_b64 s[40:41], s[12:13], 3
	s_mov_b32 s42, s36
	s_wait_alu 0xfffe
	v_add_co_u32 v6, vcc_lo, v8, s40
	s_wait_alu 0xfffd
	v_add_co_ci_u32_e64 v7, null, s41, v9, vcc_lo
	s_mov_b32 s40, s30
	s_mov_b32 s41, s39
	flat_load_b64 v[6:7], v[6:7]
.LBB171_52:                             ;   Parent Loop BB171_4 Depth=1
                                        ;     Parent Loop BB171_44 Depth=2
                                        ;       Parent Loop BB171_47 Depth=3
                                        ;         Parent Loop BB171_51 Depth=4
                                        ; =>        This Inner Loop Header: Depth=5
	scratch_load_b64 v[18:19], off, s40 offset:-4
	s_wait_alu 0xfffe
	v_mov_b32_e32 v20, s41
	s_add_co_i32 s42, s42, -1
	s_add_co_i32 s41, s41, 8
	ds_load_b64 v[20:21], v20
	s_wait_loadcnt_dscnt 0x100
	v_mul_f32_e32 v22, v21, v7
	v_mul_f32_e32 v21, v21, v6
	s_delay_alu instid0(VALU_DEP_1) | instskip(SKIP_1) | instid1(VALU_DEP_1)
	v_fmac_f32_e32 v21, v20, v7
	s_wait_loadcnt 0x0
	v_sub_f32_e32 v19, v19, v21
	v_fma_f32 v22, v20, v6, -v22
	s_delay_alu instid0(VALU_DEP_1)
	v_sub_f32_e32 v18, v18, v22
	scratch_store_b64 off, v[18:19], s40 offset:-4
	s_add_co_i32 s40, s40, 8
	s_wait_alu 0xfffe
	s_cmp_eq_u32 s42, 0
	s_cbranch_scc0 .LBB171_52
; %bb.53:                               ;   in Loop: Header=BB171_51 Depth=4
	s_add_co_i32 s12, s12, 1
	s_addk_co_i32 s39, 0x100
	s_wait_alu 0xfffe
	s_cmp_eq_u32 s12, s14
	s_cbranch_scc0 .LBB171_51
.LBB171_54:                             ;   in Loop: Header=BB171_47 Depth=3
	s_mov_b32 s12, 0
	s_mov_b32 s39, s37
	s_branch .LBB171_56
.LBB171_55:                             ;   in Loop: Header=BB171_56 Depth=4
	s_add_co_i32 s40, s12, s14
	s_lshl_b32 s42, s12, 3
	s_wait_alu 0xfffe
	s_mul_i32 s41, s40, 0x108
	s_add_co_i32 s12, s12, 1
	s_wait_alu 0xfffe
	v_mov_b32_e32 v18, s41
	s_ashr_i32 s41, s40, 31
	s_add_co_i32 s39, s39, 8
	s_wait_alu 0xfffe
	s_lshl_b64 s[40:41], s[40:41], 3
	s_cmp_eq_u32 s12, s36
	ds_load_b64 v[18:19], v18
	s_wait_loadcnt_dscnt 0x0
	v_mul_f32_e32 v20, v19, v7
	v_mul_f32_e32 v21, v18, v7
	s_delay_alu instid0(VALU_DEP_2) | instskip(NEXT) | instid1(VALU_DEP_2)
	v_fma_f32 v20, v18, v6, -v20
	v_fmac_f32_e32 v21, v19, v6
	s_wait_alu 0xfffe
	v_add_co_u32 v6, vcc_lo, v8, s40
	s_wait_alu 0xfffd
	v_add_co_ci_u32_e64 v7, null, s41, v9, vcc_lo
	scratch_store_b64 off, v[20:21], s42
	flat_store_b64 v[6:7], v[20:21]
	s_cbranch_scc1 .LBB171_46
.LBB171_56:                             ;   Parent Loop BB171_4 Depth=1
                                        ;     Parent Loop BB171_44 Depth=2
                                        ;       Parent Loop BB171_47 Depth=3
                                        ; =>      This Loop Header: Depth=4
                                        ;           Child Loop BB171_58 Depth 5
	s_wait_alu 0xfffe
	s_cmp_lg_u32 s12, 0
	s_cbranch_scc0 .LBB171_60
; %bb.57:                               ;   in Loop: Header=BB171_56 Depth=4
	s_lshl_b32 s40, s12, 3
	s_mov_b32 s41, 0
	scratch_load_b64 v[6:7], off, s40
	s_mov_b32 s42, s39
	s_mov_b32 s43, s12
.LBB171_58:                             ;   Parent Loop BB171_4 Depth=1
                                        ;     Parent Loop BB171_44 Depth=2
                                        ;       Parent Loop BB171_47 Depth=3
                                        ;         Parent Loop BB171_56 Depth=4
                                        ; =>        This Inner Loop Header: Depth=5
	scratch_load_b64 v[18:19], off, s41
	s_wait_alu 0xfffe
	v_mov_b32_e32 v20, s42
	s_add_co_i32 s43, s43, -1
	s_addk_co_i32 s42, 0x100
	s_add_co_i32 s41, s41, 8
	s_wait_alu 0xfffe
	s_cmp_eq_u32 s43, 0
	ds_load_b64 v[20:21], v20
	s_wait_loadcnt_dscnt 0x0
	v_mul_f32_e32 v22, v21, v19
	v_mul_f32_e32 v19, v20, v19
	s_delay_alu instid0(VALU_DEP_2) | instskip(NEXT) | instid1(VALU_DEP_1)
	v_fma_f32 v20, v20, v18, -v22
	v_dual_sub_f32 v6, v6, v20 :: v_dual_fmac_f32 v19, v21, v18
	s_delay_alu instid0(VALU_DEP_1)
	v_sub_f32_e32 v7, v7, v19
	scratch_store_b64 off, v[6:7], s40
	s_cbranch_scc0 .LBB171_58
; %bb.59:                               ;   in Loop: Header=BB171_56 Depth=4
	s_branch .LBB171_55
.LBB171_60:                             ;   in Loop: Header=BB171_56 Depth=4
                                        ; implicit-def: $vgpr6
	s_cbranch_execz .LBB171_55
; %bb.61:                               ;   in Loop: Header=BB171_56 Depth=4
	scratch_load_b64 v[6:7], off, off
	s_branch .LBB171_55
.LBB171_62:
	s_or_b32 exec_lo, exec_lo, s33
	s_and_saveexec_b32 s0, s34
	s_wait_alu 0xfffe
	s_xor_b32 s0, exec_lo, s0
.LBB171_63:
	s_endpgm
	.section	.rodata,"a",@progbits
	.p2align	6, 0x0
	.amdhsa_kernel _ZL30rocblas_trsm_small_left_deviceILi32ELi32ELb1E19rocblas_complex_numIfES1_PKPKS1_PKPS1_Ev13rocblas_fill_18rocblas_operation_17rocblas_diagonal_iiT3_T4_lilT5_lili
		.amdhsa_group_segment_fixed_size 8192
		.amdhsa_private_segment_fixed_size 272
		.amdhsa_kernarg_size 360
		.amdhsa_user_sgpr_count 2
		.amdhsa_user_sgpr_dispatch_ptr 0
		.amdhsa_user_sgpr_queue_ptr 0
		.amdhsa_user_sgpr_kernarg_segment_ptr 1
		.amdhsa_user_sgpr_dispatch_id 0
		.amdhsa_user_sgpr_private_segment_size 0
		.amdhsa_wavefront_size32 1
		.amdhsa_uses_dynamic_stack 0
		.amdhsa_enable_private_segment 1
		.amdhsa_system_sgpr_workgroup_id_x 1
		.amdhsa_system_sgpr_workgroup_id_y 0
		.amdhsa_system_sgpr_workgroup_id_z 1
		.amdhsa_system_sgpr_workgroup_info 0
		.amdhsa_system_vgpr_workitem_id 0
		.amdhsa_next_free_vgpr 241
		.amdhsa_next_free_sgpr 44
		.amdhsa_reserve_vcc 1
		.amdhsa_float_round_mode_32 0
		.amdhsa_float_round_mode_16_64 0
		.amdhsa_float_denorm_mode_32 3
		.amdhsa_float_denorm_mode_16_64 3
		.amdhsa_fp16_overflow 0
		.amdhsa_workgroup_processor_mode 1
		.amdhsa_memory_ordered 1
		.amdhsa_forward_progress 1
		.amdhsa_inst_pref_size 25
		.amdhsa_round_robin_scheduling 0
		.amdhsa_exception_fp_ieee_invalid_op 0
		.amdhsa_exception_fp_denorm_src 0
		.amdhsa_exception_fp_ieee_div_zero 0
		.amdhsa_exception_fp_ieee_overflow 0
		.amdhsa_exception_fp_ieee_underflow 0
		.amdhsa_exception_fp_ieee_inexact 0
		.amdhsa_exception_int_div_zero 0
	.end_amdhsa_kernel
	.section	.text._ZL30rocblas_trsm_small_left_deviceILi32ELi32ELb1E19rocblas_complex_numIfES1_PKPKS1_PKPS1_Ev13rocblas_fill_18rocblas_operation_17rocblas_diagonal_iiT3_T4_lilT5_lili,"axG",@progbits,_ZL30rocblas_trsm_small_left_deviceILi32ELi32ELb1E19rocblas_complex_numIfES1_PKPKS1_PKPS1_Ev13rocblas_fill_18rocblas_operation_17rocblas_diagonal_iiT3_T4_lilT5_lili,comdat
.Lfunc_end171:
	.size	_ZL30rocblas_trsm_small_left_deviceILi32ELi32ELb1E19rocblas_complex_numIfES1_PKPKS1_PKPS1_Ev13rocblas_fill_18rocblas_operation_17rocblas_diagonal_iiT3_T4_lilT5_lili, .Lfunc_end171-_ZL30rocblas_trsm_small_left_deviceILi32ELi32ELb1E19rocblas_complex_numIfES1_PKPKS1_PKPS1_Ev13rocblas_fill_18rocblas_operation_17rocblas_diagonal_iiT3_T4_lilT5_lili
                                        ; -- End function
	.set _ZL30rocblas_trsm_small_left_deviceILi32ELi32ELb1E19rocblas_complex_numIfES1_PKPKS1_PKPS1_Ev13rocblas_fill_18rocblas_operation_17rocblas_diagonal_iiT3_T4_lilT5_lili.num_vgpr, 23
	.set _ZL30rocblas_trsm_small_left_deviceILi32ELi32ELb1E19rocblas_complex_numIfES1_PKPKS1_PKPS1_Ev13rocblas_fill_18rocblas_operation_17rocblas_diagonal_iiT3_T4_lilT5_lili.num_agpr, 0
	.set _ZL30rocblas_trsm_small_left_deviceILi32ELi32ELb1E19rocblas_complex_numIfES1_PKPKS1_PKPS1_Ev13rocblas_fill_18rocblas_operation_17rocblas_diagonal_iiT3_T4_lilT5_lili.numbered_sgpr, 44
	.set _ZL30rocblas_trsm_small_left_deviceILi32ELi32ELb1E19rocblas_complex_numIfES1_PKPKS1_PKPS1_Ev13rocblas_fill_18rocblas_operation_17rocblas_diagonal_iiT3_T4_lilT5_lili.num_named_barrier, 0
	.set _ZL30rocblas_trsm_small_left_deviceILi32ELi32ELb1E19rocblas_complex_numIfES1_PKPKS1_PKPS1_Ev13rocblas_fill_18rocblas_operation_17rocblas_diagonal_iiT3_T4_lilT5_lili.private_seg_size, 272
	.set _ZL30rocblas_trsm_small_left_deviceILi32ELi32ELb1E19rocblas_complex_numIfES1_PKPKS1_PKPS1_Ev13rocblas_fill_18rocblas_operation_17rocblas_diagonal_iiT3_T4_lilT5_lili.uses_vcc, 1
	.set _ZL30rocblas_trsm_small_left_deviceILi32ELi32ELb1E19rocblas_complex_numIfES1_PKPKS1_PKPS1_Ev13rocblas_fill_18rocblas_operation_17rocblas_diagonal_iiT3_T4_lilT5_lili.uses_flat_scratch, 0
	.set _ZL30rocblas_trsm_small_left_deviceILi32ELi32ELb1E19rocblas_complex_numIfES1_PKPKS1_PKPS1_Ev13rocblas_fill_18rocblas_operation_17rocblas_diagonal_iiT3_T4_lilT5_lili.has_dyn_sized_stack, 0
	.set _ZL30rocblas_trsm_small_left_deviceILi32ELi32ELb1E19rocblas_complex_numIfES1_PKPKS1_PKPS1_Ev13rocblas_fill_18rocblas_operation_17rocblas_diagonal_iiT3_T4_lilT5_lili.has_recursion, 0
	.set _ZL30rocblas_trsm_small_left_deviceILi32ELi32ELb1E19rocblas_complex_numIfES1_PKPKS1_PKPS1_Ev13rocblas_fill_18rocblas_operation_17rocblas_diagonal_iiT3_T4_lilT5_lili.has_indirect_call, 0
	.section	.AMDGPU.csdata,"",@progbits
; Kernel info:
; codeLenInByte = 3124
; TotalNumSgprs: 46
; NumVgprs: 23
; ScratchSize: 272
; MemoryBound: 0
; FloatMode: 240
; IeeeMode: 1
; LDSByteSize: 8192 bytes/workgroup (compile time only)
; SGPRBlocks: 0
; VGPRBlocks: 30
; NumSGPRsForWavesPerEU: 46
; NumVGPRsForWavesPerEU: 241
; Occupancy: 4
; WaveLimiterHint : 1
; COMPUTE_PGM_RSRC2:SCRATCH_EN: 1
; COMPUTE_PGM_RSRC2:USER_SGPR: 2
; COMPUTE_PGM_RSRC2:TRAP_HANDLER: 0
; COMPUTE_PGM_RSRC2:TGID_X_EN: 1
; COMPUTE_PGM_RSRC2:TGID_Y_EN: 0
; COMPUTE_PGM_RSRC2:TGID_Z_EN: 1
; COMPUTE_PGM_RSRC2:TIDIG_COMP_CNT: 0
	.section	.text._ZL31rocblas_trsm_small_right_deviceI19rocblas_complex_numIfES1_PKPKS1_PKPS1_Li32EEv13rocblas_fill_18rocblas_operation_17rocblas_diagonal_iiT0_T1_lilT2_lili,"axG",@progbits,_ZL31rocblas_trsm_small_right_deviceI19rocblas_complex_numIfES1_PKPKS1_PKPS1_Li32EEv13rocblas_fill_18rocblas_operation_17rocblas_diagonal_iiT0_T1_lilT2_lili,comdat
	.globl	_ZL31rocblas_trsm_small_right_deviceI19rocblas_complex_numIfES1_PKPKS1_PKPS1_Li32EEv13rocblas_fill_18rocblas_operation_17rocblas_diagonal_iiT0_T1_lilT2_lili ; -- Begin function _ZL31rocblas_trsm_small_right_deviceI19rocblas_complex_numIfES1_PKPKS1_PKPS1_Li32EEv13rocblas_fill_18rocblas_operation_17rocblas_diagonal_iiT0_T1_lilT2_lili
	.p2align	8
	.type	_ZL31rocblas_trsm_small_right_deviceI19rocblas_complex_numIfES1_PKPKS1_PKPS1_Li32EEv13rocblas_fill_18rocblas_operation_17rocblas_diagonal_iiT0_T1_lilT2_lili,@function
_ZL31rocblas_trsm_small_right_deviceI19rocblas_complex_numIfES1_PKPKS1_PKPS1_Li32EEv13rocblas_fill_18rocblas_operation_17rocblas_diagonal_iiT0_T1_lilT2_lili: ; @_ZL31rocblas_trsm_small_right_deviceI19rocblas_complex_numIfES1_PKPKS1_PKPS1_Li32EEv13rocblas_fill_18rocblas_operation_17rocblas_diagonal_iiT0_T1_lilT2_lili
; %bb.0:
	s_load_b32 s19, s[0:1], 0x60
	s_lshr_b32 s2, ttmp7, 16
	s_wait_kmcnt 0x0
	s_cmp_ge_u32 s2, s19
	s_cbranch_scc1 .LBB172_150
; %bb.1:
	s_clause 0x6
	s_load_b32 s22, s[0:1], 0x30
	s_load_b32 s24, s[0:1], 0x50
	s_load_b128 s[12:15], s[0:1], 0x0
	s_load_b96 s[16:18], s[0:1], 0x10
	s_load_b32 s3, s[0:1], 0x68
	s_load_b128 s[4:7], s[0:1], 0x20
	s_load_b128 s[8:11], s[0:1], 0x40
	s_mov_b32 s20, ttmp9
	v_dual_mov_b32 v5, 0 :: v_dual_lshlrev_b32 v16, 3, v0
	v_dual_mov_b32 v4, 1.0 :: v_dual_lshlrev_b32 v1, 8, v0
	v_lshlrev_b32_e32 v25, 3, v0
	s_delay_alu instid0(VALU_DEP_3) | instskip(NEXT) | instid1(VALU_DEP_3)
	v_or_b32_e32 v17, 0x2000, v16
	v_add_nc_u32_e32 v24, v16, v1
	s_wait_kmcnt 0x0
	s_ashr_i32 s23, s22, 31
	s_ashr_i32 s25, s24, 31
	s_cmp_lg_u32 s12, 0x7a
	s_cselect_b32 s29, -1, 0
	s_cmp_lg_u32 s13, 0x71
	s_cselect_b32 s1, -1, 0
	s_min_i32 s26, s16, 32
	s_lshl_b32 s0, ttmp9, 5
	s_add_co_i32 s3, s3, -1
	s_add_co_i32 s27, s26, -1
	s_sub_co_i32 s0, s15, s0
	s_cmp_ge_u32 ttmp9, s3
	s_mov_b32 s3, 0
	s_cselect_b32 s0, s0, 32
	s_ashr_i32 s21, ttmp9, 31
	v_cmp_gt_i32_e32 vcc_lo, s0, v0
	s_lshl_b64 s[20:21], s[20:21], 8
	s_cmp_eq_u32 s14, 0x84
	s_cselect_b32 s28, -1, 0
	s_cmp_gt_i32 s16, 0
	s_cselect_b32 s14, -1, 0
	s_cmp_lg_u32 s13, 0x6f
	s_cselect_b32 s13, -1, 0
	s_cmp_lg_u32 s12, 0x79
	s_cselect_b32 s0, -1, 0
	s_or_b32 s29, s29, s13
	s_wait_alu 0xfffe
	s_or_b32 s30, s0, s13
	s_cmp_gt_i32 s16, 3
	v_cndmask_b32_e64 v18, 0, 1, s0
	s_cselect_b32 s31, -1, 0
	s_lshl_b64 s[12:13], s[6:7], 3
	s_lshl_b64 s[10:11], s[10:11], 3
	v_add_co_u32 v2, s12, s12, v16
	s_lshl_b64 s[6:7], s[22:23], 3
	s_wait_alu 0xf1ff
	v_add_co_ci_u32_e64 v19, null, s13, 0, s12
	s_add_nc_u64 s[12:13], s[20:21], s[10:11]
	s_lshl_b32 s23, s26, 8
	v_or_b32_e32 v20, 4, v2
	s_wait_alu 0xfffe
	v_add_co_u32 v2, s12, s12, v16
	v_or_b32_e32 v3, s23, v16
	v_cmp_gt_i32_e64 s0, s26, v0
	s_wait_alu 0xf1ff
	v_add_co_ci_u32_e64 v21, null, s13, 0, s12
	v_or_b32_e32 v22, 4, v2
	v_add_nc_u32_e32 v23, 0x1f00, v3
	s_and_b32 s33, vcc_lo, s14
	s_mul_i32 s14, s26, 0x108
	s_lshl_b64 s[12:13], s[24:25], 3
	s_lshl_b32 s25, s26, 3
	s_add_co_i32 s22, s14, 0xfffffee0
	s_addk_co_i32 s23, 0xff00
	s_add_co_i32 s24, s14, 0xfffffbf8
	s_add_co_i32 s25, s25, -8
	s_branch .LBB172_3
.LBB172_2:                              ;   in Loop: Header=BB172_3 Depth=1
	s_wait_alu 0xfffe
	s_or_b32 exec_lo, exec_lo, s14
	s_add_co_i32 s2, s2, 0x10000
	s_delay_alu instid0(SALU_CYCLE_1)
	s_cmp_lt_u32 s2, s19
	s_cbranch_scc0 .LBB172_150
.LBB172_3:                              ; =>This Loop Header: Depth=1
                                        ;     Child Loop BB172_6 Depth 2
                                        ;     Child Loop BB172_14 Depth 2
	;; [unrolled: 1-line block ×3, first 2 shown]
                                        ;       Child Loop BB172_21 Depth 3
                                        ;     Child Loop BB172_43 Depth 2
                                        ;       Child Loop BB172_44 Depth 3
                                        ;     Child Loop BB172_52 Depth 2
	;; [unrolled: 2-line block ×8, first 2 shown]
	s_lshl_b64 s[14:15], s[2:3], 3
	s_wait_alu 0xfffe
	s_add_nc_u64 s[34:35], s[8:9], s[14:15]
	global_load_b64 v[6:7], v5, s[34:35]
	s_and_saveexec_b32 s34, s0
	s_cbranch_execz .LBB172_12
; %bb.4:                                ;   in Loop: Header=BB172_3 Depth=1
	s_add_nc_u64 s[14:15], s[4:5], s[14:15]
	v_mov_b32_e32 v8, v16
	global_load_b64 v[0:1], v5, s[14:15]
	s_mov_b32 s14, s26
	s_wait_loadcnt 0x0
	v_add_co_u32 v0, vcc_lo, v0, v20
	s_wait_alu 0xfffd
	v_add_co_ci_u32_e64 v1, null, v1, v19, vcc_lo
	s_branch .LBB172_6
.LBB172_5:                              ;   in Loop: Header=BB172_6 Depth=2
	flat_load_b32 v2, v[0:1] offset:-4
	v_add_co_u32 v0, vcc_lo, v0, s6
	s_wait_alu 0xfffd
	v_add_co_ci_u32_e64 v1, null, s7, v1, vcc_lo
	s_add_co_i32 s14, s14, -1
	s_wait_alu 0xfffe
	s_cmp_eq_u32 s14, 0
	s_wait_loadcnt_dscnt 0x0
	ds_store_b64 v8, v[2:3]
	v_add_nc_u32_e32 v8, 0x100, v8
	s_cbranch_scc1 .LBB172_10
.LBB172_6:                              ;   Parent Loop BB172_3 Depth=1
                                        ; =>  This Inner Loop Header: Depth=2
	s_and_b32 vcc_lo, exec_lo, s1
	s_mov_b32 s15, -1
                                        ; implicit-def: $vgpr3
	s_wait_alu 0xfffe
	s_cbranch_vccz .LBB172_8
; %bb.7:                                ;   in Loop: Header=BB172_6 Depth=2
	flat_load_b32 v3, v[0:1]
	s_mov_b32 s15, 0
.LBB172_8:                              ;   in Loop: Header=BB172_6 Depth=2
	s_wait_alu 0xfffe
	s_and_not1_b32 vcc_lo, exec_lo, s15
	s_wait_alu 0xfffe
	s_cbranch_vccnz .LBB172_5
; %bb.9:                                ;   in Loop: Header=BB172_6 Depth=2
	flat_load_b32 v2, v[0:1]
	s_wait_loadcnt_dscnt 0x0
	v_xor_b32_e32 v3, 0x80000000, v2
	s_branch .LBB172_5
.LBB172_10:                             ;   in Loop: Header=BB172_3 Depth=1
	s_and_b32 vcc_lo, exec_lo, s28
	s_wait_alu 0xfffe
	s_cbranch_vccz .LBB172_12
; %bb.11:                               ;   in Loop: Header=BB172_3 Depth=1
	ds_store_b64 v24, v[4:5]
.LBB172_12:                             ;   in Loop: Header=BB172_3 Depth=1
	s_wait_alu 0xfffe
	s_or_b32 exec_lo, exec_lo, s34
	s_and_saveexec_b32 s14, s33
	s_cbranch_execz .LBB172_15
; %bb.13:                               ;   in Loop: Header=BB172_3 Depth=1
	s_wait_loadcnt 0x0
	v_add_co_u32 v0, vcc_lo, v6, v22
	s_wait_alu 0xfffd
	v_add_co_ci_u32_e64 v1, null, v7, v21, vcc_lo
	v_mov_b32_e32 v2, v17
	s_mov_b32 s15, s16
.LBB172_14:                             ;   Parent Loop BB172_3 Depth=1
                                        ; =>  This Inner Loop Header: Depth=2
	flat_load_b64 v[8:9], v[0:1] offset:-4
	s_wait_alu 0xfffe
	v_add_co_u32 v0, vcc_lo, v0, s12
	s_wait_alu 0xfffd
	v_add_co_ci_u32_e64 v1, null, s13, v1, vcc_lo
	s_add_co_i32 s15, s15, -1
	s_wait_alu 0xfffe
	s_cmp_lg_u32 s15, 0
	s_wait_loadcnt_dscnt 0x0
	v_mul_f32_e32 v10, s17, v9
	s_delay_alu instid0(VALU_DEP_1) | instskip(NEXT) | instid1(VALU_DEP_1)
	v_dual_mul_f32 v3, s18, v9 :: v_dual_fmac_f32 v10, s18, v8
	v_fma_f32 v9, s17, v8, -v3
	ds_store_b64 v2, v[9:10]
	v_add_nc_u32_e32 v2, 0x100, v2
	s_cbranch_scc1 .LBB172_14
.LBB172_15:                             ;   in Loop: Header=BB172_3 Depth=1
	s_wait_alu 0xfffe
	s_or_b32 exec_lo, exec_lo, s14
	s_delay_alu instid0(SALU_CYCLE_1)
	s_and_b32 vcc_lo, exec_lo, s30
	s_mov_b32 s14, -1
	; wave barrier
	s_wait_loadcnt_dscnt 0x0
	global_inv scope:SCOPE_SE
	s_wait_alu 0xfffe
	s_cbranch_vccz .LBB172_115
; %bb.16:                               ;   in Loop: Header=BB172_3 Depth=1
	s_and_b32 vcc_lo, exec_lo, s29
	s_wait_alu 0xfffe
	s_cbranch_vccz .LBB172_82
; %bb.17:                               ;   in Loop: Header=BB172_3 Depth=1
	v_cmp_ne_u32_e32 vcc_lo, 1, v18
	s_cbranch_vccnz .LBB172_50
; %bb.18:                               ;   in Loop: Header=BB172_3 Depth=1
	s_and_not1_b32 vcc_lo, exec_lo, s31
	s_mov_b32 s34, 0
	s_wait_alu 0xfffe
	s_cbranch_vccnz .LBB172_40
; %bb.19:                               ;   in Loop: Header=BB172_3 Depth=1
	s_mov_b32 s14, 0
	s_mov_b32 s15, 0
.LBB172_20:                             ;   Parent Loop BB172_3 Depth=1
                                        ; =>  This Loop Header: Depth=2
                                        ;       Child Loop BB172_21 Depth 3
	s_wait_alu 0xfffe
	s_lshl_b32 s36, s15, 8
	s_or_b32 s37, s15, 1
	s_wait_alu 0xfffe
	v_dual_mov_b32 v2, v17 :: v_dual_add_nc_u32 v29, s36, v17
	s_or_b32 s34, s15, 2
	v_lshl_add_u32 v28, s37, 8, v17
	s_or_b32 s35, s36, 0x300
	s_wait_alu 0xfffe
	v_lshl_add_u32 v27, s34, 8, v17
	v_add_nc_u32_e32 v26, s35, v17
	ds_load_b64 v[0:1], v29
	ds_load_b64 v[14:15], v28
	;; [unrolled: 1-line block ×4, first 2 shown]
	s_cmp_eq_u32 s15, 0
	s_mov_b32 s35, s14
	s_mov_b32 s38, s15
	s_cbranch_scc1 .LBB172_22
.LBB172_21:                             ;   Parent Loop BB172_3 Depth=1
                                        ;     Parent Loop BB172_20 Depth=2
                                        ; =>    This Inner Loop Header: Depth=3
	s_wait_alu 0xfffe
	v_mov_b32_e32 v3, s35
	s_add_co_i32 s38, s38, -1
	s_addk_co_i32 s35, 0x100
	s_wait_alu 0xfffe
	s_cmp_eq_u32 s38, 0
	ds_load_b64 v[12:13], v2
	ds_load_b128 v[30:33], v3
	ds_load_b128 v[34:37], v3 offset:16
	s_wait_dscnt 0x1
	v_dual_mul_f32 v3, v31, v13 :: v_dual_add_nc_u32 v2, 0x100, v2
	v_mul_f32_e32 v38, v30, v13
	s_wait_dscnt 0x0
	v_mul_f32_e32 v40, v35, v13
	v_mul_f32_e32 v39, v33, v13
	;; [unrolled: 1-line block ×5, first 2 shown]
	v_fma_f32 v3, v30, v12, -v3
	v_mul_f32_e32 v35, v35, v12
	v_fmac_f32_e32 v38, v31, v12
	v_fma_f32 v31, v34, v12, -v40
	v_fma_f32 v30, v32, v12, -v39
	v_fmac_f32_e32 v33, v32, v13
	v_fmac_f32_e32 v37, v36, v13
	v_sub_f32_e32 v0, v0, v3
	v_sub_f32_e32 v10, v10, v31
	v_fma_f32 v12, v36, v12, -v41
	v_fmac_f32_e32 v35, v34, v13
	v_sub_f32_e32 v1, v1, v38
	v_dual_sub_f32 v14, v14, v30 :: v_dual_sub_f32 v15, v15, v33
	s_delay_alu instid0(VALU_DEP_3)
	v_dual_sub_f32 v8, v8, v12 :: v_dual_sub_f32 v11, v11, v35
	v_sub_f32_e32 v9, v9, v37
	s_cbranch_scc0 .LBB172_21
.LBB172_22:                             ;   in Loop: Header=BB172_20 Depth=2
	s_lshl_b32 s35, s15, 3
	s_mov_b32 s38, -1
	s_wait_alu 0xfffe
	s_add_co_i32 s36, s35, s36
	s_wait_alu 0xfffe
	v_mov_b32_e32 v2, s36
	ds_load_b64 v[2:3], v2
	s_wait_dscnt 0x0
	v_and_b32_e32 v12, 0x7fffffff, v2
	v_and_b32_e32 v13, 0x7fffffff, v3
	s_delay_alu instid0(VALU_DEP_1)
	v_cmp_ngt_f32_e32 vcc_lo, v12, v13
                                        ; implicit-def: $vgpr13
	s_cbranch_vccz .LBB172_24
; %bb.23:                               ;   in Loop: Header=BB172_20 Depth=2
	v_div_scale_f32 v12, null, v3, v3, v2
	v_div_scale_f32 v31, vcc_lo, v2, v3, v2
	s_mov_b32 s38, 0
	v_rcp_f32_e32 v13, v12
	v_xor_b32_e32 v12, 0x80000000, v12
	s_delay_alu instid0(TRANS32_DEP_1) | instid1(VALU_DEP_1)
	v_fma_f32 v30, v12, v13, 1.0
	s_delay_alu instid0(VALU_DEP_1) | instskip(NEXT) | instid1(VALU_DEP_1)
	v_fmac_f32_e32 v13, v30, v13
	v_mul_f32_e32 v30, v31, v13
	s_delay_alu instid0(VALU_DEP_1) | instskip(NEXT) | instid1(VALU_DEP_1)
	v_fma_f32 v32, v12, v30, v31
	v_fmac_f32_e32 v30, v32, v13
	s_delay_alu instid0(VALU_DEP_1) | instskip(SKIP_1) | instid1(VALU_DEP_1)
	v_fmac_f32_e32 v31, v12, v30
	s_wait_alu 0xfffd
	v_div_fmas_f32 v12, v31, v13, v30
	s_delay_alu instid0(VALU_DEP_1) | instskip(NEXT) | instid1(VALU_DEP_1)
	v_div_fixup_f32 v12, v12, v3, v2
	v_fma_f32 v13, v2, v12, v3
	s_delay_alu instid0(VALU_DEP_1) | instskip(SKIP_1) | instid1(VALU_DEP_2)
	v_div_scale_f32 v30, null, v13, v13, 1.0
	v_div_scale_f32 v33, vcc_lo, 1.0, v13, 1.0
	v_rcp_f32_e32 v31, v30
	v_xor_b32_e32 v30, 0x80000000, v30
	s_delay_alu instid0(TRANS32_DEP_1) | instid1(VALU_DEP_1)
	v_fma_f32 v32, v30, v31, 1.0
	s_delay_alu instid0(VALU_DEP_1) | instskip(NEXT) | instid1(VALU_DEP_1)
	v_fmac_f32_e32 v31, v32, v31
	v_mul_f32_e32 v32, v33, v31
	s_delay_alu instid0(VALU_DEP_1) | instskip(NEXT) | instid1(VALU_DEP_1)
	v_fma_f32 v34, v30, v32, v33
	v_fmac_f32_e32 v32, v34, v31
	s_delay_alu instid0(VALU_DEP_1) | instskip(SKIP_1) | instid1(VALU_DEP_1)
	v_fmac_f32_e32 v33, v30, v32
	s_wait_alu 0xfffd
	v_div_fmas_f32 v30, v33, v31, v32
	v_fma_f32 v31, v0, v12, v1
	s_delay_alu instid0(VALU_DEP_2) | instskip(SKIP_1) | instid1(VALU_DEP_2)
	v_div_fixup_f32 v13, v30, v13, 1.0
	v_fma_f32 v30, v1, v12, -v0
	v_mul_f32_e32 v12, v31, v13
	s_delay_alu instid0(VALU_DEP_2)
	v_mul_f32_e32 v13, v30, v13
.LBB172_24:                             ;   in Loop: Header=BB172_20 Depth=2
	s_wait_alu 0xfffe
	s_and_not1_b32 vcc_lo, exec_lo, s38
	s_wait_alu 0xfffe
	s_cbranch_vccnz .LBB172_26
; %bb.25:                               ;   in Loop: Header=BB172_20 Depth=2
	v_div_scale_f32 v12, null, v2, v2, v3
	v_div_scale_f32 v31, vcc_lo, v3, v2, v3
	s_delay_alu instid0(VALU_DEP_2)
	v_rcp_f32_e32 v13, v12
	v_xor_b32_e32 v12, 0x80000000, v12
	s_delay_alu instid0(TRANS32_DEP_1) | instid1(VALU_DEP_1)
	v_fma_f32 v30, v12, v13, 1.0
	s_delay_alu instid0(VALU_DEP_1) | instskip(NEXT) | instid1(VALU_DEP_1)
	v_fmac_f32_e32 v13, v30, v13
	v_mul_f32_e32 v30, v31, v13
	s_delay_alu instid0(VALU_DEP_1) | instskip(NEXT) | instid1(VALU_DEP_1)
	v_fma_f32 v32, v12, v30, v31
	v_fmac_f32_e32 v30, v32, v13
	s_delay_alu instid0(VALU_DEP_1) | instskip(SKIP_1) | instid1(VALU_DEP_1)
	v_fmac_f32_e32 v31, v12, v30
	s_wait_alu 0xfffd
	v_div_fmas_f32 v12, v31, v13, v30
	s_delay_alu instid0(VALU_DEP_1) | instskip(NEXT) | instid1(VALU_DEP_1)
	v_div_fixup_f32 v12, v12, v2, v3
	v_fmac_f32_e32 v2, v3, v12
	s_delay_alu instid0(VALU_DEP_1) | instskip(SKIP_1) | instid1(VALU_DEP_2)
	v_div_scale_f32 v3, null, v2, v2, 1.0
	v_div_scale_f32 v31, vcc_lo, 1.0, v2, 1.0
	v_rcp_f32_e32 v13, v3
	v_xor_b32_e32 v3, 0x80000000, v3
	s_delay_alu instid0(TRANS32_DEP_1) | instid1(VALU_DEP_1)
	v_fma_f32 v30, v3, v13, 1.0
	s_delay_alu instid0(VALU_DEP_1) | instskip(NEXT) | instid1(VALU_DEP_1)
	v_fmac_f32_e32 v13, v30, v13
	v_mul_f32_e32 v30, v31, v13
	s_delay_alu instid0(VALU_DEP_1) | instskip(NEXT) | instid1(VALU_DEP_1)
	v_fma_f32 v32, v3, v30, v31
	v_fmac_f32_e32 v30, v32, v13
	s_delay_alu instid0(VALU_DEP_1) | instskip(SKIP_1) | instid1(VALU_DEP_1)
	v_fmac_f32_e32 v31, v3, v30
	s_wait_alu 0xfffd
	v_div_fmas_f32 v3, v31, v13, v30
	v_fma_f32 v13, v1, v12, v0
	v_fma_f32 v0, -v0, v12, v1
	s_delay_alu instid0(VALU_DEP_3) | instskip(NEXT) | instid1(VALU_DEP_1)
	v_div_fixup_f32 v2, v3, v2, 1.0
	v_mul_f32_e32 v12, v13, v2
	s_delay_alu instid0(VALU_DEP_3)
	v_mul_f32_e32 v13, v0, v2
.LBB172_26:                             ;   in Loop: Header=BB172_20 Depth=2
	v_mov_b32_e32 v0, s36
	s_mov_b32 s38, -1
	ds_store_b64 v29, v[12:13]
	ds_load_2addr_b64 v[0:3], v0 offset0:1 offset1:33
	s_wait_dscnt 0x0
	v_dual_mul_f32 v30, v13, v1 :: v_dual_and_b32 v31, 0x7fffffff, v2
	v_dual_mul_f32 v1, v12, v1 :: v_dual_and_b32 v32, 0x7fffffff, v3
	s_delay_alu instid0(VALU_DEP_2) | instskip(NEXT) | instid1(VALU_DEP_2)
	v_fma_f32 v30, v12, v0, -v30
	v_fmac_f32_e32 v1, v13, v0
	s_delay_alu instid0(VALU_DEP_3) | instskip(NEXT) | instid1(VALU_DEP_2)
	v_cmp_ngt_f32_e32 vcc_lo, v31, v32
	v_dual_sub_f32 v0, v14, v30 :: v_dual_sub_f32 v1, v15, v1
                                        ; implicit-def: $vgpr15
	s_cbranch_vccz .LBB172_28
; %bb.27:                               ;   in Loop: Header=BB172_20 Depth=2
	v_div_scale_f32 v14, null, v3, v3, v2
	v_div_scale_f32 v30, vcc_lo, v2, v3, v2
	s_mov_b32 s38, 0
	v_rcp_f32_e32 v15, v14
	v_xor_b32_e32 v14, 0x80000000, v14
	s_delay_alu instid0(TRANS32_DEP_1) | instid1(VALU_DEP_1)
	v_fma_f32 v29, v14, v15, 1.0
	s_delay_alu instid0(VALU_DEP_1) | instskip(NEXT) | instid1(VALU_DEP_1)
	v_fmac_f32_e32 v15, v29, v15
	v_mul_f32_e32 v29, v30, v15
	s_delay_alu instid0(VALU_DEP_1) | instskip(NEXT) | instid1(VALU_DEP_1)
	v_fma_f32 v31, v14, v29, v30
	v_fmac_f32_e32 v29, v31, v15
	s_delay_alu instid0(VALU_DEP_1) | instskip(SKIP_1) | instid1(VALU_DEP_1)
	v_fmac_f32_e32 v30, v14, v29
	s_wait_alu 0xfffd
	v_div_fmas_f32 v14, v30, v15, v29
	s_delay_alu instid0(VALU_DEP_1) | instskip(NEXT) | instid1(VALU_DEP_1)
	v_div_fixup_f32 v14, v14, v3, v2
	v_fma_f32 v15, v2, v14, v3
	s_delay_alu instid0(VALU_DEP_1) | instskip(SKIP_1) | instid1(VALU_DEP_2)
	v_div_scale_f32 v29, null, v15, v15, 1.0
	v_div_scale_f32 v32, vcc_lo, 1.0, v15, 1.0
	v_rcp_f32_e32 v30, v29
	v_xor_b32_e32 v29, 0x80000000, v29
	s_delay_alu instid0(TRANS32_DEP_1) | instid1(VALU_DEP_1)
	v_fma_f32 v31, v29, v30, 1.0
	s_delay_alu instid0(VALU_DEP_1) | instskip(NEXT) | instid1(VALU_DEP_1)
	v_fmac_f32_e32 v30, v31, v30
	v_mul_f32_e32 v31, v32, v30
	s_delay_alu instid0(VALU_DEP_1) | instskip(NEXT) | instid1(VALU_DEP_1)
	v_fma_f32 v33, v29, v31, v32
	v_fmac_f32_e32 v31, v33, v30
	s_delay_alu instid0(VALU_DEP_1) | instskip(SKIP_1) | instid1(VALU_DEP_1)
	v_fmac_f32_e32 v32, v29, v31
	s_wait_alu 0xfffd
	v_div_fmas_f32 v29, v32, v30, v31
	v_fma_f32 v30, v14, v0, v1
	s_delay_alu instid0(VALU_DEP_2) | instskip(SKIP_1) | instid1(VALU_DEP_2)
	v_div_fixup_f32 v15, v29, v15, 1.0
	v_fma_f32 v29, v14, v1, -v0
	v_mul_f32_e32 v14, v30, v15
	s_delay_alu instid0(VALU_DEP_2)
	v_mul_f32_e32 v15, v29, v15
.LBB172_28:                             ;   in Loop: Header=BB172_20 Depth=2
	s_wait_alu 0xfffe
	s_and_not1_b32 vcc_lo, exec_lo, s38
	s_wait_alu 0xfffe
	s_cbranch_vccnz .LBB172_30
; %bb.29:                               ;   in Loop: Header=BB172_20 Depth=2
	v_div_scale_f32 v14, null, v2, v2, v3
	v_div_scale_f32 v30, vcc_lo, v3, v2, v3
	s_delay_alu instid0(VALU_DEP_2)
	v_rcp_f32_e32 v15, v14
	v_xor_b32_e32 v14, 0x80000000, v14
	s_delay_alu instid0(TRANS32_DEP_1) | instid1(VALU_DEP_1)
	v_fma_f32 v29, v14, v15, 1.0
	s_delay_alu instid0(VALU_DEP_1) | instskip(NEXT) | instid1(VALU_DEP_1)
	v_fmac_f32_e32 v15, v29, v15
	v_mul_f32_e32 v29, v30, v15
	s_delay_alu instid0(VALU_DEP_1) | instskip(NEXT) | instid1(VALU_DEP_1)
	v_fma_f32 v31, v14, v29, v30
	v_fmac_f32_e32 v29, v31, v15
	s_delay_alu instid0(VALU_DEP_1) | instskip(SKIP_1) | instid1(VALU_DEP_1)
	v_fmac_f32_e32 v30, v14, v29
	s_wait_alu 0xfffd
	v_div_fmas_f32 v14, v30, v15, v29
	s_delay_alu instid0(VALU_DEP_1) | instskip(NEXT) | instid1(VALU_DEP_1)
	v_div_fixup_f32 v14, v14, v2, v3
	v_fmac_f32_e32 v2, v3, v14
	s_delay_alu instid0(VALU_DEP_1) | instskip(SKIP_1) | instid1(VALU_DEP_2)
	v_div_scale_f32 v3, null, v2, v2, 1.0
	v_div_scale_f32 v30, vcc_lo, 1.0, v2, 1.0
	v_rcp_f32_e32 v15, v3
	v_xor_b32_e32 v3, 0x80000000, v3
	s_delay_alu instid0(TRANS32_DEP_1) | instid1(VALU_DEP_1)
	v_fma_f32 v29, v3, v15, 1.0
	s_delay_alu instid0(VALU_DEP_1) | instskip(NEXT) | instid1(VALU_DEP_1)
	v_fmac_f32_e32 v15, v29, v15
	v_mul_f32_e32 v29, v30, v15
	s_delay_alu instid0(VALU_DEP_1) | instskip(NEXT) | instid1(VALU_DEP_1)
	v_fma_f32 v31, v3, v29, v30
	v_fmac_f32_e32 v29, v31, v15
	s_delay_alu instid0(VALU_DEP_1) | instskip(SKIP_1) | instid1(VALU_DEP_1)
	v_fmac_f32_e32 v30, v3, v29
	s_wait_alu 0xfffd
	v_div_fmas_f32 v3, v30, v15, v29
	v_fma_f32 v15, v14, v1, v0
	v_fma_f32 v0, -v14, v0, v1
	s_delay_alu instid0(VALU_DEP_3) | instskip(NEXT) | instid1(VALU_DEP_1)
	v_div_fixup_f32 v2, v3, v2, 1.0
	v_mul_f32_e32 v14, v15, v2
	s_delay_alu instid0(VALU_DEP_3)
	v_mul_f32_e32 v15, v0, v2
.LBB172_30:                             ;   in Loop: Header=BB172_20 Depth=2
	s_add_co_i32 s38, s36, 0x108
	s_lshl_b32 s37, s37, 3
	s_mov_b32 s39, -1
	s_wait_alu 0xfffe
	s_sub_co_i32 s37, s38, s37
	ds_store_b64 v28, v[14:15]
	s_wait_alu 0xfffe
	s_add_co_i32 s37, s37, s35
	s_wait_alu 0xfffe
	v_dual_mov_b32 v0, s36 :: v_dual_mov_b32 v29, s37
	ds_load_2addr_b64 v[0:3], v0 offset0:2 offset1:66
	ds_load_b64 v[29:30], v29 offset:16
	s_wait_dscnt 0x1
	v_dual_mul_f32 v31, v13, v1 :: v_dual_and_b32 v32, 0x7fffffff, v2
	v_mul_f32_e32 v1, v12, v1
	s_delay_alu instid0(VALU_DEP_2) | instskip(SKIP_1) | instid1(VALU_DEP_2)
	v_fma_f32 v31, v12, v0, -v31
	s_wait_dscnt 0x0
	v_dual_fmac_f32 v1, v13, v0 :: v_dual_mul_f32 v0, v15, v30
	v_dual_mul_f32 v30, v14, v30 :: v_dual_and_b32 v33, 0x7fffffff, v3
	s_delay_alu instid0(VALU_DEP_2) | instskip(NEXT) | instid1(VALU_DEP_3)
	v_dual_sub_f32 v10, v10, v31 :: v_dual_sub_f32 v1, v11, v1
	v_fma_f32 v0, v14, v29, -v0
	s_delay_alu instid0(VALU_DEP_3) | instskip(NEXT) | instid1(VALU_DEP_4)
	v_fmac_f32_e32 v30, v15, v29
	v_cmp_ngt_f32_e32 vcc_lo, v32, v33
	s_delay_alu instid0(VALU_DEP_2)
	v_dual_sub_f32 v0, v10, v0 :: v_dual_sub_f32 v1, v1, v30
                                        ; implicit-def: $vgpr11
	s_cbranch_vccz .LBB172_32
; %bb.31:                               ;   in Loop: Header=BB172_20 Depth=2
	v_div_scale_f32 v10, null, v3, v3, v2
	v_div_scale_f32 v29, vcc_lo, v2, v3, v2
	s_mov_b32 s39, 0
	v_rcp_f32_e32 v11, v10
	v_xor_b32_e32 v10, 0x80000000, v10
	s_delay_alu instid0(TRANS32_DEP_1) | instid1(VALU_DEP_1)
	v_fma_f32 v28, v10, v11, 1.0
	s_delay_alu instid0(VALU_DEP_1) | instskip(NEXT) | instid1(VALU_DEP_1)
	v_fmac_f32_e32 v11, v28, v11
	v_mul_f32_e32 v28, v29, v11
	s_delay_alu instid0(VALU_DEP_1) | instskip(NEXT) | instid1(VALU_DEP_1)
	v_fma_f32 v30, v10, v28, v29
	v_fmac_f32_e32 v28, v30, v11
	s_delay_alu instid0(VALU_DEP_1) | instskip(SKIP_1) | instid1(VALU_DEP_1)
	v_fmac_f32_e32 v29, v10, v28
	s_wait_alu 0xfffd
	v_div_fmas_f32 v10, v29, v11, v28
	s_delay_alu instid0(VALU_DEP_1) | instskip(NEXT) | instid1(VALU_DEP_1)
	v_div_fixup_f32 v10, v10, v3, v2
	v_fma_f32 v11, v2, v10, v3
	s_delay_alu instid0(VALU_DEP_1) | instskip(SKIP_1) | instid1(VALU_DEP_2)
	v_div_scale_f32 v28, null, v11, v11, 1.0
	v_div_scale_f32 v31, vcc_lo, 1.0, v11, 1.0
	v_rcp_f32_e32 v29, v28
	v_xor_b32_e32 v28, 0x80000000, v28
	s_delay_alu instid0(TRANS32_DEP_1) | instid1(VALU_DEP_1)
	v_fma_f32 v30, v28, v29, 1.0
	s_delay_alu instid0(VALU_DEP_1) | instskip(NEXT) | instid1(VALU_DEP_1)
	v_fmac_f32_e32 v29, v30, v29
	v_mul_f32_e32 v30, v31, v29
	s_delay_alu instid0(VALU_DEP_1) | instskip(NEXT) | instid1(VALU_DEP_1)
	v_fma_f32 v32, v28, v30, v31
	v_fmac_f32_e32 v30, v32, v29
	s_delay_alu instid0(VALU_DEP_1) | instskip(SKIP_1) | instid1(VALU_DEP_1)
	v_fmac_f32_e32 v31, v28, v30
	s_wait_alu 0xfffd
	v_div_fmas_f32 v28, v31, v29, v30
	v_fma_f32 v29, v10, v0, v1
	s_delay_alu instid0(VALU_DEP_2) | instskip(SKIP_1) | instid1(VALU_DEP_2)
	v_div_fixup_f32 v11, v28, v11, 1.0
	v_fma_f32 v28, v10, v1, -v0
	v_mul_f32_e32 v10, v29, v11
	s_delay_alu instid0(VALU_DEP_2)
	v_mul_f32_e32 v11, v28, v11
.LBB172_32:                             ;   in Loop: Header=BB172_20 Depth=2
	s_wait_alu 0xfffe
	s_and_not1_b32 vcc_lo, exec_lo, s39
	s_wait_alu 0xfffe
	s_cbranch_vccnz .LBB172_34
; %bb.33:                               ;   in Loop: Header=BB172_20 Depth=2
	v_div_scale_f32 v10, null, v2, v2, v3
	v_div_scale_f32 v29, vcc_lo, v3, v2, v3
	s_delay_alu instid0(VALU_DEP_2)
	v_rcp_f32_e32 v11, v10
	v_xor_b32_e32 v10, 0x80000000, v10
	s_delay_alu instid0(TRANS32_DEP_1) | instid1(VALU_DEP_1)
	v_fma_f32 v28, v10, v11, 1.0
	s_delay_alu instid0(VALU_DEP_1) | instskip(NEXT) | instid1(VALU_DEP_1)
	v_fmac_f32_e32 v11, v28, v11
	v_mul_f32_e32 v28, v29, v11
	s_delay_alu instid0(VALU_DEP_1) | instskip(NEXT) | instid1(VALU_DEP_1)
	v_fma_f32 v30, v10, v28, v29
	v_fmac_f32_e32 v28, v30, v11
	s_delay_alu instid0(VALU_DEP_1) | instskip(SKIP_1) | instid1(VALU_DEP_1)
	v_fmac_f32_e32 v29, v10, v28
	s_wait_alu 0xfffd
	v_div_fmas_f32 v10, v29, v11, v28
	s_delay_alu instid0(VALU_DEP_1) | instskip(NEXT) | instid1(VALU_DEP_1)
	v_div_fixup_f32 v10, v10, v2, v3
	v_fmac_f32_e32 v2, v3, v10
	s_delay_alu instid0(VALU_DEP_1) | instskip(SKIP_1) | instid1(VALU_DEP_2)
	v_div_scale_f32 v3, null, v2, v2, 1.0
	v_div_scale_f32 v29, vcc_lo, 1.0, v2, 1.0
	v_rcp_f32_e32 v11, v3
	v_xor_b32_e32 v3, 0x80000000, v3
	s_delay_alu instid0(TRANS32_DEP_1) | instid1(VALU_DEP_1)
	v_fma_f32 v28, v3, v11, 1.0
	s_delay_alu instid0(VALU_DEP_1) | instskip(NEXT) | instid1(VALU_DEP_1)
	v_fmac_f32_e32 v11, v28, v11
	v_mul_f32_e32 v28, v29, v11
	s_delay_alu instid0(VALU_DEP_1) | instskip(NEXT) | instid1(VALU_DEP_1)
	v_fma_f32 v30, v3, v28, v29
	v_fmac_f32_e32 v28, v30, v11
	s_delay_alu instid0(VALU_DEP_1) | instskip(SKIP_1) | instid1(VALU_DEP_1)
	v_fmac_f32_e32 v29, v3, v28
	s_wait_alu 0xfffd
	v_div_fmas_f32 v3, v29, v11, v28
	v_fma_f32 v11, v10, v1, v0
	v_fma_f32 v0, -v10, v0, v1
	s_delay_alu instid0(VALU_DEP_3) | instskip(NEXT) | instid1(VALU_DEP_1)
	v_div_fixup_f32 v2, v3, v2, 1.0
	v_mul_f32_e32 v10, v11, v2
	s_delay_alu instid0(VALU_DEP_3)
	v_mul_f32_e32 v11, v0, v2
.LBB172_34:                             ;   in Loop: Header=BB172_20 Depth=2
	v_mov_b32_e32 v0, s36
	v_mov_b32_e32 v28, s37
	s_lshl_b32 s34, s34, 3
	ds_store_b64 v27, v[10:11]
	s_wait_alu 0xfffe
	s_sub_co_i32 s34, s38, s34
	ds_load_2addr_b64 v[0:3], v0 offset0:3 offset1:99
	ds_load_b64 v[28:29], v28 offset:24
	s_wait_alu 0xfffe
	s_add_co_i32 s34, s34, s35
	s_wait_alu 0xfffe
	v_mov_b32_e32 v30, s34
	s_mov_b32 s34, -1
	ds_load_b64 v[30:31], v30 offset:288
	s_wait_dscnt 0x1
	v_mul_f32_e32 v33, v15, v29
	v_mul_f32_e32 v29, v14, v29
	;; [unrolled: 1-line block ×3, first 2 shown]
	v_dual_mul_f32 v1, v12, v1 :: v_dual_and_b32 v34, 0x7fffffff, v2
	s_delay_alu instid0(VALU_DEP_3) | instskip(NEXT) | instid1(VALU_DEP_3)
	v_fmac_f32_e32 v29, v15, v28
	v_fma_f32 v12, v12, v0, -v32
	s_delay_alu instid0(VALU_DEP_3)
	v_fmac_f32_e32 v1, v13, v0
	v_fma_f32 v0, v14, v28, -v33
	s_wait_dscnt 0x0
	v_mul_f32_e32 v13, v11, v31
	v_mul_f32_e32 v14, v10, v31
	v_dual_sub_f32 v8, v8, v12 :: v_dual_sub_f32 v1, v9, v1
	v_and_b32_e32 v9, 0x7fffffff, v3
	s_delay_alu instid0(VALU_DEP_4) | instskip(NEXT) | instid1(VALU_DEP_4)
	v_fma_f32 v12, v10, v30, -v13
	v_fmac_f32_e32 v14, v11, v30
	s_delay_alu instid0(VALU_DEP_4) | instskip(NEXT) | instid1(VALU_DEP_4)
	v_dual_sub_f32 v0, v8, v0 :: v_dual_sub_f32 v1, v1, v29
	v_cmp_ngt_f32_e32 vcc_lo, v34, v9
	s_delay_alu instid0(VALU_DEP_2)
	v_dual_sub_f32 v8, v0, v12 :: v_dual_sub_f32 v9, v1, v14
                                        ; implicit-def: $vgpr1
	s_cbranch_vccz .LBB172_36
; %bb.35:                               ;   in Loop: Header=BB172_20 Depth=2
	v_div_scale_f32 v0, null, v3, v3, v2
	v_div_scale_f32 v11, vcc_lo, v2, v3, v2
	s_mov_b32 s34, 0
	v_rcp_f32_e32 v1, v0
	v_xor_b32_e32 v0, 0x80000000, v0
	s_delay_alu instid0(TRANS32_DEP_1) | instid1(VALU_DEP_1)
	v_fma_f32 v10, v0, v1, 1.0
	s_delay_alu instid0(VALU_DEP_1) | instskip(NEXT) | instid1(VALU_DEP_1)
	v_fmac_f32_e32 v1, v10, v1
	v_mul_f32_e32 v10, v11, v1
	s_delay_alu instid0(VALU_DEP_1) | instskip(NEXT) | instid1(VALU_DEP_1)
	v_fma_f32 v12, v0, v10, v11
	v_fmac_f32_e32 v10, v12, v1
	s_delay_alu instid0(VALU_DEP_1) | instskip(SKIP_1) | instid1(VALU_DEP_1)
	v_fmac_f32_e32 v11, v0, v10
	s_wait_alu 0xfffd
	v_div_fmas_f32 v0, v11, v1, v10
	s_delay_alu instid0(VALU_DEP_1) | instskip(NEXT) | instid1(VALU_DEP_1)
	v_div_fixup_f32 v0, v0, v3, v2
	v_fma_f32 v1, v2, v0, v3
	s_delay_alu instid0(VALU_DEP_1) | instskip(SKIP_1) | instid1(VALU_DEP_2)
	v_div_scale_f32 v10, null, v1, v1, 1.0
	v_div_scale_f32 v13, vcc_lo, 1.0, v1, 1.0
	v_rcp_f32_e32 v11, v10
	v_xor_b32_e32 v10, 0x80000000, v10
	s_delay_alu instid0(TRANS32_DEP_1) | instid1(VALU_DEP_1)
	v_fma_f32 v12, v10, v11, 1.0
	s_delay_alu instid0(VALU_DEP_1) | instskip(NEXT) | instid1(VALU_DEP_1)
	v_fmac_f32_e32 v11, v12, v11
	v_mul_f32_e32 v12, v13, v11
	s_delay_alu instid0(VALU_DEP_1) | instskip(NEXT) | instid1(VALU_DEP_1)
	v_fma_f32 v14, v10, v12, v13
	v_fmac_f32_e32 v12, v14, v11
	s_delay_alu instid0(VALU_DEP_1) | instskip(SKIP_1) | instid1(VALU_DEP_1)
	v_fmac_f32_e32 v13, v10, v12
	s_wait_alu 0xfffd
	v_div_fmas_f32 v10, v13, v11, v12
	v_fma_f32 v11, v0, v8, v9
	s_delay_alu instid0(VALU_DEP_2) | instskip(SKIP_1) | instid1(VALU_DEP_2)
	v_div_fixup_f32 v1, v10, v1, 1.0
	v_fma_f32 v10, v0, v9, -v8
	v_mul_f32_e32 v0, v11, v1
	s_delay_alu instid0(VALU_DEP_2)
	v_mul_f32_e32 v1, v10, v1
.LBB172_36:                             ;   in Loop: Header=BB172_20 Depth=2
	s_wait_alu 0xfffe
	s_and_not1_b32 vcc_lo, exec_lo, s34
	s_wait_alu 0xfffe
	s_cbranch_vccnz .LBB172_38
; %bb.37:                               ;   in Loop: Header=BB172_20 Depth=2
	v_div_scale_f32 v0, null, v2, v2, v3
	v_div_scale_f32 v11, vcc_lo, v3, v2, v3
	s_delay_alu instid0(VALU_DEP_2)
	v_rcp_f32_e32 v1, v0
	v_xor_b32_e32 v0, 0x80000000, v0
	s_delay_alu instid0(TRANS32_DEP_1) | instid1(VALU_DEP_1)
	v_fma_f32 v10, v0, v1, 1.0
	s_delay_alu instid0(VALU_DEP_1) | instskip(NEXT) | instid1(VALU_DEP_1)
	v_fmac_f32_e32 v1, v10, v1
	v_mul_f32_e32 v10, v11, v1
	s_delay_alu instid0(VALU_DEP_1) | instskip(NEXT) | instid1(VALU_DEP_1)
	v_fma_f32 v12, v0, v10, v11
	v_fmac_f32_e32 v10, v12, v1
	s_delay_alu instid0(VALU_DEP_1) | instskip(SKIP_1) | instid1(VALU_DEP_1)
	v_fmac_f32_e32 v11, v0, v10
	s_wait_alu 0xfffd
	v_div_fmas_f32 v0, v11, v1, v10
	s_delay_alu instid0(VALU_DEP_1) | instskip(NEXT) | instid1(VALU_DEP_1)
	v_div_fixup_f32 v0, v0, v2, v3
	v_fmac_f32_e32 v2, v3, v0
	s_delay_alu instid0(VALU_DEP_1) | instskip(SKIP_1) | instid1(VALU_DEP_2)
	v_div_scale_f32 v1, null, v2, v2, 1.0
	v_div_scale_f32 v11, vcc_lo, 1.0, v2, 1.0
	v_rcp_f32_e32 v3, v1
	v_xor_b32_e32 v1, 0x80000000, v1
	s_delay_alu instid0(TRANS32_DEP_1) | instid1(VALU_DEP_1)
	v_fma_f32 v10, v1, v3, 1.0
	s_delay_alu instid0(VALU_DEP_1) | instskip(NEXT) | instid1(VALU_DEP_1)
	v_fmac_f32_e32 v3, v10, v3
	v_mul_f32_e32 v10, v11, v3
	s_delay_alu instid0(VALU_DEP_1) | instskip(NEXT) | instid1(VALU_DEP_1)
	v_fma_f32 v12, v1, v10, v11
	v_fmac_f32_e32 v10, v12, v3
	s_delay_alu instid0(VALU_DEP_1) | instskip(SKIP_1) | instid1(VALU_DEP_1)
	v_fmac_f32_e32 v11, v1, v10
	s_wait_alu 0xfffd
	v_div_fmas_f32 v1, v11, v3, v10
	v_fma_f32 v3, v0, v9, v8
	s_delay_alu instid0(VALU_DEP_2) | instskip(SKIP_1) | instid1(VALU_DEP_2)
	v_div_fixup_f32 v1, v1, v2, 1.0
	v_fma_f32 v2, -v0, v8, v9
	v_mul_f32_e32 v0, v3, v1
	s_delay_alu instid0(VALU_DEP_2)
	v_mul_f32_e32 v1, v2, v1
.LBB172_38:                             ;   in Loop: Header=BB172_20 Depth=2
	s_add_co_i32 s34, s15, 4
	s_add_co_i32 s15, s15, 7
	;; [unrolled: 1-line block ×3, first 2 shown]
	s_wait_alu 0xfffe
	s_cmp_ge_i32 s15, s26
	ds_store_b64 v26, v[0:1]
	s_cbranch_scc1 .LBB172_40
; %bb.39:                               ;   in Loop: Header=BB172_20 Depth=2
	s_mov_b32 s15, s34
	s_branch .LBB172_20
.LBB172_40:                             ;   in Loop: Header=BB172_3 Depth=1
	s_wait_alu 0xfffe
	s_cmp_ge_i32 s34, s26
	s_cbranch_scc1 .LBB172_49
; %bb.41:                               ;   in Loop: Header=BB172_3 Depth=1
	s_lshl_b32 s14, s34, 3
	s_branch .LBB172_43
.LBB172_42:                             ;   in Loop: Header=BB172_43 Depth=2
	s_add_co_i32 s34, s34, 1
	s_add_co_i32 s14, s14, 8
	s_wait_alu 0xfffe
	s_cmp_ge_i32 s34, s26
	ds_store_b64 v10, v[8:9]
	s_cbranch_scc1 .LBB172_49
.LBB172_43:                             ;   Parent Loop BB172_3 Depth=1
                                        ; =>  This Loop Header: Depth=2
                                        ;       Child Loop BB172_44 Depth 3
	s_lshl_b32 s15, s34, 8
	v_mov_b32_e32 v2, v17
	s_wait_alu 0xfffe
	v_add_nc_u32_e32 v10, s15, v17
	s_cmp_eq_u32 s34, 0
	s_mov_b32 s35, s14
	s_mov_b32 s36, s34
	ds_load_b64 v[0:1], v10
	s_cbranch_scc1 .LBB172_45
.LBB172_44:                             ;   Parent Loop BB172_3 Depth=1
                                        ;     Parent Loop BB172_43 Depth=2
                                        ; =>    This Inner Loop Header: Depth=3
	s_wait_alu 0xfffe
	v_mov_b32_e32 v3, s35
	s_add_co_i32 s36, s36, -1
	s_addk_co_i32 s35, 0x100
	s_wait_alu 0xfffe
	s_cmp_eq_u32 s36, 0
	ds_load_b64 v[8:9], v2
	ds_load_b64 v[11:12], v3
	s_wait_dscnt 0x0
	v_dual_mul_f32 v3, v12, v9 :: v_dual_add_nc_u32 v2, 0x100, v2
	s_delay_alu instid0(VALU_DEP_1) | instskip(NEXT) | instid1(VALU_DEP_1)
	v_fma_f32 v3, v11, v8, -v3
	v_dual_mul_f32 v9, v11, v9 :: v_dual_sub_f32 v0, v0, v3
	s_delay_alu instid0(VALU_DEP_1) | instskip(NEXT) | instid1(VALU_DEP_1)
	v_fmac_f32_e32 v9, v12, v8
	v_sub_f32_e32 v1, v1, v9
	s_cbranch_scc0 .LBB172_44
.LBB172_45:                             ;   in Loop: Header=BB172_43 Depth=2
	s_lshl_b32 s35, s34, 3
	s_wait_alu 0xfffe
	s_add_co_i32 s15, s35, s15
	s_wait_alu 0xfffe
	v_mov_b32_e32 v2, s15
	s_mov_b32 s15, -1
	ds_load_b64 v[2:3], v2
	s_wait_dscnt 0x0
	v_and_b32_e32 v8, 0x7fffffff, v2
	v_and_b32_e32 v9, 0x7fffffff, v3
	s_delay_alu instid0(VALU_DEP_1)
	v_cmp_ngt_f32_e32 vcc_lo, v8, v9
                                        ; implicit-def: $vgpr8
	s_cbranch_vccz .LBB172_47
; %bb.46:                               ;   in Loop: Header=BB172_43 Depth=2
	v_div_scale_f32 v8, null, v3, v3, v2
	v_div_scale_f32 v12, vcc_lo, v2, v3, v2
	s_mov_b32 s15, 0
	v_rcp_f32_e32 v9, v8
	v_xor_b32_e32 v8, 0x80000000, v8
	s_delay_alu instid0(TRANS32_DEP_1) | instid1(VALU_DEP_1)
	v_fma_f32 v11, v8, v9, 1.0
	s_delay_alu instid0(VALU_DEP_1) | instskip(NEXT) | instid1(VALU_DEP_1)
	v_fmac_f32_e32 v9, v11, v9
	v_mul_f32_e32 v11, v12, v9
	s_delay_alu instid0(VALU_DEP_1) | instskip(NEXT) | instid1(VALU_DEP_1)
	v_fma_f32 v13, v8, v11, v12
	v_fmac_f32_e32 v11, v13, v9
	s_delay_alu instid0(VALU_DEP_1) | instskip(SKIP_1) | instid1(VALU_DEP_1)
	v_fmac_f32_e32 v12, v8, v11
	s_wait_alu 0xfffd
	v_div_fmas_f32 v8, v12, v9, v11
	s_delay_alu instid0(VALU_DEP_1) | instskip(NEXT) | instid1(VALU_DEP_1)
	v_div_fixup_f32 v8, v8, v3, v2
	v_fma_f32 v9, v2, v8, v3
	s_delay_alu instid0(VALU_DEP_1) | instskip(SKIP_1) | instid1(VALU_DEP_2)
	v_div_scale_f32 v11, null, v9, v9, 1.0
	v_div_scale_f32 v14, vcc_lo, 1.0, v9, 1.0
	v_rcp_f32_e32 v12, v11
	v_xor_b32_e32 v11, 0x80000000, v11
	s_delay_alu instid0(TRANS32_DEP_1) | instid1(VALU_DEP_1)
	v_fma_f32 v13, v11, v12, 1.0
	s_delay_alu instid0(VALU_DEP_1) | instskip(NEXT) | instid1(VALU_DEP_1)
	v_fmac_f32_e32 v12, v13, v12
	v_mul_f32_e32 v13, v14, v12
	s_delay_alu instid0(VALU_DEP_1) | instskip(NEXT) | instid1(VALU_DEP_1)
	v_fma_f32 v15, v11, v13, v14
	v_fmac_f32_e32 v13, v15, v12
	s_delay_alu instid0(VALU_DEP_1) | instskip(SKIP_1) | instid1(VALU_DEP_1)
	v_fmac_f32_e32 v14, v11, v13
	s_wait_alu 0xfffd
	v_div_fmas_f32 v11, v14, v12, v13
	v_fma_f32 v12, v0, v8, v1
	s_delay_alu instid0(VALU_DEP_2) | instskip(SKIP_1) | instid1(VALU_DEP_2)
	v_div_fixup_f32 v9, v11, v9, 1.0
	v_fma_f32 v11, v1, v8, -v0
	v_mul_f32_e32 v8, v12, v9
	s_delay_alu instid0(VALU_DEP_2)
	v_mul_f32_e32 v9, v11, v9
.LBB172_47:                             ;   in Loop: Header=BB172_43 Depth=2
	s_wait_alu 0xfffe
	s_and_not1_b32 vcc_lo, exec_lo, s15
	s_wait_alu 0xfffe
	s_cbranch_vccnz .LBB172_42
; %bb.48:                               ;   in Loop: Header=BB172_43 Depth=2
	v_div_scale_f32 v8, null, v2, v2, v3
	v_div_scale_f32 v12, vcc_lo, v3, v2, v3
	s_delay_alu instid0(VALU_DEP_2)
	v_rcp_f32_e32 v9, v8
	v_xor_b32_e32 v8, 0x80000000, v8
	s_delay_alu instid0(TRANS32_DEP_1) | instid1(VALU_DEP_1)
	v_fma_f32 v11, v8, v9, 1.0
	s_delay_alu instid0(VALU_DEP_1) | instskip(NEXT) | instid1(VALU_DEP_1)
	v_fmac_f32_e32 v9, v11, v9
	v_mul_f32_e32 v11, v12, v9
	s_delay_alu instid0(VALU_DEP_1) | instskip(NEXT) | instid1(VALU_DEP_1)
	v_fma_f32 v13, v8, v11, v12
	v_fmac_f32_e32 v11, v13, v9
	s_delay_alu instid0(VALU_DEP_1) | instskip(SKIP_1) | instid1(VALU_DEP_1)
	v_fmac_f32_e32 v12, v8, v11
	s_wait_alu 0xfffd
	v_div_fmas_f32 v8, v12, v9, v11
	s_delay_alu instid0(VALU_DEP_1) | instskip(NEXT) | instid1(VALU_DEP_1)
	v_div_fixup_f32 v8, v8, v2, v3
	v_fmac_f32_e32 v2, v3, v8
	s_delay_alu instid0(VALU_DEP_1) | instskip(SKIP_1) | instid1(VALU_DEP_2)
	v_div_scale_f32 v3, null, v2, v2, 1.0
	v_div_scale_f32 v12, vcc_lo, 1.0, v2, 1.0
	v_rcp_f32_e32 v9, v3
	v_xor_b32_e32 v3, 0x80000000, v3
	s_delay_alu instid0(TRANS32_DEP_1) | instid1(VALU_DEP_1)
	v_fma_f32 v11, v3, v9, 1.0
	s_delay_alu instid0(VALU_DEP_1) | instskip(NEXT) | instid1(VALU_DEP_1)
	v_fmac_f32_e32 v9, v11, v9
	v_mul_f32_e32 v11, v12, v9
	s_delay_alu instid0(VALU_DEP_1) | instskip(NEXT) | instid1(VALU_DEP_1)
	v_fma_f32 v13, v3, v11, v12
	v_fmac_f32_e32 v11, v13, v9
	s_delay_alu instid0(VALU_DEP_1) | instskip(SKIP_1) | instid1(VALU_DEP_1)
	v_fmac_f32_e32 v12, v3, v11
	s_wait_alu 0xfffd
	v_div_fmas_f32 v3, v12, v9, v11
	v_fma_f32 v9, v1, v8, v0
	v_fma_f32 v0, -v0, v8, v1
	s_delay_alu instid0(VALU_DEP_3) | instskip(NEXT) | instid1(VALU_DEP_1)
	v_div_fixup_f32 v2, v3, v2, 1.0
	v_mul_f32_e32 v8, v9, v2
	s_delay_alu instid0(VALU_DEP_3)
	v_mul_f32_e32 v9, v0, v2
	s_branch .LBB172_42
.LBB172_49:                             ;   in Loop: Header=BB172_3 Depth=1
	s_mov_b32 s14, 0
.LBB172_50:                             ;   in Loop: Header=BB172_3 Depth=1
	s_wait_alu 0xfffe
	s_and_b32 vcc_lo, exec_lo, s14
	s_wait_alu 0xfffe
	s_cbranch_vccz .LBB172_81
; %bb.51:                               ;   in Loop: Header=BB172_3 Depth=1
	s_mov_b32 s34, s27
	s_and_not1_b32 vcc_lo, exec_lo, s31
	s_mov_b32 s14, s22
	s_mov_b32 s15, s27
	s_wait_alu 0xfffe
	s_cbranch_vccnz .LBB172_72
.LBB172_52:                             ;   Parent Loop BB172_3 Depth=1
                                        ; =>  This Loop Header: Depth=2
                                        ;       Child Loop BB172_53 Depth 3
	s_wait_alu 0xfffe
	s_add_co_i32 s36, s15, -1
	s_add_co_i32 s34, s15, -3
	v_lshl_add_u32 v29, s15, 8, v17
	s_add_co_i32 s37, s15, -2
	s_wait_alu 0xfffe
	v_lshl_add_u32 v28, s36, 8, v17
	s_lshl_b32 s35, s34, 8
	v_lshl_add_u32 v27, s37, 8, v17
	s_wait_alu 0xfffe
	v_add_nc_u32_e32 v26, s35, v17
	ds_load_b64 v[12:13], v29
	ds_load_b64 v[10:11], v28
	;; [unrolled: 1-line block ×4, first 2 shown]
	v_mov_b32_e32 v8, v23
	s_cmp_le_i32 s27, s15
	s_mov_b32 s35, s14
	s_mov_b32 s38, s27
	s_cbranch_scc1 .LBB172_54
.LBB172_53:                             ;   Parent Loop BB172_3 Depth=1
                                        ;     Parent Loop BB172_52 Depth=2
                                        ; =>    This Inner Loop Header: Depth=3
	s_wait_alu 0xfffe
	v_mov_b32_e32 v9, s35
	s_add_co_i32 s38, s38, -1
	s_addk_co_i32 s35, 0xff00
	s_wait_alu 0xfffe
	s_cmp_le_i32 s38, s15
	ds_load_b64 v[14:15], v8
	ds_load_2addr_b64 v[30:33], v9 offset0:2 offset1:3
	ds_load_2addr_b64 v[34:37], v9 offset1:1
	s_wait_dscnt 0x1
	v_dual_mul_f32 v9, v33, v15 :: v_dual_add_nc_u32 v8, 0xffffff00, v8
	v_mul_f32_e32 v38, v32, v15
	v_mul_f32_e32 v39, v31, v15
	s_wait_dscnt 0x0
	v_dual_mul_f32 v31, v31, v14 :: v_dual_mul_f32 v40, v37, v15
	v_mul_f32_e32 v41, v35, v15
	v_mul_f32_e32 v35, v35, v14
	v_fma_f32 v9, v32, v14, -v9
	v_mul_f32_e32 v37, v37, v14
	v_fmac_f32_e32 v38, v33, v14
	v_fma_f32 v32, v30, v14, -v39
	v_fmac_f32_e32 v31, v30, v15
	v_fma_f32 v30, v36, v14, -v40
	v_dual_fmac_f32 v35, v34, v15 :: v_dual_sub_f32 v12, v12, v9
	v_fmac_f32_e32 v37, v36, v15
	v_sub_f32_e32 v13, v13, v38
	s_delay_alu instid0(VALU_DEP_4) | instskip(SKIP_1) | instid1(VALU_DEP_4)
	v_sub_f32_e32 v2, v2, v30
	v_fma_f32 v14, v34, v14, -v41
	v_dual_sub_f32 v10, v10, v32 :: v_dual_sub_f32 v3, v3, v37
	s_delay_alu instid0(VALU_DEP_2)
	v_dual_sub_f32 v1, v1, v35 :: v_dual_sub_f32 v0, v0, v14
	v_sub_f32_e32 v11, v11, v31
	s_cbranch_scc0 .LBB172_53
.LBB172_54:                             ;   in Loop: Header=BB172_52 Depth=2
	s_lshl_b32 s38, s15, 3
	s_lshl_b32 s35, s15, 8
	s_mov_b32 s39, -1
	s_wait_alu 0xfffe
	s_add_co_i32 s35, s38, s35
	s_wait_alu 0xfffe
	v_mov_b32_e32 v8, s35
	ds_load_b64 v[14:15], v8
	s_wait_dscnt 0x0
	v_and_b32_e32 v8, 0x7fffffff, v14
	v_and_b32_e32 v9, 0x7fffffff, v15
	s_delay_alu instid0(VALU_DEP_1)
	v_cmp_ngt_f32_e32 vcc_lo, v8, v9
                                        ; implicit-def: $vgpr9
	s_cbranch_vccz .LBB172_56
; %bb.55:                               ;   in Loop: Header=BB172_52 Depth=2
	v_div_scale_f32 v8, null, v15, v15, v14
	v_div_scale_f32 v31, vcc_lo, v14, v15, v14
	s_mov_b32 s39, 0
	v_rcp_f32_e32 v9, v8
	v_xor_b32_e32 v8, 0x80000000, v8
	s_delay_alu instid0(TRANS32_DEP_1) | instid1(VALU_DEP_1)
	v_fma_f32 v30, v8, v9, 1.0
	s_delay_alu instid0(VALU_DEP_1) | instskip(NEXT) | instid1(VALU_DEP_1)
	v_fmac_f32_e32 v9, v30, v9
	v_mul_f32_e32 v30, v31, v9
	s_delay_alu instid0(VALU_DEP_1) | instskip(NEXT) | instid1(VALU_DEP_1)
	v_fma_f32 v32, v8, v30, v31
	v_fmac_f32_e32 v30, v32, v9
	s_delay_alu instid0(VALU_DEP_1) | instskip(SKIP_1) | instid1(VALU_DEP_1)
	v_fmac_f32_e32 v31, v8, v30
	s_wait_alu 0xfffd
	v_div_fmas_f32 v8, v31, v9, v30
	s_delay_alu instid0(VALU_DEP_1) | instskip(NEXT) | instid1(VALU_DEP_1)
	v_div_fixup_f32 v8, v8, v15, v14
	v_fma_f32 v9, v14, v8, v15
	s_delay_alu instid0(VALU_DEP_1) | instskip(SKIP_1) | instid1(VALU_DEP_2)
	v_div_scale_f32 v30, null, v9, v9, 1.0
	v_div_scale_f32 v33, vcc_lo, 1.0, v9, 1.0
	v_rcp_f32_e32 v31, v30
	v_xor_b32_e32 v30, 0x80000000, v30
	s_delay_alu instid0(TRANS32_DEP_1) | instid1(VALU_DEP_1)
	v_fma_f32 v32, v30, v31, 1.0
	s_delay_alu instid0(VALU_DEP_1) | instskip(NEXT) | instid1(VALU_DEP_1)
	v_fmac_f32_e32 v31, v32, v31
	v_mul_f32_e32 v32, v33, v31
	s_delay_alu instid0(VALU_DEP_1) | instskip(NEXT) | instid1(VALU_DEP_1)
	v_fma_f32 v34, v30, v32, v33
	v_fmac_f32_e32 v32, v34, v31
	s_delay_alu instid0(VALU_DEP_1) | instskip(SKIP_1) | instid1(VALU_DEP_1)
	v_fmac_f32_e32 v33, v30, v32
	s_wait_alu 0xfffd
	v_div_fmas_f32 v30, v33, v31, v32
	v_fma_f32 v31, v12, v8, v13
	s_delay_alu instid0(VALU_DEP_2) | instskip(SKIP_1) | instid1(VALU_DEP_2)
	v_div_fixup_f32 v9, v30, v9, 1.0
	v_fma_f32 v30, v13, v8, -v12
	v_mul_f32_e32 v8, v31, v9
	s_delay_alu instid0(VALU_DEP_2)
	v_mul_f32_e32 v9, v30, v9
.LBB172_56:                             ;   in Loop: Header=BB172_52 Depth=2
	s_wait_alu 0xfffe
	s_and_not1_b32 vcc_lo, exec_lo, s39
	s_wait_alu 0xfffe
	s_cbranch_vccnz .LBB172_58
; %bb.57:                               ;   in Loop: Header=BB172_52 Depth=2
	v_div_scale_f32 v8, null, v14, v14, v15
	v_div_scale_f32 v31, vcc_lo, v15, v14, v15
	s_delay_alu instid0(VALU_DEP_2)
	v_rcp_f32_e32 v9, v8
	v_xor_b32_e32 v8, 0x80000000, v8
	s_delay_alu instid0(TRANS32_DEP_1) | instid1(VALU_DEP_1)
	v_fma_f32 v30, v8, v9, 1.0
	s_delay_alu instid0(VALU_DEP_1) | instskip(NEXT) | instid1(VALU_DEP_1)
	v_fmac_f32_e32 v9, v30, v9
	v_mul_f32_e32 v30, v31, v9
	s_delay_alu instid0(VALU_DEP_1) | instskip(NEXT) | instid1(VALU_DEP_1)
	v_fma_f32 v32, v8, v30, v31
	v_fmac_f32_e32 v30, v32, v9
	s_delay_alu instid0(VALU_DEP_1) | instskip(SKIP_1) | instid1(VALU_DEP_1)
	v_fmac_f32_e32 v31, v8, v30
	s_wait_alu 0xfffd
	v_div_fmas_f32 v8, v31, v9, v30
	s_delay_alu instid0(VALU_DEP_1) | instskip(NEXT) | instid1(VALU_DEP_1)
	v_div_fixup_f32 v8, v8, v14, v15
	v_fmac_f32_e32 v14, v15, v8
	s_delay_alu instid0(VALU_DEP_1) | instskip(SKIP_1) | instid1(VALU_DEP_2)
	v_div_scale_f32 v9, null, v14, v14, 1.0
	v_div_scale_f32 v31, vcc_lo, 1.0, v14, 1.0
	v_rcp_f32_e32 v15, v9
	v_xor_b32_e32 v9, 0x80000000, v9
	s_delay_alu instid0(TRANS32_DEP_1) | instid1(VALU_DEP_1)
	v_fma_f32 v30, v9, v15, 1.0
	s_delay_alu instid0(VALU_DEP_1) | instskip(NEXT) | instid1(VALU_DEP_1)
	v_fmac_f32_e32 v15, v30, v15
	v_mul_f32_e32 v30, v31, v15
	s_delay_alu instid0(VALU_DEP_1) | instskip(NEXT) | instid1(VALU_DEP_1)
	v_fma_f32 v32, v9, v30, v31
	v_fmac_f32_e32 v30, v32, v15
	s_delay_alu instid0(VALU_DEP_1) | instskip(SKIP_1) | instid1(VALU_DEP_1)
	v_fmac_f32_e32 v31, v9, v30
	s_wait_alu 0xfffd
	v_div_fmas_f32 v9, v31, v15, v30
	v_fma_f32 v15, v13, v8, v12
	v_fma_f32 v12, -v12, v8, v13
	s_delay_alu instid0(VALU_DEP_3) | instskip(NEXT) | instid1(VALU_DEP_1)
	v_div_fixup_f32 v9, v9, v14, 1.0
	v_mul_f32_e32 v8, v15, v9
	s_delay_alu instid0(VALU_DEP_3)
	v_mul_f32_e32 v9, v12, v9
.LBB172_58:                             ;   in Loop: Header=BB172_52 Depth=2
	s_lshl_b32 s39, s36, 8
	s_add_co_i32 s40, s35, -8
	s_wait_alu 0xfffe
	s_add_co_i32 s39, s38, s39
	s_wait_alu 0xfffe
	s_add_co_i32 s39, s39, -8
	s_wait_alu 0xfffe
	v_dual_mov_b32 v12, s40 :: v_dual_mov_b32 v13, s39
	s_mov_b32 s40, -1
	ds_load_b64 v[14:15], v12
	ds_load_b64 v[12:13], v13
	ds_store_b64 v29, v[8:9]
	s_wait_dscnt 0x1
	v_dual_mul_f32 v30, v9, v15 :: v_dual_and_b32 v31, 0x7fffffff, v12
	v_dual_mul_f32 v15, v8, v15 :: v_dual_and_b32 v32, 0x7fffffff, v13
	s_delay_alu instid0(VALU_DEP_2) | instskip(NEXT) | instid1(VALU_DEP_2)
	v_fma_f32 v30, v8, v14, -v30
	v_fmac_f32_e32 v15, v9, v14
	s_delay_alu instid0(VALU_DEP_3) | instskip(NEXT) | instid1(VALU_DEP_2)
	v_cmp_ngt_f32_e32 vcc_lo, v31, v32
	v_dual_sub_f32 v14, v10, v30 :: v_dual_sub_f32 v15, v11, v15
                                        ; implicit-def: $vgpr11
	s_cbranch_vccz .LBB172_60
; %bb.59:                               ;   in Loop: Header=BB172_52 Depth=2
	v_div_scale_f32 v10, null, v13, v13, v12
	v_div_scale_f32 v30, vcc_lo, v12, v13, v12
	s_mov_b32 s40, 0
	v_rcp_f32_e32 v11, v10
	v_xor_b32_e32 v10, 0x80000000, v10
	s_delay_alu instid0(TRANS32_DEP_1) | instid1(VALU_DEP_1)
	v_fma_f32 v29, v10, v11, 1.0
	s_delay_alu instid0(VALU_DEP_1) | instskip(NEXT) | instid1(VALU_DEP_1)
	v_fmac_f32_e32 v11, v29, v11
	v_mul_f32_e32 v29, v30, v11
	s_delay_alu instid0(VALU_DEP_1) | instskip(NEXT) | instid1(VALU_DEP_1)
	v_fma_f32 v31, v10, v29, v30
	v_fmac_f32_e32 v29, v31, v11
	s_delay_alu instid0(VALU_DEP_1) | instskip(SKIP_1) | instid1(VALU_DEP_1)
	v_fmac_f32_e32 v30, v10, v29
	s_wait_alu 0xfffd
	v_div_fmas_f32 v10, v30, v11, v29
	s_delay_alu instid0(VALU_DEP_1) | instskip(NEXT) | instid1(VALU_DEP_1)
	v_div_fixup_f32 v10, v10, v13, v12
	v_fma_f32 v11, v12, v10, v13
	s_delay_alu instid0(VALU_DEP_1) | instskip(SKIP_1) | instid1(VALU_DEP_2)
	v_div_scale_f32 v29, null, v11, v11, 1.0
	v_div_scale_f32 v32, vcc_lo, 1.0, v11, 1.0
	v_rcp_f32_e32 v30, v29
	v_xor_b32_e32 v29, 0x80000000, v29
	s_delay_alu instid0(TRANS32_DEP_1) | instid1(VALU_DEP_1)
	v_fma_f32 v31, v29, v30, 1.0
	s_delay_alu instid0(VALU_DEP_1) | instskip(NEXT) | instid1(VALU_DEP_1)
	v_fmac_f32_e32 v30, v31, v30
	v_mul_f32_e32 v31, v32, v30
	s_delay_alu instid0(VALU_DEP_1) | instskip(NEXT) | instid1(VALU_DEP_1)
	v_fma_f32 v33, v29, v31, v32
	v_fmac_f32_e32 v31, v33, v30
	s_delay_alu instid0(VALU_DEP_1) | instskip(SKIP_1) | instid1(VALU_DEP_1)
	v_fmac_f32_e32 v32, v29, v31
	s_wait_alu 0xfffd
	v_div_fmas_f32 v29, v32, v30, v31
	v_fma_f32 v30, v10, v14, v15
	s_delay_alu instid0(VALU_DEP_2) | instskip(SKIP_1) | instid1(VALU_DEP_2)
	v_div_fixup_f32 v11, v29, v11, 1.0
	v_fma_f32 v29, v10, v15, -v14
	v_mul_f32_e32 v10, v30, v11
	s_delay_alu instid0(VALU_DEP_2)
	v_mul_f32_e32 v11, v29, v11
.LBB172_60:                             ;   in Loop: Header=BB172_52 Depth=2
	s_wait_alu 0xfffe
	s_and_not1_b32 vcc_lo, exec_lo, s40
	s_wait_alu 0xfffe
	s_cbranch_vccnz .LBB172_62
; %bb.61:                               ;   in Loop: Header=BB172_52 Depth=2
	v_div_scale_f32 v10, null, v12, v12, v13
	v_div_scale_f32 v30, vcc_lo, v13, v12, v13
	s_delay_alu instid0(VALU_DEP_2)
	v_rcp_f32_e32 v11, v10
	v_xor_b32_e32 v10, 0x80000000, v10
	s_delay_alu instid0(TRANS32_DEP_1) | instid1(VALU_DEP_1)
	v_fma_f32 v29, v10, v11, 1.0
	s_delay_alu instid0(VALU_DEP_1) | instskip(NEXT) | instid1(VALU_DEP_1)
	v_fmac_f32_e32 v11, v29, v11
	v_mul_f32_e32 v29, v30, v11
	s_delay_alu instid0(VALU_DEP_1) | instskip(NEXT) | instid1(VALU_DEP_1)
	v_fma_f32 v31, v10, v29, v30
	v_fmac_f32_e32 v29, v31, v11
	s_delay_alu instid0(VALU_DEP_1) | instskip(SKIP_1) | instid1(VALU_DEP_1)
	v_fmac_f32_e32 v30, v10, v29
	s_wait_alu 0xfffd
	v_div_fmas_f32 v10, v30, v11, v29
	s_delay_alu instid0(VALU_DEP_1) | instskip(NEXT) | instid1(VALU_DEP_1)
	v_div_fixup_f32 v10, v10, v12, v13
	v_fmac_f32_e32 v12, v13, v10
	s_delay_alu instid0(VALU_DEP_1) | instskip(SKIP_1) | instid1(VALU_DEP_2)
	v_div_scale_f32 v11, null, v12, v12, 1.0
	v_div_scale_f32 v30, vcc_lo, 1.0, v12, 1.0
	v_rcp_f32_e32 v13, v11
	v_xor_b32_e32 v11, 0x80000000, v11
	s_delay_alu instid0(TRANS32_DEP_1) | instid1(VALU_DEP_1)
	v_fma_f32 v29, v11, v13, 1.0
	s_delay_alu instid0(VALU_DEP_1) | instskip(NEXT) | instid1(VALU_DEP_1)
	v_fmac_f32_e32 v13, v29, v13
	v_mul_f32_e32 v29, v30, v13
	s_delay_alu instid0(VALU_DEP_1) | instskip(NEXT) | instid1(VALU_DEP_1)
	v_fma_f32 v31, v11, v29, v30
	v_fmac_f32_e32 v29, v31, v13
	s_delay_alu instid0(VALU_DEP_1) | instskip(SKIP_1) | instid1(VALU_DEP_1)
	v_fmac_f32_e32 v30, v11, v29
	s_wait_alu 0xfffd
	v_div_fmas_f32 v11, v30, v13, v29
	v_fma_f32 v13, v10, v15, v14
	s_delay_alu instid0(VALU_DEP_2) | instskip(SKIP_1) | instid1(VALU_DEP_2)
	v_div_fixup_f32 v11, v11, v12, 1.0
	v_fma_f32 v12, -v10, v14, v15
	v_mul_f32_e32 v10, v13, v11
	s_delay_alu instid0(VALU_DEP_2)
	v_mul_f32_e32 v11, v12, v11
.LBB172_62:                             ;   in Loop: Header=BB172_52 Depth=2
	s_lshl_b32 s40, s37, 8
	s_lshl_b32 s36, s36, 3
	s_wait_alu 0xfffe
	s_add_co_i32 s40, s38, s40
	s_sub_co_i32 s38, s39, s36
	s_lshl_b32 s37, s37, 3
	s_add_co_i32 s36, s35, -16
	s_wait_alu 0xfffe
	s_add_co_i32 s39, s38, s37
	s_wait_alu 0xfffe
	v_dual_mov_b32 v12, s36 :: v_dual_mov_b32 v13, s39
	s_add_co_i32 s36, s40, -16
	s_mov_b32 s39, -1
	s_wait_alu 0xfffe
	v_mov_b32_e32 v31, s36
	ds_load_b64 v[14:15], v12
	ds_load_b64 v[29:30], v13
	;; [unrolled: 1-line block ×3, first 2 shown]
	ds_store_b64 v28, v[10:11]
	s_wait_dscnt 0x3
	v_mul_f32_e32 v31, v9, v15
	s_wait_dscnt 0x2
	v_dual_mul_f32 v15, v8, v15 :: v_dual_mul_f32 v32, v11, v30
	s_wait_dscnt 0x1
	v_dual_mul_f32 v30, v10, v30 :: v_dual_and_b32 v33, 0x7fffffff, v12
	v_fma_f32 v31, v8, v14, -v31
	s_delay_alu instid0(VALU_DEP_3) | instskip(SKIP_1) | instid1(VALU_DEP_4)
	v_dual_fmac_f32 v15, v9, v14 :: v_dual_and_b32 v14, 0x7fffffff, v13
	v_fma_f32 v32, v10, v29, -v32
	v_fmac_f32_e32 v30, v11, v29
	s_delay_alu instid0(VALU_DEP_4) | instskip(NEXT) | instid1(VALU_DEP_4)
	v_sub_f32_e32 v2, v2, v31
	v_sub_f32_e32 v3, v3, v15
	v_cmp_ngt_f32_e32 vcc_lo, v33, v14
                                        ; implicit-def: $vgpr15
	s_delay_alu instid0(VALU_DEP_2)
	v_dual_sub_f32 v2, v2, v32 :: v_dual_sub_f32 v3, v3, v30
	s_cbranch_vccz .LBB172_64
; %bb.63:                               ;   in Loop: Header=BB172_52 Depth=2
	v_div_scale_f32 v14, null, v13, v13, v12
	v_div_scale_f32 v29, vcc_lo, v12, v13, v12
	s_mov_b32 s39, 0
	v_rcp_f32_e32 v15, v14
	v_xor_b32_e32 v14, 0x80000000, v14
	s_delay_alu instid0(TRANS32_DEP_1) | instid1(VALU_DEP_1)
	v_fma_f32 v28, v14, v15, 1.0
	s_delay_alu instid0(VALU_DEP_1) | instskip(NEXT) | instid1(VALU_DEP_1)
	v_fmac_f32_e32 v15, v28, v15
	v_mul_f32_e32 v28, v29, v15
	s_delay_alu instid0(VALU_DEP_1) | instskip(NEXT) | instid1(VALU_DEP_1)
	v_fma_f32 v30, v14, v28, v29
	v_fmac_f32_e32 v28, v30, v15
	s_delay_alu instid0(VALU_DEP_1) | instskip(SKIP_1) | instid1(VALU_DEP_1)
	v_fmac_f32_e32 v29, v14, v28
	s_wait_alu 0xfffd
	v_div_fmas_f32 v14, v29, v15, v28
	s_delay_alu instid0(VALU_DEP_1) | instskip(NEXT) | instid1(VALU_DEP_1)
	v_div_fixup_f32 v14, v14, v13, v12
	v_fma_f32 v15, v12, v14, v13
	s_delay_alu instid0(VALU_DEP_1) | instskip(SKIP_1) | instid1(VALU_DEP_2)
	v_div_scale_f32 v28, null, v15, v15, 1.0
	v_div_scale_f32 v31, vcc_lo, 1.0, v15, 1.0
	v_rcp_f32_e32 v29, v28
	v_xor_b32_e32 v28, 0x80000000, v28
	s_delay_alu instid0(TRANS32_DEP_1) | instid1(VALU_DEP_1)
	v_fma_f32 v30, v28, v29, 1.0
	s_delay_alu instid0(VALU_DEP_1) | instskip(NEXT) | instid1(VALU_DEP_1)
	v_fmac_f32_e32 v29, v30, v29
	v_mul_f32_e32 v30, v31, v29
	s_delay_alu instid0(VALU_DEP_1) | instskip(NEXT) | instid1(VALU_DEP_1)
	v_fma_f32 v32, v28, v30, v31
	v_fmac_f32_e32 v30, v32, v29
	s_delay_alu instid0(VALU_DEP_1) | instskip(SKIP_1) | instid1(VALU_DEP_1)
	v_fmac_f32_e32 v31, v28, v30
	s_wait_alu 0xfffd
	v_div_fmas_f32 v28, v31, v29, v30
	v_fma_f32 v29, v14, v2, v3
	s_delay_alu instid0(VALU_DEP_2) | instskip(SKIP_1) | instid1(VALU_DEP_2)
	v_div_fixup_f32 v15, v28, v15, 1.0
	v_fma_f32 v28, v14, v3, -v2
	v_mul_f32_e32 v14, v29, v15
	s_delay_alu instid0(VALU_DEP_2)
	v_mul_f32_e32 v15, v28, v15
.LBB172_64:                             ;   in Loop: Header=BB172_52 Depth=2
	s_wait_alu 0xfffe
	s_and_not1_b32 vcc_lo, exec_lo, s39
	s_wait_alu 0xfffe
	s_cbranch_vccnz .LBB172_66
; %bb.65:                               ;   in Loop: Header=BB172_52 Depth=2
	v_div_scale_f32 v14, null, v12, v12, v13
	v_div_scale_f32 v29, vcc_lo, v13, v12, v13
	s_delay_alu instid0(VALU_DEP_2)
	v_rcp_f32_e32 v15, v14
	v_xor_b32_e32 v14, 0x80000000, v14
	s_delay_alu instid0(TRANS32_DEP_1) | instid1(VALU_DEP_1)
	v_fma_f32 v28, v14, v15, 1.0
	s_delay_alu instid0(VALU_DEP_1) | instskip(NEXT) | instid1(VALU_DEP_1)
	v_fmac_f32_e32 v15, v28, v15
	v_mul_f32_e32 v28, v29, v15
	s_delay_alu instid0(VALU_DEP_1) | instskip(NEXT) | instid1(VALU_DEP_1)
	v_fma_f32 v30, v14, v28, v29
	v_fmac_f32_e32 v28, v30, v15
	s_delay_alu instid0(VALU_DEP_1) | instskip(SKIP_1) | instid1(VALU_DEP_1)
	v_fmac_f32_e32 v29, v14, v28
	s_wait_alu 0xfffd
	v_div_fmas_f32 v14, v29, v15, v28
	s_delay_alu instid0(VALU_DEP_1) | instskip(NEXT) | instid1(VALU_DEP_1)
	v_div_fixup_f32 v14, v14, v12, v13
	v_fmac_f32_e32 v12, v13, v14
	s_delay_alu instid0(VALU_DEP_1) | instskip(SKIP_1) | instid1(VALU_DEP_2)
	v_div_scale_f32 v13, null, v12, v12, 1.0
	v_div_scale_f32 v29, vcc_lo, 1.0, v12, 1.0
	v_rcp_f32_e32 v15, v13
	v_xor_b32_e32 v13, 0x80000000, v13
	s_delay_alu instid0(TRANS32_DEP_1) | instid1(VALU_DEP_1)
	v_fma_f32 v28, v13, v15, 1.0
	s_delay_alu instid0(VALU_DEP_1) | instskip(NEXT) | instid1(VALU_DEP_1)
	v_fmac_f32_e32 v15, v28, v15
	v_mul_f32_e32 v28, v29, v15
	s_delay_alu instid0(VALU_DEP_1) | instskip(NEXT) | instid1(VALU_DEP_1)
	v_fma_f32 v30, v13, v28, v29
	v_fmac_f32_e32 v28, v30, v15
	s_delay_alu instid0(VALU_DEP_1) | instskip(SKIP_1) | instid1(VALU_DEP_1)
	v_fmac_f32_e32 v29, v13, v28
	s_wait_alu 0xfffd
	v_div_fmas_f32 v13, v29, v15, v28
	v_fma_f32 v15, v14, v3, v2
	v_fma_f32 v2, -v14, v2, v3
	s_delay_alu instid0(VALU_DEP_3) | instskip(NEXT) | instid1(VALU_DEP_1)
	v_div_fixup_f32 v12, v13, v12, 1.0
	v_mul_f32_e32 v14, v15, v12
	s_delay_alu instid0(VALU_DEP_3)
	v_mul_f32_e32 v15, v2, v12
.LBB172_66:                             ;   in Loop: Header=BB172_52 Depth=2
	s_sub_co_i32 s35, s35, 24
	s_lshl_b32 s34, s34, 3
	s_wait_alu 0xfffe
	v_mov_b32_e32 v2, s35
	s_add_co_i32 s35, s38, s34
	s_sub_co_i32 s37, s36, s37
	s_wait_alu 0xfffe
	v_mov_b32_e32 v3, s35
	s_add_co_i32 s34, s37, s34
	ds_load_b64 v[12:13], v2
	ds_load_b64 v[28:29], v3
	s_wait_alu 0xfffe
	v_mov_b32_e32 v30, s34
	s_add_co_i32 s34, s36, 0xfffffef8
	s_wait_alu 0xfffe
	v_mov_b32_e32 v2, s34
	s_mov_b32 s34, -1
	s_wait_dscnt 0x1
	v_mul_f32_e32 v32, v9, v13
	v_mul_f32_e32 v13, v8, v13
	s_wait_dscnt 0x0
	v_mul_f32_e32 v33, v11, v29
	ds_load_b64 v[30:31], v30
	ds_load_b64 v[2:3], v2
	v_mul_f32_e32 v29, v10, v29
	v_fmac_f32_e32 v13, v9, v12
	ds_store_b64 v27, v[14:15]
	v_fma_f32 v10, v10, v28, -v33
	s_wait_dscnt 0x2
	v_mul_f32_e32 v34, v15, v31
	v_mul_f32_e32 v31, v14, v31
	v_fma_f32 v8, v8, v12, -v32
	s_wait_dscnt 0x1
	v_and_b32_e32 v9, 0x7fffffff, v2
	s_delay_alu instid0(VALU_DEP_2) | instskip(SKIP_2) | instid1(VALU_DEP_3)
	v_dual_fmac_f32 v31, v15, v30 :: v_dual_sub_f32 v0, v0, v8
	v_dual_fmac_f32 v29, v11, v28 :: v_dual_and_b32 v8, 0x7fffffff, v3
	v_fma_f32 v11, v14, v30, -v34
	v_dual_sub_f32 v0, v0, v10 :: v_dual_sub_f32 v1, v1, v13
	s_delay_alu instid0(VALU_DEP_3) | instskip(NEXT) | instid1(VALU_DEP_2)
	v_cmp_ngt_f32_e32 vcc_lo, v9, v8
	v_dual_sub_f32 v8, v0, v11 :: v_dual_sub_f32 v1, v1, v29
	s_delay_alu instid0(VALU_DEP_1)
	v_sub_f32_e32 v9, v1, v31
                                        ; implicit-def: $vgpr1
	s_cbranch_vccz .LBB172_68
; %bb.67:                               ;   in Loop: Header=BB172_52 Depth=2
	v_div_scale_f32 v0, null, v3, v3, v2
	v_div_scale_f32 v11, vcc_lo, v2, v3, v2
	s_mov_b32 s34, 0
	v_rcp_f32_e32 v1, v0
	v_xor_b32_e32 v0, 0x80000000, v0
	s_delay_alu instid0(TRANS32_DEP_1) | instid1(VALU_DEP_1)
	v_fma_f32 v10, v0, v1, 1.0
	s_delay_alu instid0(VALU_DEP_1) | instskip(NEXT) | instid1(VALU_DEP_1)
	v_fmac_f32_e32 v1, v10, v1
	v_mul_f32_e32 v10, v11, v1
	s_delay_alu instid0(VALU_DEP_1) | instskip(NEXT) | instid1(VALU_DEP_1)
	v_fma_f32 v12, v0, v10, v11
	v_fmac_f32_e32 v10, v12, v1
	s_delay_alu instid0(VALU_DEP_1) | instskip(SKIP_1) | instid1(VALU_DEP_1)
	v_fmac_f32_e32 v11, v0, v10
	s_wait_alu 0xfffd
	v_div_fmas_f32 v0, v11, v1, v10
	s_delay_alu instid0(VALU_DEP_1) | instskip(NEXT) | instid1(VALU_DEP_1)
	v_div_fixup_f32 v0, v0, v3, v2
	v_fma_f32 v1, v2, v0, v3
	s_delay_alu instid0(VALU_DEP_1) | instskip(SKIP_1) | instid1(VALU_DEP_2)
	v_div_scale_f32 v10, null, v1, v1, 1.0
	v_div_scale_f32 v13, vcc_lo, 1.0, v1, 1.0
	v_rcp_f32_e32 v11, v10
	v_xor_b32_e32 v10, 0x80000000, v10
	s_delay_alu instid0(TRANS32_DEP_1) | instid1(VALU_DEP_1)
	v_fma_f32 v12, v10, v11, 1.0
	s_delay_alu instid0(VALU_DEP_1) | instskip(NEXT) | instid1(VALU_DEP_1)
	v_fmac_f32_e32 v11, v12, v11
	v_mul_f32_e32 v12, v13, v11
	s_delay_alu instid0(VALU_DEP_1) | instskip(NEXT) | instid1(VALU_DEP_1)
	v_fma_f32 v14, v10, v12, v13
	v_fmac_f32_e32 v12, v14, v11
	s_delay_alu instid0(VALU_DEP_1) | instskip(SKIP_1) | instid1(VALU_DEP_1)
	v_fmac_f32_e32 v13, v10, v12
	s_wait_alu 0xfffd
	v_div_fmas_f32 v10, v13, v11, v12
	v_fma_f32 v11, v0, v8, v9
	s_delay_alu instid0(VALU_DEP_2) | instskip(SKIP_1) | instid1(VALU_DEP_2)
	v_div_fixup_f32 v1, v10, v1, 1.0
	v_fma_f32 v10, v0, v9, -v8
	v_mul_f32_e32 v0, v11, v1
	s_delay_alu instid0(VALU_DEP_2)
	v_mul_f32_e32 v1, v10, v1
.LBB172_68:                             ;   in Loop: Header=BB172_52 Depth=2
	s_wait_alu 0xfffe
	s_and_not1_b32 vcc_lo, exec_lo, s34
	s_wait_alu 0xfffe
	s_cbranch_vccnz .LBB172_70
; %bb.69:                               ;   in Loop: Header=BB172_52 Depth=2
	v_div_scale_f32 v0, null, v2, v2, v3
	v_div_scale_f32 v11, vcc_lo, v3, v2, v3
	s_delay_alu instid0(VALU_DEP_2)
	v_rcp_f32_e32 v1, v0
	v_xor_b32_e32 v0, 0x80000000, v0
	s_delay_alu instid0(TRANS32_DEP_1) | instid1(VALU_DEP_1)
	v_fma_f32 v10, v0, v1, 1.0
	s_delay_alu instid0(VALU_DEP_1) | instskip(NEXT) | instid1(VALU_DEP_1)
	v_fmac_f32_e32 v1, v10, v1
	v_mul_f32_e32 v10, v11, v1
	s_delay_alu instid0(VALU_DEP_1) | instskip(NEXT) | instid1(VALU_DEP_1)
	v_fma_f32 v12, v0, v10, v11
	v_fmac_f32_e32 v10, v12, v1
	s_delay_alu instid0(VALU_DEP_1) | instskip(SKIP_1) | instid1(VALU_DEP_1)
	v_fmac_f32_e32 v11, v0, v10
	s_wait_alu 0xfffd
	v_div_fmas_f32 v0, v11, v1, v10
	s_delay_alu instid0(VALU_DEP_1) | instskip(NEXT) | instid1(VALU_DEP_1)
	v_div_fixup_f32 v0, v0, v2, v3
	v_fmac_f32_e32 v2, v3, v0
	s_delay_alu instid0(VALU_DEP_1) | instskip(SKIP_1) | instid1(VALU_DEP_2)
	v_div_scale_f32 v1, null, v2, v2, 1.0
	v_div_scale_f32 v11, vcc_lo, 1.0, v2, 1.0
	v_rcp_f32_e32 v3, v1
	v_xor_b32_e32 v1, 0x80000000, v1
	s_delay_alu instid0(TRANS32_DEP_1) | instid1(VALU_DEP_1)
	v_fma_f32 v10, v1, v3, 1.0
	s_delay_alu instid0(VALU_DEP_1) | instskip(NEXT) | instid1(VALU_DEP_1)
	v_fmac_f32_e32 v3, v10, v3
	v_mul_f32_e32 v10, v11, v3
	s_delay_alu instid0(VALU_DEP_1) | instskip(NEXT) | instid1(VALU_DEP_1)
	v_fma_f32 v12, v1, v10, v11
	v_fmac_f32_e32 v10, v12, v3
	s_delay_alu instid0(VALU_DEP_1) | instskip(SKIP_1) | instid1(VALU_DEP_1)
	v_fmac_f32_e32 v11, v1, v10
	s_wait_alu 0xfffd
	v_div_fmas_f32 v1, v11, v3, v10
	v_fma_f32 v3, v0, v9, v8
	s_delay_alu instid0(VALU_DEP_2) | instskip(SKIP_1) | instid1(VALU_DEP_2)
	v_div_fixup_f32 v1, v1, v2, 1.0
	v_fma_f32 v2, -v0, v8, v9
	v_mul_f32_e32 v0, v3, v1
	s_delay_alu instid0(VALU_DEP_2)
	v_mul_f32_e32 v1, v2, v1
.LBB172_70:                             ;   in Loop: Header=BB172_52 Depth=2
	s_add_co_i32 s34, s15, -4
	s_sub_co_i32 s14, s14, 32
	s_cmp_lt_i32 s15, 7
	ds_store_b64 v26, v[0:1]
	s_cbranch_scc1 .LBB172_72
; %bb.71:                               ;   in Loop: Header=BB172_52 Depth=2
	s_wait_alu 0xfffe
	s_mov_b32 s15, s34
	s_branch .LBB172_52
.LBB172_72:                             ;   in Loop: Header=BB172_3 Depth=1
	s_wait_alu 0xfffe
	s_cmp_lt_i32 s34, 0
	s_cbranch_scc1 .LBB172_81
; %bb.73:                               ;   in Loop: Header=BB172_3 Depth=1
	s_lshl_b32 s14, s34, 3
	s_wait_alu 0xfffe
	s_add_co_i32 s14, s23, s14
	s_branch .LBB172_75
.LBB172_74:                             ;   in Loop: Header=BB172_75 Depth=2
	s_add_co_i32 s15, s34, -1
	s_add_co_i32 s14, s14, -8
	s_cmp_lt_i32 s34, 1
	s_wait_alu 0xfffe
	s_mov_b32 s34, s15
	ds_store_b64 v10, v[8:9]
	s_cbranch_scc1 .LBB172_81
.LBB172_75:                             ;   Parent Loop BB172_3 Depth=1
                                        ; =>  This Loop Header: Depth=2
                                        ;       Child Loop BB172_76 Depth 3
	s_wait_alu 0xfffe
	s_lshl_b32 s15, s34, 8
	v_mov_b32_e32 v2, v23
	s_wait_alu 0xfffe
	v_add_nc_u32_e32 v10, s15, v17
	s_cmp_le_i32 s27, s34
	s_mov_b32 s35, s14
	s_mov_b32 s36, s27
	ds_load_b64 v[0:1], v10
	s_cbranch_scc1 .LBB172_77
.LBB172_76:                             ;   Parent Loop BB172_3 Depth=1
                                        ;     Parent Loop BB172_75 Depth=2
                                        ; =>    This Inner Loop Header: Depth=3
	s_wait_alu 0xfffe
	v_mov_b32_e32 v3, s35
	s_add_co_i32 s36, s36, -1
	s_addk_co_i32 s35, 0xff00
	s_wait_alu 0xfffe
	s_cmp_le_i32 s36, s34
	ds_load_b64 v[8:9], v2
	ds_load_b64 v[11:12], v3
	s_wait_dscnt 0x0
	v_dual_mul_f32 v3, v12, v9 :: v_dual_add_nc_u32 v2, 0xffffff00, v2
	s_delay_alu instid0(VALU_DEP_1) | instskip(NEXT) | instid1(VALU_DEP_1)
	v_fma_f32 v3, v11, v8, -v3
	v_dual_mul_f32 v9, v11, v9 :: v_dual_sub_f32 v0, v0, v3
	s_delay_alu instid0(VALU_DEP_1) | instskip(NEXT) | instid1(VALU_DEP_1)
	v_fmac_f32_e32 v9, v12, v8
	v_sub_f32_e32 v1, v1, v9
	s_cbranch_scc0 .LBB172_76
.LBB172_77:                             ;   in Loop: Header=BB172_75 Depth=2
	s_lshl_b32 s35, s34, 3
	s_wait_alu 0xfffe
	s_add_co_i32 s15, s35, s15
	s_wait_alu 0xfffe
	v_mov_b32_e32 v2, s15
	s_mov_b32 s15, -1
	ds_load_b64 v[2:3], v2
	s_wait_dscnt 0x0
	v_and_b32_e32 v8, 0x7fffffff, v2
	v_and_b32_e32 v9, 0x7fffffff, v3
	s_delay_alu instid0(VALU_DEP_1)
	v_cmp_ngt_f32_e32 vcc_lo, v8, v9
                                        ; implicit-def: $vgpr8
	s_cbranch_vccz .LBB172_79
; %bb.78:                               ;   in Loop: Header=BB172_75 Depth=2
	v_div_scale_f32 v8, null, v3, v3, v2
	v_div_scale_f32 v12, vcc_lo, v2, v3, v2
	s_mov_b32 s15, 0
	v_rcp_f32_e32 v9, v8
	v_xor_b32_e32 v8, 0x80000000, v8
	s_delay_alu instid0(TRANS32_DEP_1) | instid1(VALU_DEP_1)
	v_fma_f32 v11, v8, v9, 1.0
	s_delay_alu instid0(VALU_DEP_1) | instskip(NEXT) | instid1(VALU_DEP_1)
	v_fmac_f32_e32 v9, v11, v9
	v_mul_f32_e32 v11, v12, v9
	s_delay_alu instid0(VALU_DEP_1) | instskip(NEXT) | instid1(VALU_DEP_1)
	v_fma_f32 v13, v8, v11, v12
	v_fmac_f32_e32 v11, v13, v9
	s_delay_alu instid0(VALU_DEP_1) | instskip(SKIP_1) | instid1(VALU_DEP_1)
	v_fmac_f32_e32 v12, v8, v11
	s_wait_alu 0xfffd
	v_div_fmas_f32 v8, v12, v9, v11
	s_delay_alu instid0(VALU_DEP_1) | instskip(NEXT) | instid1(VALU_DEP_1)
	v_div_fixup_f32 v8, v8, v3, v2
	v_fma_f32 v9, v2, v8, v3
	s_delay_alu instid0(VALU_DEP_1) | instskip(SKIP_1) | instid1(VALU_DEP_2)
	v_div_scale_f32 v11, null, v9, v9, 1.0
	v_div_scale_f32 v14, vcc_lo, 1.0, v9, 1.0
	v_rcp_f32_e32 v12, v11
	v_xor_b32_e32 v11, 0x80000000, v11
	s_delay_alu instid0(TRANS32_DEP_1) | instid1(VALU_DEP_1)
	v_fma_f32 v13, v11, v12, 1.0
	s_delay_alu instid0(VALU_DEP_1) | instskip(NEXT) | instid1(VALU_DEP_1)
	v_fmac_f32_e32 v12, v13, v12
	v_mul_f32_e32 v13, v14, v12
	s_delay_alu instid0(VALU_DEP_1) | instskip(NEXT) | instid1(VALU_DEP_1)
	v_fma_f32 v15, v11, v13, v14
	v_fmac_f32_e32 v13, v15, v12
	s_delay_alu instid0(VALU_DEP_1) | instskip(SKIP_1) | instid1(VALU_DEP_1)
	v_fmac_f32_e32 v14, v11, v13
	s_wait_alu 0xfffd
	v_div_fmas_f32 v11, v14, v12, v13
	v_fma_f32 v12, v0, v8, v1
	s_delay_alu instid0(VALU_DEP_2) | instskip(SKIP_1) | instid1(VALU_DEP_2)
	v_div_fixup_f32 v9, v11, v9, 1.0
	v_fma_f32 v11, v1, v8, -v0
	v_mul_f32_e32 v8, v12, v9
	s_delay_alu instid0(VALU_DEP_2)
	v_mul_f32_e32 v9, v11, v9
.LBB172_79:                             ;   in Loop: Header=BB172_75 Depth=2
	s_wait_alu 0xfffe
	s_and_not1_b32 vcc_lo, exec_lo, s15
	s_wait_alu 0xfffe
	s_cbranch_vccnz .LBB172_74
; %bb.80:                               ;   in Loop: Header=BB172_75 Depth=2
	v_div_scale_f32 v8, null, v2, v2, v3
	v_div_scale_f32 v12, vcc_lo, v3, v2, v3
	s_delay_alu instid0(VALU_DEP_2)
	v_rcp_f32_e32 v9, v8
	v_xor_b32_e32 v8, 0x80000000, v8
	s_delay_alu instid0(TRANS32_DEP_1) | instid1(VALU_DEP_1)
	v_fma_f32 v11, v8, v9, 1.0
	s_delay_alu instid0(VALU_DEP_1) | instskip(NEXT) | instid1(VALU_DEP_1)
	v_fmac_f32_e32 v9, v11, v9
	v_mul_f32_e32 v11, v12, v9
	s_delay_alu instid0(VALU_DEP_1) | instskip(NEXT) | instid1(VALU_DEP_1)
	v_fma_f32 v13, v8, v11, v12
	v_fmac_f32_e32 v11, v13, v9
	s_delay_alu instid0(VALU_DEP_1) | instskip(SKIP_1) | instid1(VALU_DEP_1)
	v_fmac_f32_e32 v12, v8, v11
	s_wait_alu 0xfffd
	v_div_fmas_f32 v8, v12, v9, v11
	s_delay_alu instid0(VALU_DEP_1) | instskip(NEXT) | instid1(VALU_DEP_1)
	v_div_fixup_f32 v8, v8, v2, v3
	v_fmac_f32_e32 v2, v3, v8
	s_delay_alu instid0(VALU_DEP_1) | instskip(SKIP_1) | instid1(VALU_DEP_2)
	v_div_scale_f32 v3, null, v2, v2, 1.0
	v_div_scale_f32 v12, vcc_lo, 1.0, v2, 1.0
	v_rcp_f32_e32 v9, v3
	v_xor_b32_e32 v3, 0x80000000, v3
	s_delay_alu instid0(TRANS32_DEP_1) | instid1(VALU_DEP_1)
	v_fma_f32 v11, v3, v9, 1.0
	s_delay_alu instid0(VALU_DEP_1) | instskip(NEXT) | instid1(VALU_DEP_1)
	v_fmac_f32_e32 v9, v11, v9
	v_mul_f32_e32 v11, v12, v9
	s_delay_alu instid0(VALU_DEP_1) | instskip(NEXT) | instid1(VALU_DEP_1)
	v_fma_f32 v13, v3, v11, v12
	v_fmac_f32_e32 v11, v13, v9
	s_delay_alu instid0(VALU_DEP_1) | instskip(SKIP_1) | instid1(VALU_DEP_1)
	v_fmac_f32_e32 v12, v3, v11
	s_wait_alu 0xfffd
	v_div_fmas_f32 v3, v12, v9, v11
	v_fma_f32 v9, v1, v8, v0
	v_fma_f32 v0, -v0, v8, v1
	s_delay_alu instid0(VALU_DEP_3) | instskip(NEXT) | instid1(VALU_DEP_1)
	v_div_fixup_f32 v2, v3, v2, 1.0
	v_mul_f32_e32 v8, v9, v2
	s_delay_alu instid0(VALU_DEP_3)
	v_mul_f32_e32 v9, v0, v2
	s_branch .LBB172_74
.LBB172_81:                             ;   in Loop: Header=BB172_3 Depth=1
	s_mov_b32 s14, 0
.LBB172_82:                             ;   in Loop: Header=BB172_3 Depth=1
	s_wait_alu 0xfffe
	s_and_not1_b32 vcc_lo, exec_lo, s14
	s_wait_alu 0xfffe
	s_cbranch_vccnz .LBB172_114
; %bb.83:                               ;   in Loop: Header=BB172_3 Depth=1
	s_mov_b32 s34, s27
	s_and_not1_b32 vcc_lo, exec_lo, s31
	s_mov_b32 s14, s24
	s_mov_b32 s15, s27
	s_wait_alu 0xfffe
	s_cbranch_vccnz .LBB172_105
.LBB172_84:                             ;   Parent Loop BB172_3 Depth=1
                                        ; =>  This Loop Header: Depth=2
                                        ;       Child Loop BB172_85 Depth 3
	s_wait_alu 0xfffe
	s_add_co_i32 s37, s15, -1
	v_lshl_add_u32 v29, s15, 8, v17
	s_add_co_i32 s36, s15, -2
	s_wait_alu 0xfffe
	v_lshl_add_u32 v28, s37, 8, v17
	s_add_co_i32 s34, s15, -3
	v_lshl_add_u32 v27, s36, 8, v17
	s_wait_alu 0xfffe
	v_lshl_add_u32 v26, s34, 8, v17
	ds_load_b64 v[0:1], v29
	ds_load_b64 v[14:15], v28
	;; [unrolled: 1-line block ×4, first 2 shown]
	v_mov_b32_e32 v2, v23
	s_cmp_le_i32 s27, s15
	s_mov_b32 s35, s14
	s_mov_b32 s38, s27
	s_cbranch_scc1 .LBB172_86
.LBB172_85:                             ;   Parent Loop BB172_3 Depth=1
                                        ;     Parent Loop BB172_84 Depth=2
                                        ; =>    This Inner Loop Header: Depth=3
	s_wait_alu 0xfffe
	v_mov_b32_e32 v3, s35
	s_add_co_i32 s38, s38, -1
	s_add_co_i32 s35, s35, -8
	s_wait_alu 0xfffe
	s_cmp_le_i32 s38, s15
	ds_load_b64 v[12:13], v2
	ds_load_2addr_b64 v[30:33], v3 offset0:64 offset1:96
	ds_load_2addr_b64 v[34:37], v3 offset1:32
	s_wait_dscnt 0x1
	v_dual_mul_f32 v3, v33, v13 :: v_dual_add_nc_u32 v2, 0xffffff00, v2
	v_mul_f32_e32 v38, v32, v13
	v_mul_f32_e32 v39, v31, v13
	s_wait_dscnt 0x0
	v_dual_mul_f32 v31, v31, v12 :: v_dual_mul_f32 v40, v37, v13
	v_mul_f32_e32 v41, v35, v13
	v_mul_f32_e32 v35, v35, v12
	v_fma_f32 v3, v32, v12, -v3
	v_mul_f32_e32 v37, v37, v12
	v_fmac_f32_e32 v38, v33, v12
	v_fma_f32 v32, v30, v12, -v39
	v_fmac_f32_e32 v31, v30, v13
	v_fma_f32 v30, v36, v12, -v40
	v_dual_fmac_f32 v35, v34, v13 :: v_dual_sub_f32 v0, v0, v3
	v_fmac_f32_e32 v37, v36, v13
	v_sub_f32_e32 v1, v1, v38
	s_delay_alu instid0(VALU_DEP_4) | instskip(SKIP_1) | instid1(VALU_DEP_4)
	v_sub_f32_e32 v10, v10, v30
	v_fma_f32 v12, v34, v12, -v41
	v_dual_sub_f32 v14, v14, v32 :: v_dual_sub_f32 v11, v11, v37
	s_delay_alu instid0(VALU_DEP_2)
	v_dual_sub_f32 v9, v9, v35 :: v_dual_sub_f32 v8, v8, v12
	v_sub_f32_e32 v15, v15, v31
	s_cbranch_scc0 .LBB172_85
.LBB172_86:                             ;   in Loop: Header=BB172_84 Depth=2
	s_lshl_b32 s39, s37, 5
	s_lshl_b32 s38, s36, 5
	;; [unrolled: 1-line block ×3, first 2 shown]
; %bb.87:                               ;   in Loop: Header=BB172_84 Depth=2
	s_mul_i32 s40, s15, 0x108
	s_wait_alu 0xfffe
	v_mov_b32_e32 v2, s40
	s_mov_b32 s40, -1
	ds_load_b64 v[2:3], v2
	s_wait_dscnt 0x0
	v_and_b32_e32 v12, 0x7fffffff, v2
	v_and_b32_e32 v13, 0x7fffffff, v3
	s_delay_alu instid0(VALU_DEP_1)
	v_cmp_ngt_f32_e32 vcc_lo, v12, v13
                                        ; implicit-def: $vgpr13
	s_cbranch_vccz .LBB172_89
; %bb.88:                               ;   in Loop: Header=BB172_84 Depth=2
	v_div_scale_f32 v12, null, v3, v3, v2
	v_div_scale_f32 v31, vcc_lo, v2, v3, v2
	s_mov_b32 s40, 0
	v_rcp_f32_e32 v13, v12
	v_xor_b32_e32 v12, 0x80000000, v12
	s_delay_alu instid0(TRANS32_DEP_1) | instid1(VALU_DEP_1)
	v_fma_f32 v30, v12, v13, 1.0
	s_delay_alu instid0(VALU_DEP_1) | instskip(NEXT) | instid1(VALU_DEP_1)
	v_fmac_f32_e32 v13, v30, v13
	v_mul_f32_e32 v30, v31, v13
	s_delay_alu instid0(VALU_DEP_1) | instskip(NEXT) | instid1(VALU_DEP_1)
	v_fma_f32 v32, v12, v30, v31
	v_fmac_f32_e32 v30, v32, v13
	s_delay_alu instid0(VALU_DEP_1) | instskip(SKIP_1) | instid1(VALU_DEP_1)
	v_fmac_f32_e32 v31, v12, v30
	s_wait_alu 0xfffd
	v_div_fmas_f32 v12, v31, v13, v30
	s_delay_alu instid0(VALU_DEP_1) | instskip(NEXT) | instid1(VALU_DEP_1)
	v_div_fixup_f32 v12, v12, v3, v2
	v_fma_f32 v13, v2, v12, v3
	s_delay_alu instid0(VALU_DEP_1) | instskip(SKIP_1) | instid1(VALU_DEP_2)
	v_div_scale_f32 v30, null, v13, v13, 1.0
	v_div_scale_f32 v33, vcc_lo, 1.0, v13, 1.0
	v_rcp_f32_e32 v31, v30
	v_xor_b32_e32 v30, 0x80000000, v30
	s_delay_alu instid0(TRANS32_DEP_1) | instid1(VALU_DEP_1)
	v_fma_f32 v32, v30, v31, 1.0
	s_delay_alu instid0(VALU_DEP_1) | instskip(NEXT) | instid1(VALU_DEP_1)
	v_fmac_f32_e32 v31, v32, v31
	v_mul_f32_e32 v32, v33, v31
	s_delay_alu instid0(VALU_DEP_1) | instskip(NEXT) | instid1(VALU_DEP_1)
	v_fma_f32 v34, v30, v32, v33
	v_fmac_f32_e32 v32, v34, v31
	s_delay_alu instid0(VALU_DEP_1) | instskip(SKIP_1) | instid1(VALU_DEP_1)
	v_fmac_f32_e32 v33, v30, v32
	s_wait_alu 0xfffd
	v_div_fmas_f32 v30, v33, v31, v32
	v_fma_f32 v31, v0, v12, v1
	s_delay_alu instid0(VALU_DEP_2) | instskip(SKIP_1) | instid1(VALU_DEP_2)
	v_div_fixup_f32 v13, v30, v13, 1.0
	v_fma_f32 v30, v1, v12, -v0
	v_mul_f32_e32 v12, v31, v13
	s_delay_alu instid0(VALU_DEP_2)
	v_mul_f32_e32 v13, v30, v13
.LBB172_89:                             ;   in Loop: Header=BB172_84 Depth=2
	s_wait_alu 0xfffe
	s_and_not1_b32 vcc_lo, exec_lo, s40
	s_wait_alu 0xfffe
	s_cbranch_vccnz .LBB172_91
; %bb.90:                               ;   in Loop: Header=BB172_84 Depth=2
	v_div_scale_f32 v12, null, v2, v2, v3
	v_div_scale_f32 v31, vcc_lo, v3, v2, v3
	s_delay_alu instid0(VALU_DEP_2)
	v_rcp_f32_e32 v13, v12
	v_xor_b32_e32 v12, 0x80000000, v12
	s_delay_alu instid0(TRANS32_DEP_1) | instid1(VALU_DEP_1)
	v_fma_f32 v30, v12, v13, 1.0
	s_delay_alu instid0(VALU_DEP_1) | instskip(NEXT) | instid1(VALU_DEP_1)
	v_fmac_f32_e32 v13, v30, v13
	v_mul_f32_e32 v30, v31, v13
	s_delay_alu instid0(VALU_DEP_1) | instskip(NEXT) | instid1(VALU_DEP_1)
	v_fma_f32 v32, v12, v30, v31
	v_fmac_f32_e32 v30, v32, v13
	s_delay_alu instid0(VALU_DEP_1) | instskip(SKIP_1) | instid1(VALU_DEP_1)
	v_fmac_f32_e32 v31, v12, v30
	s_wait_alu 0xfffd
	v_div_fmas_f32 v12, v31, v13, v30
	s_delay_alu instid0(VALU_DEP_1) | instskip(NEXT) | instid1(VALU_DEP_1)
	v_div_fixup_f32 v12, v12, v2, v3
	v_fmac_f32_e32 v2, v3, v12
	s_delay_alu instid0(VALU_DEP_1) | instskip(SKIP_1) | instid1(VALU_DEP_2)
	v_div_scale_f32 v3, null, v2, v2, 1.0
	v_div_scale_f32 v31, vcc_lo, 1.0, v2, 1.0
	v_rcp_f32_e32 v13, v3
	v_xor_b32_e32 v3, 0x80000000, v3
	s_delay_alu instid0(TRANS32_DEP_1) | instid1(VALU_DEP_1)
	v_fma_f32 v30, v3, v13, 1.0
	s_delay_alu instid0(VALU_DEP_1) | instskip(NEXT) | instid1(VALU_DEP_1)
	v_fmac_f32_e32 v13, v30, v13
	v_mul_f32_e32 v30, v31, v13
	s_delay_alu instid0(VALU_DEP_1) | instskip(NEXT) | instid1(VALU_DEP_1)
	v_fma_f32 v32, v3, v30, v31
	v_fmac_f32_e32 v30, v32, v13
	s_delay_alu instid0(VALU_DEP_1) | instskip(SKIP_1) | instid1(VALU_DEP_1)
	v_fmac_f32_e32 v31, v3, v30
	s_wait_alu 0xfffd
	v_div_fmas_f32 v3, v31, v13, v30
	v_fma_f32 v13, v1, v12, v0
	v_fma_f32 v0, -v0, v12, v1
	s_delay_alu instid0(VALU_DEP_3) | instskip(NEXT) | instid1(VALU_DEP_1)
	v_div_fixup_f32 v2, v3, v2, 1.0
	v_mul_f32_e32 v12, v13, v2
	s_delay_alu instid0(VALU_DEP_3)
	v_mul_f32_e32 v13, v0, v2
.LBB172_91:                             ;   in Loop: Header=BB172_84 Depth=2
	s_lshl_b32 s39, s39, 3
	s_lshl_b32 s37, s37, 3
	ds_store_b64 v29, v[12:13]
	s_wait_alu 0xfffe
	s_add_co_i32 s37, s39, s37
	s_wait_alu 0xfffe
	v_mov_b32_e32 v0, s37
	s_mov_b32 s37, -1
	ds_load_2addr_b64 v[0:3], v0 offset1:1
	s_wait_dscnt 0x0
	v_dual_mul_f32 v30, v13, v3 :: v_dual_and_b32 v31, 0x7fffffff, v0
	v_dual_mul_f32 v3, v12, v3 :: v_dual_and_b32 v32, 0x7fffffff, v1
	s_delay_alu instid0(VALU_DEP_2) | instskip(NEXT) | instid1(VALU_DEP_2)
	v_fma_f32 v30, v12, v2, -v30
	v_fmac_f32_e32 v3, v13, v2
	s_delay_alu instid0(VALU_DEP_3) | instskip(NEXT) | instid1(VALU_DEP_2)
	v_cmp_ngt_f32_e32 vcc_lo, v31, v32
	v_dual_sub_f32 v2, v14, v30 :: v_dual_sub_f32 v3, v15, v3
                                        ; implicit-def: $vgpr15
	s_cbranch_vccz .LBB172_93
; %bb.92:                               ;   in Loop: Header=BB172_84 Depth=2
	v_div_scale_f32 v14, null, v1, v1, v0
	v_div_scale_f32 v30, vcc_lo, v0, v1, v0
	s_mov_b32 s37, 0
	v_rcp_f32_e32 v15, v14
	v_xor_b32_e32 v14, 0x80000000, v14
	s_delay_alu instid0(TRANS32_DEP_1) | instid1(VALU_DEP_1)
	v_fma_f32 v29, v14, v15, 1.0
	s_delay_alu instid0(VALU_DEP_1) | instskip(NEXT) | instid1(VALU_DEP_1)
	v_fmac_f32_e32 v15, v29, v15
	v_mul_f32_e32 v29, v30, v15
	s_delay_alu instid0(VALU_DEP_1) | instskip(NEXT) | instid1(VALU_DEP_1)
	v_fma_f32 v31, v14, v29, v30
	v_fmac_f32_e32 v29, v31, v15
	s_delay_alu instid0(VALU_DEP_1) | instskip(SKIP_1) | instid1(VALU_DEP_1)
	v_fmac_f32_e32 v30, v14, v29
	s_wait_alu 0xfffd
	v_div_fmas_f32 v14, v30, v15, v29
	s_delay_alu instid0(VALU_DEP_1) | instskip(NEXT) | instid1(VALU_DEP_1)
	v_div_fixup_f32 v14, v14, v1, v0
	v_fma_f32 v15, v0, v14, v1
	s_delay_alu instid0(VALU_DEP_1) | instskip(SKIP_1) | instid1(VALU_DEP_2)
	v_div_scale_f32 v29, null, v15, v15, 1.0
	v_div_scale_f32 v32, vcc_lo, 1.0, v15, 1.0
	v_rcp_f32_e32 v30, v29
	v_xor_b32_e32 v29, 0x80000000, v29
	s_delay_alu instid0(TRANS32_DEP_1) | instid1(VALU_DEP_1)
	v_fma_f32 v31, v29, v30, 1.0
	s_delay_alu instid0(VALU_DEP_1) | instskip(NEXT) | instid1(VALU_DEP_1)
	v_fmac_f32_e32 v30, v31, v30
	v_mul_f32_e32 v31, v32, v30
	s_delay_alu instid0(VALU_DEP_1) | instskip(NEXT) | instid1(VALU_DEP_1)
	v_fma_f32 v33, v29, v31, v32
	v_fmac_f32_e32 v31, v33, v30
	s_delay_alu instid0(VALU_DEP_1) | instskip(SKIP_1) | instid1(VALU_DEP_1)
	v_fmac_f32_e32 v32, v29, v31
	s_wait_alu 0xfffd
	v_div_fmas_f32 v29, v32, v30, v31
	v_fma_f32 v30, v14, v2, v3
	s_delay_alu instid0(VALU_DEP_2) | instskip(SKIP_1) | instid1(VALU_DEP_2)
	v_div_fixup_f32 v15, v29, v15, 1.0
	v_fma_f32 v29, v14, v3, -v2
	v_mul_f32_e32 v14, v30, v15
	s_delay_alu instid0(VALU_DEP_2)
	v_mul_f32_e32 v15, v29, v15
.LBB172_93:                             ;   in Loop: Header=BB172_84 Depth=2
	s_wait_alu 0xfffe
	s_and_not1_b32 vcc_lo, exec_lo, s37
	s_wait_alu 0xfffe
	s_cbranch_vccnz .LBB172_95
; %bb.94:                               ;   in Loop: Header=BB172_84 Depth=2
	v_div_scale_f32 v14, null, v0, v0, v1
	v_div_scale_f32 v30, vcc_lo, v1, v0, v1
	s_delay_alu instid0(VALU_DEP_2)
	v_rcp_f32_e32 v15, v14
	v_xor_b32_e32 v14, 0x80000000, v14
	s_delay_alu instid0(TRANS32_DEP_1) | instid1(VALU_DEP_1)
	v_fma_f32 v29, v14, v15, 1.0
	s_delay_alu instid0(VALU_DEP_1) | instskip(NEXT) | instid1(VALU_DEP_1)
	v_fmac_f32_e32 v15, v29, v15
	v_mul_f32_e32 v29, v30, v15
	s_delay_alu instid0(VALU_DEP_1) | instskip(NEXT) | instid1(VALU_DEP_1)
	v_fma_f32 v31, v14, v29, v30
	v_fmac_f32_e32 v29, v31, v15
	s_delay_alu instid0(VALU_DEP_1) | instskip(SKIP_1) | instid1(VALU_DEP_1)
	v_fmac_f32_e32 v30, v14, v29
	s_wait_alu 0xfffd
	v_div_fmas_f32 v14, v30, v15, v29
	s_delay_alu instid0(VALU_DEP_1) | instskip(NEXT) | instid1(VALU_DEP_1)
	v_div_fixup_f32 v14, v14, v0, v1
	v_fmac_f32_e32 v0, v1, v14
	s_delay_alu instid0(VALU_DEP_1) | instskip(SKIP_1) | instid1(VALU_DEP_2)
	v_div_scale_f32 v1, null, v0, v0, 1.0
	v_div_scale_f32 v30, vcc_lo, 1.0, v0, 1.0
	v_rcp_f32_e32 v15, v1
	v_xor_b32_e32 v1, 0x80000000, v1
	s_delay_alu instid0(TRANS32_DEP_1) | instid1(VALU_DEP_1)
	v_fma_f32 v29, v1, v15, 1.0
	s_delay_alu instid0(VALU_DEP_1) | instskip(NEXT) | instid1(VALU_DEP_1)
	v_fmac_f32_e32 v15, v29, v15
	v_mul_f32_e32 v29, v30, v15
	s_delay_alu instid0(VALU_DEP_1) | instskip(NEXT) | instid1(VALU_DEP_1)
	v_fma_f32 v31, v1, v29, v30
	v_fmac_f32_e32 v29, v31, v15
	s_delay_alu instid0(VALU_DEP_1) | instskip(SKIP_1) | instid1(VALU_DEP_1)
	v_fmac_f32_e32 v30, v1, v29
	s_wait_alu 0xfffd
	v_div_fmas_f32 v1, v30, v15, v29
	v_fma_f32 v15, v14, v3, v2
	s_delay_alu instid0(VALU_DEP_2) | instskip(SKIP_1) | instid1(VALU_DEP_2)
	v_div_fixup_f32 v0, v1, v0, 1.0
	v_fma_f32 v1, -v14, v2, v3
	v_mul_f32_e32 v14, v15, v0
	s_delay_alu instid0(VALU_DEP_2)
	v_mul_f32_e32 v15, v1, v0
.LBB172_95:                             ;   in Loop: Header=BB172_84 Depth=2
	s_lshl_b32 s38, s38, 3
	s_lshl_b32 s37, s15, 3
	;; [unrolled: 1-line block ×3, first 2 shown]
	s_wait_alu 0xfffe
	s_add_co_i32 s39, s38, s37
	s_add_co_i32 s36, s38, s36
	s_wait_alu 0xfffe
	v_dual_mov_b32 v0, s39 :: v_dual_mov_b32 v1, s36
	s_mov_b32 s36, -1
	ds_load_b64 v[29:30], v0
	ds_load_2addr_b64 v[0:3], v1 offset1:1
	ds_store_b64 v28, v[14:15]
	s_wait_dscnt 0x1
	v_dual_mul_f32 v31, v13, v30 :: v_dual_mul_f32 v32, v15, v3
	v_dual_mul_f32 v30, v12, v30 :: v_dual_mul_f32 v3, v14, v3
	v_and_b32_e32 v33, 0x7fffffff, v0
	s_delay_alu instid0(VALU_DEP_3) | instskip(NEXT) | instid1(VALU_DEP_4)
	v_fma_f32 v31, v12, v29, -v31
	v_fma_f32 v32, v14, v2, -v32
	s_delay_alu instid0(VALU_DEP_4) | instskip(SKIP_1) | instid1(VALU_DEP_4)
	v_fmac_f32_e32 v30, v13, v29
	v_and_b32_e32 v29, 0x7fffffff, v1
	v_dual_fmac_f32 v3, v15, v2 :: v_dual_sub_f32 v2, v10, v31
	s_delay_alu instid0(VALU_DEP_3) | instskip(NEXT) | instid1(VALU_DEP_3)
	v_sub_f32_e32 v10, v11, v30
	v_cmp_ngt_f32_e32 vcc_lo, v33, v29
	s_delay_alu instid0(VALU_DEP_3) | instskip(NEXT) | instid1(VALU_DEP_3)
	v_sub_f32_e32 v2, v2, v32
	v_sub_f32_e32 v3, v10, v3
                                        ; implicit-def: $vgpr11
	s_cbranch_vccz .LBB172_97
; %bb.96:                               ;   in Loop: Header=BB172_84 Depth=2
	v_div_scale_f32 v10, null, v1, v1, v0
	v_div_scale_f32 v29, vcc_lo, v0, v1, v0
	s_mov_b32 s36, 0
	v_rcp_f32_e32 v11, v10
	v_xor_b32_e32 v10, 0x80000000, v10
	s_delay_alu instid0(TRANS32_DEP_1) | instid1(VALU_DEP_1)
	v_fma_f32 v28, v10, v11, 1.0
	s_delay_alu instid0(VALU_DEP_1) | instskip(NEXT) | instid1(VALU_DEP_1)
	v_fmac_f32_e32 v11, v28, v11
	v_mul_f32_e32 v28, v29, v11
	s_delay_alu instid0(VALU_DEP_1) | instskip(NEXT) | instid1(VALU_DEP_1)
	v_fma_f32 v30, v10, v28, v29
	v_fmac_f32_e32 v28, v30, v11
	s_delay_alu instid0(VALU_DEP_1) | instskip(SKIP_1) | instid1(VALU_DEP_1)
	v_fmac_f32_e32 v29, v10, v28
	s_wait_alu 0xfffd
	v_div_fmas_f32 v10, v29, v11, v28
	s_delay_alu instid0(VALU_DEP_1) | instskip(NEXT) | instid1(VALU_DEP_1)
	v_div_fixup_f32 v10, v10, v1, v0
	v_fma_f32 v11, v0, v10, v1
	s_delay_alu instid0(VALU_DEP_1) | instskip(SKIP_1) | instid1(VALU_DEP_2)
	v_div_scale_f32 v28, null, v11, v11, 1.0
	v_div_scale_f32 v31, vcc_lo, 1.0, v11, 1.0
	v_rcp_f32_e32 v29, v28
	v_xor_b32_e32 v28, 0x80000000, v28
	s_delay_alu instid0(TRANS32_DEP_1) | instid1(VALU_DEP_1)
	v_fma_f32 v30, v28, v29, 1.0
	s_delay_alu instid0(VALU_DEP_1) | instskip(NEXT) | instid1(VALU_DEP_1)
	v_fmac_f32_e32 v29, v30, v29
	v_mul_f32_e32 v30, v31, v29
	s_delay_alu instid0(VALU_DEP_1) | instskip(NEXT) | instid1(VALU_DEP_1)
	v_fma_f32 v32, v28, v30, v31
	v_fmac_f32_e32 v30, v32, v29
	s_delay_alu instid0(VALU_DEP_1) | instskip(SKIP_1) | instid1(VALU_DEP_1)
	v_fmac_f32_e32 v31, v28, v30
	s_wait_alu 0xfffd
	v_div_fmas_f32 v28, v31, v29, v30
	v_fma_f32 v29, v10, v2, v3
	s_delay_alu instid0(VALU_DEP_2) | instskip(SKIP_1) | instid1(VALU_DEP_2)
	v_div_fixup_f32 v11, v28, v11, 1.0
	v_fma_f32 v28, v10, v3, -v2
	v_mul_f32_e32 v10, v29, v11
	s_delay_alu instid0(VALU_DEP_2)
	v_mul_f32_e32 v11, v28, v11
.LBB172_97:                             ;   in Loop: Header=BB172_84 Depth=2
	s_wait_alu 0xfffe
	s_and_not1_b32 vcc_lo, exec_lo, s36
	s_wait_alu 0xfffe
	s_cbranch_vccnz .LBB172_99
; %bb.98:                               ;   in Loop: Header=BB172_84 Depth=2
	v_div_scale_f32 v10, null, v0, v0, v1
	v_div_scale_f32 v29, vcc_lo, v1, v0, v1
	s_delay_alu instid0(VALU_DEP_2)
	v_rcp_f32_e32 v11, v10
	v_xor_b32_e32 v10, 0x80000000, v10
	s_delay_alu instid0(TRANS32_DEP_1) | instid1(VALU_DEP_1)
	v_fma_f32 v28, v10, v11, 1.0
	s_delay_alu instid0(VALU_DEP_1) | instskip(NEXT) | instid1(VALU_DEP_1)
	v_fmac_f32_e32 v11, v28, v11
	v_mul_f32_e32 v28, v29, v11
	s_delay_alu instid0(VALU_DEP_1) | instskip(NEXT) | instid1(VALU_DEP_1)
	v_fma_f32 v30, v10, v28, v29
	v_fmac_f32_e32 v28, v30, v11
	s_delay_alu instid0(VALU_DEP_1) | instskip(SKIP_1) | instid1(VALU_DEP_1)
	v_fmac_f32_e32 v29, v10, v28
	s_wait_alu 0xfffd
	v_div_fmas_f32 v10, v29, v11, v28
	s_delay_alu instid0(VALU_DEP_1) | instskip(NEXT) | instid1(VALU_DEP_1)
	v_div_fixup_f32 v10, v10, v0, v1
	v_fmac_f32_e32 v0, v1, v10
	s_delay_alu instid0(VALU_DEP_1) | instskip(SKIP_1) | instid1(VALU_DEP_2)
	v_div_scale_f32 v1, null, v0, v0, 1.0
	v_div_scale_f32 v29, vcc_lo, 1.0, v0, 1.0
	v_rcp_f32_e32 v11, v1
	v_xor_b32_e32 v1, 0x80000000, v1
	s_delay_alu instid0(TRANS32_DEP_1) | instid1(VALU_DEP_1)
	v_fma_f32 v28, v1, v11, 1.0
	s_delay_alu instid0(VALU_DEP_1) | instskip(NEXT) | instid1(VALU_DEP_1)
	v_fmac_f32_e32 v11, v28, v11
	v_mul_f32_e32 v28, v29, v11
	s_delay_alu instid0(VALU_DEP_1) | instskip(NEXT) | instid1(VALU_DEP_1)
	v_fma_f32 v30, v1, v28, v29
	v_fmac_f32_e32 v28, v30, v11
	s_delay_alu instid0(VALU_DEP_1) | instskip(SKIP_1) | instid1(VALU_DEP_1)
	v_fmac_f32_e32 v29, v1, v28
	s_wait_alu 0xfffd
	v_div_fmas_f32 v1, v29, v11, v28
	v_fma_f32 v11, v10, v3, v2
	s_delay_alu instid0(VALU_DEP_2) | instskip(SKIP_1) | instid1(VALU_DEP_2)
	v_div_fixup_f32 v0, v1, v0, 1.0
	v_fma_f32 v1, -v10, v2, v3
	v_mul_f32_e32 v10, v11, v0
	s_delay_alu instid0(VALU_DEP_2)
	v_mul_f32_e32 v11, v1, v0
.LBB172_99:                             ;   in Loop: Header=BB172_84 Depth=2
	s_lshl_b32 s35, s35, 3
	s_lshl_b32 s34, s34, 3
	s_wait_alu 0xfffe
	s_add_co_i32 s36, s35, s37
	s_add_co_i32 s34, s35, s34
	s_wait_alu 0xfffe
	s_add_co_i32 s36, s36, -8
	s_wait_alu 0xfffe
	v_dual_mov_b32 v1, s34 :: v_dual_mov_b32 v0, s36
	s_mov_b32 s34, -1
	ds_load_2addr_b64 v[28:31], v0 offset1:1
	ds_load_2addr_b64 v[0:3], v1 offset1:1
	ds_store_b64 v27, v[10:11]
	s_wait_dscnt 0x2
	v_dual_mul_f32 v32, v13, v31 :: v_dual_mul_f32 v33, v15, v29
	v_mul_f32_e32 v31, v12, v31
	s_wait_dscnt 0x1
	v_dual_mul_f32 v29, v14, v29 :: v_dual_mul_f32 v34, v11, v3
	s_delay_alu instid0(VALU_DEP_3) | instskip(SKIP_2) | instid1(VALU_DEP_3)
	v_fma_f32 v12, v12, v30, -v32
	v_mul_f32_e32 v3, v10, v3
	v_fma_f32 v14, v14, v28, -v33
	v_sub_f32_e32 v8, v8, v12
	v_dual_fmac_f32 v29, v15, v28 :: v_dual_and_b32 v12, 0x7fffffff, v1
	v_fma_f32 v15, v10, v2, -v34
	v_fmac_f32_e32 v3, v11, v2
	s_delay_alu instid0(VALU_DEP_4) | instskip(SKIP_1) | instid1(VALU_DEP_2)
	v_sub_f32_e32 v2, v8, v14
	v_fmac_f32_e32 v31, v13, v30
	v_dual_sub_f32 v8, v2, v15 :: v_dual_and_b32 v13, 0x7fffffff, v0
	s_delay_alu instid0(VALU_DEP_2) | instskip(NEXT) | instid1(VALU_DEP_2)
	v_sub_f32_e32 v9, v9, v31
	v_cmp_ngt_f32_e32 vcc_lo, v13, v12
	s_delay_alu instid0(VALU_DEP_2) | instskip(NEXT) | instid1(VALU_DEP_1)
	v_sub_f32_e32 v9, v9, v29
	v_sub_f32_e32 v9, v9, v3
                                        ; implicit-def: $vgpr3
	s_cbranch_vccz .LBB172_101
; %bb.100:                              ;   in Loop: Header=BB172_84 Depth=2
	v_div_scale_f32 v2, null, v1, v1, v0
	v_div_scale_f32 v11, vcc_lo, v0, v1, v0
	s_mov_b32 s34, 0
	v_rcp_f32_e32 v3, v2
	v_xor_b32_e32 v2, 0x80000000, v2
	s_delay_alu instid0(TRANS32_DEP_1) | instid1(VALU_DEP_1)
	v_fma_f32 v10, v2, v3, 1.0
	s_delay_alu instid0(VALU_DEP_1) | instskip(NEXT) | instid1(VALU_DEP_1)
	v_fmac_f32_e32 v3, v10, v3
	v_mul_f32_e32 v10, v11, v3
	s_delay_alu instid0(VALU_DEP_1) | instskip(NEXT) | instid1(VALU_DEP_1)
	v_fma_f32 v12, v2, v10, v11
	v_fmac_f32_e32 v10, v12, v3
	s_delay_alu instid0(VALU_DEP_1) | instskip(SKIP_1) | instid1(VALU_DEP_1)
	v_fmac_f32_e32 v11, v2, v10
	s_wait_alu 0xfffd
	v_div_fmas_f32 v2, v11, v3, v10
	s_delay_alu instid0(VALU_DEP_1) | instskip(NEXT) | instid1(VALU_DEP_1)
	v_div_fixup_f32 v2, v2, v1, v0
	v_fma_f32 v3, v0, v2, v1
	s_delay_alu instid0(VALU_DEP_1) | instskip(SKIP_1) | instid1(VALU_DEP_2)
	v_div_scale_f32 v10, null, v3, v3, 1.0
	v_div_scale_f32 v13, vcc_lo, 1.0, v3, 1.0
	v_rcp_f32_e32 v11, v10
	v_xor_b32_e32 v10, 0x80000000, v10
	s_delay_alu instid0(TRANS32_DEP_1) | instid1(VALU_DEP_1)
	v_fma_f32 v12, v10, v11, 1.0
	s_delay_alu instid0(VALU_DEP_1) | instskip(NEXT) | instid1(VALU_DEP_1)
	v_fmac_f32_e32 v11, v12, v11
	v_mul_f32_e32 v12, v13, v11
	s_delay_alu instid0(VALU_DEP_1) | instskip(NEXT) | instid1(VALU_DEP_1)
	v_fma_f32 v14, v10, v12, v13
	v_fmac_f32_e32 v12, v14, v11
	s_delay_alu instid0(VALU_DEP_1) | instskip(SKIP_1) | instid1(VALU_DEP_1)
	v_fmac_f32_e32 v13, v10, v12
	s_wait_alu 0xfffd
	v_div_fmas_f32 v10, v13, v11, v12
	v_fma_f32 v11, v2, v8, v9
	s_delay_alu instid0(VALU_DEP_2) | instskip(SKIP_1) | instid1(VALU_DEP_2)
	v_div_fixup_f32 v3, v10, v3, 1.0
	v_fma_f32 v10, v2, v9, -v8
	v_mul_f32_e32 v2, v11, v3
	s_delay_alu instid0(VALU_DEP_2)
	v_mul_f32_e32 v3, v10, v3
.LBB172_101:                            ;   in Loop: Header=BB172_84 Depth=2
	s_wait_alu 0xfffe
	s_and_not1_b32 vcc_lo, exec_lo, s34
	s_wait_alu 0xfffe
	s_cbranch_vccnz .LBB172_103
; %bb.102:                              ;   in Loop: Header=BB172_84 Depth=2
	v_div_scale_f32 v2, null, v0, v0, v1
	v_div_scale_f32 v11, vcc_lo, v1, v0, v1
	s_delay_alu instid0(VALU_DEP_2)
	v_rcp_f32_e32 v3, v2
	v_xor_b32_e32 v2, 0x80000000, v2
	s_delay_alu instid0(TRANS32_DEP_1) | instid1(VALU_DEP_1)
	v_fma_f32 v10, v2, v3, 1.0
	s_delay_alu instid0(VALU_DEP_1) | instskip(NEXT) | instid1(VALU_DEP_1)
	v_fmac_f32_e32 v3, v10, v3
	v_mul_f32_e32 v10, v11, v3
	s_delay_alu instid0(VALU_DEP_1) | instskip(NEXT) | instid1(VALU_DEP_1)
	v_fma_f32 v12, v2, v10, v11
	v_fmac_f32_e32 v10, v12, v3
	s_delay_alu instid0(VALU_DEP_1) | instskip(SKIP_1) | instid1(VALU_DEP_1)
	v_fmac_f32_e32 v11, v2, v10
	s_wait_alu 0xfffd
	v_div_fmas_f32 v2, v11, v3, v10
	s_delay_alu instid0(VALU_DEP_1) | instskip(NEXT) | instid1(VALU_DEP_1)
	v_div_fixup_f32 v2, v2, v0, v1
	v_fmac_f32_e32 v0, v1, v2
	s_delay_alu instid0(VALU_DEP_1) | instskip(SKIP_1) | instid1(VALU_DEP_2)
	v_div_scale_f32 v1, null, v0, v0, 1.0
	v_div_scale_f32 v11, vcc_lo, 1.0, v0, 1.0
	v_rcp_f32_e32 v3, v1
	v_xor_b32_e32 v1, 0x80000000, v1
	s_delay_alu instid0(TRANS32_DEP_1) | instid1(VALU_DEP_1)
	v_fma_f32 v10, v1, v3, 1.0
	s_delay_alu instid0(VALU_DEP_1) | instskip(NEXT) | instid1(VALU_DEP_1)
	v_fmac_f32_e32 v3, v10, v3
	v_mul_f32_e32 v10, v11, v3
	s_delay_alu instid0(VALU_DEP_1) | instskip(NEXT) | instid1(VALU_DEP_1)
	v_fma_f32 v12, v1, v10, v11
	v_fmac_f32_e32 v10, v12, v3
	s_delay_alu instid0(VALU_DEP_1) | instskip(SKIP_1) | instid1(VALU_DEP_1)
	v_fmac_f32_e32 v11, v1, v10
	s_wait_alu 0xfffd
	v_div_fmas_f32 v1, v11, v3, v10
	v_fma_f32 v3, v2, v9, v8
	s_delay_alu instid0(VALU_DEP_2) | instskip(SKIP_1) | instid1(VALU_DEP_2)
	v_div_fixup_f32 v0, v1, v0, 1.0
	v_fma_f32 v1, -v2, v8, v9
	v_mul_f32_e32 v2, v3, v0
	s_delay_alu instid0(VALU_DEP_2)
	v_mul_f32_e32 v3, v1, v0
.LBB172_103:                            ;   in Loop: Header=BB172_84 Depth=2
	s_add_co_i32 s34, s15, -4
	s_addk_co_i32 s14, 0xfc00
	s_cmp_lt_i32 s15, 7
	ds_store_b64 v26, v[2:3]
	s_cbranch_scc1 .LBB172_105
; %bb.104:                              ;   in Loop: Header=BB172_84 Depth=2
	s_wait_alu 0xfffe
	s_mov_b32 s15, s34
	s_branch .LBB172_84
.LBB172_105:                            ;   in Loop: Header=BB172_3 Depth=1
	s_wait_alu 0xfffe
	s_cmp_lt_i32 s34, 0
	s_cbranch_scc1 .LBB172_114
; %bb.106:                              ;   in Loop: Header=BB172_3 Depth=1
	s_lshl_b32 s14, s34, 8
	s_wait_alu 0xfffe
	s_add_co_i32 s14, s25, s14
	s_branch .LBB172_108
.LBB172_107:                            ;   in Loop: Header=BB172_108 Depth=2
	v_sub_co_u32 v0, s15, s34, 1
	s_and_b32 vcc_lo, exec_lo, s15
	s_addk_co_i32 s14, 0xff00
	ds_store_b64 v10, v[8:9]
	v_readfirstlane_b32 s34, v0
	s_wait_alu 0xfffe
	s_cbranch_vccnz .LBB172_114
.LBB172_108:                            ;   Parent Loop BB172_3 Depth=1
                                        ; =>  This Loop Header: Depth=2
                                        ;       Child Loop BB172_109 Depth 3
	s_wait_alu 0xf1ff
	v_lshl_add_u32 v10, s34, 8, v17
	v_mov_b32_e32 v2, v23
	s_cmp_le_i32 s27, s34
	s_wait_alu 0xfffe
	s_mov_b32 s15, s14
	s_mov_b32 s35, s27
	ds_load_b64 v[0:1], v10
	s_cbranch_scc1 .LBB172_110
.LBB172_109:                            ;   Parent Loop BB172_3 Depth=1
                                        ;     Parent Loop BB172_108 Depth=2
                                        ; =>    This Inner Loop Header: Depth=3
	s_wait_alu 0xfffe
	v_mov_b32_e32 v3, s15
	s_add_co_i32 s35, s35, -1
	s_add_co_i32 s15, s15, -8
	s_wait_alu 0xfffe
	s_cmp_le_u32 s35, s34
	ds_load_b64 v[8:9], v2
	ds_load_b64 v[11:12], v3
	s_wait_dscnt 0x0
	v_dual_mul_f32 v3, v12, v9 :: v_dual_add_nc_u32 v2, 0xffffff00, v2
	s_delay_alu instid0(VALU_DEP_1) | instskip(NEXT) | instid1(VALU_DEP_1)
	v_fma_f32 v3, v11, v8, -v3
	v_dual_mul_f32 v9, v11, v9 :: v_dual_sub_f32 v0, v0, v3
	s_delay_alu instid0(VALU_DEP_1) | instskip(NEXT) | instid1(VALU_DEP_1)
	v_fmac_f32_e32 v9, v12, v8
	v_sub_f32_e32 v1, v1, v9
	s_cbranch_scc0 .LBB172_109
.LBB172_110:                            ;   in Loop: Header=BB172_108 Depth=2
	s_mul_i32 s15, s34, 0x108
	s_wait_alu 0xfffe
	v_mov_b32_e32 v2, s15
	s_mov_b32 s15, -1
	ds_load_b64 v[2:3], v2
	s_wait_dscnt 0x0
	v_and_b32_e32 v8, 0x7fffffff, v2
	v_and_b32_e32 v9, 0x7fffffff, v3
	s_delay_alu instid0(VALU_DEP_1)
	v_cmp_ngt_f32_e32 vcc_lo, v8, v9
                                        ; implicit-def: $vgpr8
	s_cbranch_vccz .LBB172_112
; %bb.111:                              ;   in Loop: Header=BB172_108 Depth=2
	v_div_scale_f32 v8, null, v3, v3, v2
	v_div_scale_f32 v12, vcc_lo, v2, v3, v2
	s_mov_b32 s15, 0
	v_rcp_f32_e32 v9, v8
	v_xor_b32_e32 v8, 0x80000000, v8
	s_delay_alu instid0(TRANS32_DEP_1) | instid1(VALU_DEP_1)
	v_fma_f32 v11, v8, v9, 1.0
	s_delay_alu instid0(VALU_DEP_1) | instskip(NEXT) | instid1(VALU_DEP_1)
	v_fmac_f32_e32 v9, v11, v9
	v_mul_f32_e32 v11, v12, v9
	s_delay_alu instid0(VALU_DEP_1) | instskip(NEXT) | instid1(VALU_DEP_1)
	v_fma_f32 v13, v8, v11, v12
	v_fmac_f32_e32 v11, v13, v9
	s_delay_alu instid0(VALU_DEP_1) | instskip(SKIP_1) | instid1(VALU_DEP_1)
	v_fmac_f32_e32 v12, v8, v11
	s_wait_alu 0xfffd
	v_div_fmas_f32 v8, v12, v9, v11
	s_delay_alu instid0(VALU_DEP_1) | instskip(NEXT) | instid1(VALU_DEP_1)
	v_div_fixup_f32 v8, v8, v3, v2
	v_fma_f32 v9, v2, v8, v3
	s_delay_alu instid0(VALU_DEP_1) | instskip(SKIP_1) | instid1(VALU_DEP_2)
	v_div_scale_f32 v11, null, v9, v9, 1.0
	v_div_scale_f32 v14, vcc_lo, 1.0, v9, 1.0
	v_rcp_f32_e32 v12, v11
	v_xor_b32_e32 v11, 0x80000000, v11
	s_delay_alu instid0(TRANS32_DEP_1) | instid1(VALU_DEP_1)
	v_fma_f32 v13, v11, v12, 1.0
	s_delay_alu instid0(VALU_DEP_1) | instskip(NEXT) | instid1(VALU_DEP_1)
	v_fmac_f32_e32 v12, v13, v12
	v_mul_f32_e32 v13, v14, v12
	s_delay_alu instid0(VALU_DEP_1) | instskip(NEXT) | instid1(VALU_DEP_1)
	v_fma_f32 v15, v11, v13, v14
	v_fmac_f32_e32 v13, v15, v12
	s_delay_alu instid0(VALU_DEP_1) | instskip(SKIP_1) | instid1(VALU_DEP_1)
	v_fmac_f32_e32 v14, v11, v13
	s_wait_alu 0xfffd
	v_div_fmas_f32 v11, v14, v12, v13
	v_fma_f32 v12, v0, v8, v1
	s_delay_alu instid0(VALU_DEP_2) | instskip(SKIP_1) | instid1(VALU_DEP_2)
	v_div_fixup_f32 v9, v11, v9, 1.0
	v_fma_f32 v11, v1, v8, -v0
	v_mul_f32_e32 v8, v12, v9
	s_delay_alu instid0(VALU_DEP_2)
	v_mul_f32_e32 v9, v11, v9
.LBB172_112:                            ;   in Loop: Header=BB172_108 Depth=2
	s_wait_alu 0xfffe
	s_and_not1_b32 vcc_lo, exec_lo, s15
	s_wait_alu 0xfffe
	s_cbranch_vccnz .LBB172_107
; %bb.113:                              ;   in Loop: Header=BB172_108 Depth=2
	v_div_scale_f32 v8, null, v2, v2, v3
	v_div_scale_f32 v12, vcc_lo, v3, v2, v3
	s_delay_alu instid0(VALU_DEP_2)
	v_rcp_f32_e32 v9, v8
	v_xor_b32_e32 v8, 0x80000000, v8
	s_delay_alu instid0(TRANS32_DEP_1) | instid1(VALU_DEP_1)
	v_fma_f32 v11, v8, v9, 1.0
	s_delay_alu instid0(VALU_DEP_1) | instskip(NEXT) | instid1(VALU_DEP_1)
	v_fmac_f32_e32 v9, v11, v9
	v_mul_f32_e32 v11, v12, v9
	s_delay_alu instid0(VALU_DEP_1) | instskip(NEXT) | instid1(VALU_DEP_1)
	v_fma_f32 v13, v8, v11, v12
	v_fmac_f32_e32 v11, v13, v9
	s_delay_alu instid0(VALU_DEP_1) | instskip(SKIP_1) | instid1(VALU_DEP_1)
	v_fmac_f32_e32 v12, v8, v11
	s_wait_alu 0xfffd
	v_div_fmas_f32 v8, v12, v9, v11
	s_delay_alu instid0(VALU_DEP_1) | instskip(NEXT) | instid1(VALU_DEP_1)
	v_div_fixup_f32 v8, v8, v2, v3
	v_fmac_f32_e32 v2, v3, v8
	s_delay_alu instid0(VALU_DEP_1) | instskip(SKIP_1) | instid1(VALU_DEP_2)
	v_div_scale_f32 v3, null, v2, v2, 1.0
	v_div_scale_f32 v12, vcc_lo, 1.0, v2, 1.0
	v_rcp_f32_e32 v9, v3
	v_xor_b32_e32 v3, 0x80000000, v3
	s_delay_alu instid0(TRANS32_DEP_1) | instid1(VALU_DEP_1)
	v_fma_f32 v11, v3, v9, 1.0
	s_delay_alu instid0(VALU_DEP_1) | instskip(NEXT) | instid1(VALU_DEP_1)
	v_fmac_f32_e32 v9, v11, v9
	v_mul_f32_e32 v11, v12, v9
	s_delay_alu instid0(VALU_DEP_1) | instskip(NEXT) | instid1(VALU_DEP_1)
	v_fma_f32 v13, v3, v11, v12
	v_fmac_f32_e32 v11, v13, v9
	s_delay_alu instid0(VALU_DEP_1) | instskip(SKIP_1) | instid1(VALU_DEP_1)
	v_fmac_f32_e32 v12, v3, v11
	s_wait_alu 0xfffd
	v_div_fmas_f32 v3, v12, v9, v11
	v_fma_f32 v9, v1, v8, v0
	v_fma_f32 v0, -v0, v8, v1
	s_delay_alu instid0(VALU_DEP_3) | instskip(NEXT) | instid1(VALU_DEP_1)
	v_div_fixup_f32 v2, v3, v2, 1.0
	v_mul_f32_e32 v8, v9, v2
	s_delay_alu instid0(VALU_DEP_3)
	v_mul_f32_e32 v9, v0, v2
	s_branch .LBB172_107
.LBB172_114:                            ;   in Loop: Header=BB172_3 Depth=1
	s_mov_b32 s14, 0
.LBB172_115:                            ;   in Loop: Header=BB172_3 Depth=1
	s_wait_alu 0xfffe
	s_and_not1_b32 vcc_lo, exec_lo, s14
	s_wait_alu 0xfffe
	s_cbranch_vccnz .LBB172_147
; %bb.116:                              ;   in Loop: Header=BB172_3 Depth=1
	s_and_not1_b32 vcc_lo, exec_lo, s31
	s_mov_b32 s34, 0
	s_wait_alu 0xfffe
	s_cbranch_vccnz .LBB172_138
; %bb.117:                              ;   in Loop: Header=BB172_3 Depth=1
	s_mov_b32 s14, 0
	s_mov_b32 s15, 0
.LBB172_118:                            ;   Parent Loop BB172_3 Depth=1
                                        ; =>  This Loop Header: Depth=2
                                        ;       Child Loop BB172_119 Depth 3
	s_wait_alu 0xfffe
	s_or_b32 s36, s15, 1
	v_lshl_add_u32 v29, s15, 8, v17
	s_or_b32 s34, s15, 2
	s_or_b32 s35, s15, 3
	s_wait_alu 0xfffe
	v_lshl_add_u32 v28, s36, 8, v17
	v_lshl_add_u32 v27, s34, 8, v17
	;; [unrolled: 1-line block ×3, first 2 shown]
	ds_load_b64 v[0:1], v29
	ds_load_b64 v[14:15], v28
	;; [unrolled: 1-line block ×4, first 2 shown]
	v_mov_b32_e32 v2, v17
	s_cmp_eq_u32 s15, 0
	s_mov_b32 s37, s14
	s_mov_b32 s38, s15
	s_cbranch_scc1 .LBB172_120
.LBB172_119:                            ;   Parent Loop BB172_3 Depth=1
                                        ;     Parent Loop BB172_118 Depth=2
                                        ; =>    This Inner Loop Header: Depth=3
	s_wait_alu 0xfffe
	v_mov_b32_e32 v3, s37
	s_add_co_i32 s38, s38, -1
	s_add_co_i32 s37, s37, 8
	s_wait_alu 0xfffe
	s_cmp_eq_u32 s38, 0
	ds_load_b64 v[12:13], v2
	ds_load_2addr_b64 v[30:33], v3 offset1:32
	ds_load_2addr_b64 v[34:37], v3 offset0:64 offset1:96
	s_wait_dscnt 0x1
	v_dual_mul_f32 v3, v31, v13 :: v_dual_add_nc_u32 v2, 0x100, v2
	v_mul_f32_e32 v38, v30, v13
	s_wait_dscnt 0x0
	v_mul_f32_e32 v40, v35, v13
	v_mul_f32_e32 v39, v33, v13
	v_mul_f32_e32 v33, v33, v12
	v_mul_f32_e32 v41, v37, v13
	v_mul_f32_e32 v37, v37, v12
	v_fma_f32 v3, v30, v12, -v3
	v_mul_f32_e32 v35, v35, v12
	v_fmac_f32_e32 v38, v31, v12
	v_fma_f32 v31, v34, v12, -v40
	v_fma_f32 v30, v32, v12, -v39
	v_fmac_f32_e32 v33, v32, v13
	v_fmac_f32_e32 v37, v36, v13
	v_sub_f32_e32 v0, v0, v3
	v_sub_f32_e32 v10, v10, v31
	v_fma_f32 v12, v36, v12, -v41
	v_fmac_f32_e32 v35, v34, v13
	v_sub_f32_e32 v1, v1, v38
	v_dual_sub_f32 v14, v14, v30 :: v_dual_sub_f32 v15, v15, v33
	s_delay_alu instid0(VALU_DEP_3)
	v_dual_sub_f32 v8, v8, v12 :: v_dual_sub_f32 v11, v11, v35
	v_sub_f32_e32 v9, v9, v37
	s_cbranch_scc0 .LBB172_119
.LBB172_120:                            ;   in Loop: Header=BB172_118 Depth=2
	s_mul_i32 s38, s15, 0x108
	s_lshl_b32 s36, s36, 5
	s_wait_alu 0xfffe
	v_mov_b32_e32 v2, s38
	s_lshl_b32 s37, s34, 5
	s_lshl_b32 s35, s35, 5
	s_mov_b32 s38, -1
	ds_load_b64 v[2:3], v2
	s_wait_dscnt 0x0
	v_and_b32_e32 v12, 0x7fffffff, v2
	v_and_b32_e32 v13, 0x7fffffff, v3
	s_delay_alu instid0(VALU_DEP_1)
	v_cmp_ngt_f32_e32 vcc_lo, v12, v13
                                        ; implicit-def: $vgpr13
	s_cbranch_vccz .LBB172_122
; %bb.121:                              ;   in Loop: Header=BB172_118 Depth=2
	v_div_scale_f32 v12, null, v3, v3, v2
	v_div_scale_f32 v31, vcc_lo, v2, v3, v2
	s_mov_b32 s38, 0
	v_rcp_f32_e32 v13, v12
	v_xor_b32_e32 v12, 0x80000000, v12
	s_delay_alu instid0(TRANS32_DEP_1) | instid1(VALU_DEP_1)
	v_fma_f32 v30, v12, v13, 1.0
	s_delay_alu instid0(VALU_DEP_1) | instskip(NEXT) | instid1(VALU_DEP_1)
	v_fmac_f32_e32 v13, v30, v13
	v_mul_f32_e32 v30, v31, v13
	s_delay_alu instid0(VALU_DEP_1) | instskip(NEXT) | instid1(VALU_DEP_1)
	v_fma_f32 v32, v12, v30, v31
	v_fmac_f32_e32 v30, v32, v13
	s_delay_alu instid0(VALU_DEP_1) | instskip(SKIP_1) | instid1(VALU_DEP_1)
	v_fmac_f32_e32 v31, v12, v30
	s_wait_alu 0xfffd
	v_div_fmas_f32 v12, v31, v13, v30
	s_delay_alu instid0(VALU_DEP_1) | instskip(NEXT) | instid1(VALU_DEP_1)
	v_div_fixup_f32 v12, v12, v3, v2
	v_fma_f32 v13, v2, v12, v3
	s_delay_alu instid0(VALU_DEP_1) | instskip(SKIP_1) | instid1(VALU_DEP_2)
	v_div_scale_f32 v30, null, v13, v13, 1.0
	v_div_scale_f32 v33, vcc_lo, 1.0, v13, 1.0
	v_rcp_f32_e32 v31, v30
	v_xor_b32_e32 v30, 0x80000000, v30
	s_delay_alu instid0(TRANS32_DEP_1) | instid1(VALU_DEP_1)
	v_fma_f32 v32, v30, v31, 1.0
	s_delay_alu instid0(VALU_DEP_1) | instskip(NEXT) | instid1(VALU_DEP_1)
	v_fmac_f32_e32 v31, v32, v31
	v_mul_f32_e32 v32, v33, v31
	s_delay_alu instid0(VALU_DEP_1) | instskip(NEXT) | instid1(VALU_DEP_1)
	v_fma_f32 v34, v30, v32, v33
	v_fmac_f32_e32 v32, v34, v31
	s_delay_alu instid0(VALU_DEP_1) | instskip(SKIP_1) | instid1(VALU_DEP_1)
	v_fmac_f32_e32 v33, v30, v32
	s_wait_alu 0xfffd
	v_div_fmas_f32 v30, v33, v31, v32
	v_fma_f32 v31, v0, v12, v1
	s_delay_alu instid0(VALU_DEP_2) | instskip(SKIP_1) | instid1(VALU_DEP_2)
	v_div_fixup_f32 v13, v30, v13, 1.0
	v_fma_f32 v30, v1, v12, -v0
	v_mul_f32_e32 v12, v31, v13
	s_delay_alu instid0(VALU_DEP_2)
	v_mul_f32_e32 v13, v30, v13
.LBB172_122:                            ;   in Loop: Header=BB172_118 Depth=2
	s_wait_alu 0xfffe
	s_and_not1_b32 vcc_lo, exec_lo, s38
	s_wait_alu 0xfffe
	s_cbranch_vccnz .LBB172_124
; %bb.123:                              ;   in Loop: Header=BB172_118 Depth=2
	v_div_scale_f32 v12, null, v2, v2, v3
	v_div_scale_f32 v31, vcc_lo, v3, v2, v3
	s_delay_alu instid0(VALU_DEP_2)
	v_rcp_f32_e32 v13, v12
	v_xor_b32_e32 v12, 0x80000000, v12
	s_delay_alu instid0(TRANS32_DEP_1) | instid1(VALU_DEP_1)
	v_fma_f32 v30, v12, v13, 1.0
	s_delay_alu instid0(VALU_DEP_1) | instskip(NEXT) | instid1(VALU_DEP_1)
	v_fmac_f32_e32 v13, v30, v13
	v_mul_f32_e32 v30, v31, v13
	s_delay_alu instid0(VALU_DEP_1) | instskip(NEXT) | instid1(VALU_DEP_1)
	v_fma_f32 v32, v12, v30, v31
	v_fmac_f32_e32 v30, v32, v13
	s_delay_alu instid0(VALU_DEP_1) | instskip(SKIP_1) | instid1(VALU_DEP_1)
	v_fmac_f32_e32 v31, v12, v30
	s_wait_alu 0xfffd
	v_div_fmas_f32 v12, v31, v13, v30
	s_delay_alu instid0(VALU_DEP_1) | instskip(NEXT) | instid1(VALU_DEP_1)
	v_div_fixup_f32 v12, v12, v2, v3
	v_fmac_f32_e32 v2, v3, v12
	s_delay_alu instid0(VALU_DEP_1) | instskip(SKIP_1) | instid1(VALU_DEP_2)
	v_div_scale_f32 v3, null, v2, v2, 1.0
	v_div_scale_f32 v31, vcc_lo, 1.0, v2, 1.0
	v_rcp_f32_e32 v13, v3
	v_xor_b32_e32 v3, 0x80000000, v3
	s_delay_alu instid0(TRANS32_DEP_1) | instid1(VALU_DEP_1)
	v_fma_f32 v30, v3, v13, 1.0
	s_delay_alu instid0(VALU_DEP_1) | instskip(NEXT) | instid1(VALU_DEP_1)
	v_fmac_f32_e32 v13, v30, v13
	v_mul_f32_e32 v30, v31, v13
	s_delay_alu instid0(VALU_DEP_1) | instskip(NEXT) | instid1(VALU_DEP_1)
	v_fma_f32 v32, v3, v30, v31
	v_fmac_f32_e32 v30, v32, v13
	s_delay_alu instid0(VALU_DEP_1) | instskip(SKIP_1) | instid1(VALU_DEP_1)
	v_fmac_f32_e32 v31, v3, v30
	s_wait_alu 0xfffd
	v_div_fmas_f32 v3, v31, v13, v30
	v_fma_f32 v13, v1, v12, v0
	v_fma_f32 v0, -v0, v12, v1
	s_delay_alu instid0(VALU_DEP_3) | instskip(NEXT) | instid1(VALU_DEP_1)
	v_div_fixup_f32 v2, v3, v2, 1.0
	v_mul_f32_e32 v12, v13, v2
	s_delay_alu instid0(VALU_DEP_3)
	v_mul_f32_e32 v13, v0, v2
.LBB172_124:                            ;   in Loop: Header=BB172_118 Depth=2
	s_lshl_b32 s38, s36, 3
	s_lshl_b32 s36, s15, 3
	ds_store_b64 v29, v[12:13]
	s_wait_alu 0xfffe
	s_add_co_i32 s38, s38, s36
	s_wait_alu 0xfffe
	v_mov_b32_e32 v0, s38
	s_mov_b32 s38, -1
	ds_load_b128 v[0:3], v0
	s_wait_dscnt 0x0
	v_dual_mul_f32 v30, v13, v1 :: v_dual_and_b32 v31, 0x7fffffff, v2
	v_dual_mul_f32 v1, v12, v1 :: v_dual_and_b32 v32, 0x7fffffff, v3
	s_delay_alu instid0(VALU_DEP_2) | instskip(NEXT) | instid1(VALU_DEP_2)
	v_fma_f32 v30, v12, v0, -v30
	v_fmac_f32_e32 v1, v13, v0
	s_delay_alu instid0(VALU_DEP_3) | instskip(NEXT) | instid1(VALU_DEP_2)
	v_cmp_ngt_f32_e32 vcc_lo, v31, v32
	v_dual_sub_f32 v0, v14, v30 :: v_dual_sub_f32 v1, v15, v1
                                        ; implicit-def: $vgpr15
	s_cbranch_vccz .LBB172_126
; %bb.125:                              ;   in Loop: Header=BB172_118 Depth=2
	v_div_scale_f32 v14, null, v3, v3, v2
	v_div_scale_f32 v30, vcc_lo, v2, v3, v2
	s_mov_b32 s38, 0
	v_rcp_f32_e32 v15, v14
	v_xor_b32_e32 v14, 0x80000000, v14
	s_delay_alu instid0(TRANS32_DEP_1) | instid1(VALU_DEP_1)
	v_fma_f32 v29, v14, v15, 1.0
	s_delay_alu instid0(VALU_DEP_1) | instskip(NEXT) | instid1(VALU_DEP_1)
	v_fmac_f32_e32 v15, v29, v15
	v_mul_f32_e32 v29, v30, v15
	s_delay_alu instid0(VALU_DEP_1) | instskip(NEXT) | instid1(VALU_DEP_1)
	v_fma_f32 v31, v14, v29, v30
	v_fmac_f32_e32 v29, v31, v15
	s_delay_alu instid0(VALU_DEP_1) | instskip(SKIP_1) | instid1(VALU_DEP_1)
	v_fmac_f32_e32 v30, v14, v29
	s_wait_alu 0xfffd
	v_div_fmas_f32 v14, v30, v15, v29
	s_delay_alu instid0(VALU_DEP_1) | instskip(NEXT) | instid1(VALU_DEP_1)
	v_div_fixup_f32 v14, v14, v3, v2
	v_fma_f32 v15, v2, v14, v3
	s_delay_alu instid0(VALU_DEP_1) | instskip(SKIP_1) | instid1(VALU_DEP_2)
	v_div_scale_f32 v29, null, v15, v15, 1.0
	v_div_scale_f32 v32, vcc_lo, 1.0, v15, 1.0
	v_rcp_f32_e32 v30, v29
	v_xor_b32_e32 v29, 0x80000000, v29
	s_delay_alu instid0(TRANS32_DEP_1) | instid1(VALU_DEP_1)
	v_fma_f32 v31, v29, v30, 1.0
	s_delay_alu instid0(VALU_DEP_1) | instskip(NEXT) | instid1(VALU_DEP_1)
	v_fmac_f32_e32 v30, v31, v30
	v_mul_f32_e32 v31, v32, v30
	s_delay_alu instid0(VALU_DEP_1) | instskip(NEXT) | instid1(VALU_DEP_1)
	v_fma_f32 v33, v29, v31, v32
	v_fmac_f32_e32 v31, v33, v30
	s_delay_alu instid0(VALU_DEP_1) | instskip(SKIP_1) | instid1(VALU_DEP_1)
	v_fmac_f32_e32 v32, v29, v31
	s_wait_alu 0xfffd
	v_div_fmas_f32 v29, v32, v30, v31
	v_fma_f32 v30, v14, v0, v1
	s_delay_alu instid0(VALU_DEP_2) | instskip(SKIP_1) | instid1(VALU_DEP_2)
	v_div_fixup_f32 v15, v29, v15, 1.0
	v_fma_f32 v29, v14, v1, -v0
	v_mul_f32_e32 v14, v30, v15
	s_delay_alu instid0(VALU_DEP_2)
	v_mul_f32_e32 v15, v29, v15
.LBB172_126:                            ;   in Loop: Header=BB172_118 Depth=2
	s_wait_alu 0xfffe
	s_and_not1_b32 vcc_lo, exec_lo, s38
	s_wait_alu 0xfffe
	s_cbranch_vccnz .LBB172_128
; %bb.127:                              ;   in Loop: Header=BB172_118 Depth=2
	v_div_scale_f32 v14, null, v2, v2, v3
	v_div_scale_f32 v30, vcc_lo, v3, v2, v3
	s_delay_alu instid0(VALU_DEP_2)
	v_rcp_f32_e32 v15, v14
	v_xor_b32_e32 v14, 0x80000000, v14
	s_delay_alu instid0(TRANS32_DEP_1) | instid1(VALU_DEP_1)
	v_fma_f32 v29, v14, v15, 1.0
	s_delay_alu instid0(VALU_DEP_1) | instskip(NEXT) | instid1(VALU_DEP_1)
	v_fmac_f32_e32 v15, v29, v15
	v_mul_f32_e32 v29, v30, v15
	s_delay_alu instid0(VALU_DEP_1) | instskip(NEXT) | instid1(VALU_DEP_1)
	v_fma_f32 v31, v14, v29, v30
	v_fmac_f32_e32 v29, v31, v15
	s_delay_alu instid0(VALU_DEP_1) | instskip(SKIP_1) | instid1(VALU_DEP_1)
	v_fmac_f32_e32 v30, v14, v29
	s_wait_alu 0xfffd
	v_div_fmas_f32 v14, v30, v15, v29
	s_delay_alu instid0(VALU_DEP_1) | instskip(NEXT) | instid1(VALU_DEP_1)
	v_div_fixup_f32 v14, v14, v2, v3
	v_fmac_f32_e32 v2, v3, v14
	s_delay_alu instid0(VALU_DEP_1) | instskip(SKIP_1) | instid1(VALU_DEP_2)
	v_div_scale_f32 v3, null, v2, v2, 1.0
	v_div_scale_f32 v30, vcc_lo, 1.0, v2, 1.0
	v_rcp_f32_e32 v15, v3
	v_xor_b32_e32 v3, 0x80000000, v3
	s_delay_alu instid0(TRANS32_DEP_1) | instid1(VALU_DEP_1)
	v_fma_f32 v29, v3, v15, 1.0
	s_delay_alu instid0(VALU_DEP_1) | instskip(NEXT) | instid1(VALU_DEP_1)
	v_fmac_f32_e32 v15, v29, v15
	v_mul_f32_e32 v29, v30, v15
	s_delay_alu instid0(VALU_DEP_1) | instskip(NEXT) | instid1(VALU_DEP_1)
	v_fma_f32 v31, v3, v29, v30
	v_fmac_f32_e32 v29, v31, v15
	s_delay_alu instid0(VALU_DEP_1) | instskip(SKIP_1) | instid1(VALU_DEP_1)
	v_fmac_f32_e32 v30, v3, v29
	s_wait_alu 0xfffd
	v_div_fmas_f32 v3, v30, v15, v29
	v_fma_f32 v15, v14, v1, v0
	v_fma_f32 v0, -v14, v0, v1
	s_delay_alu instid0(VALU_DEP_3) | instskip(NEXT) | instid1(VALU_DEP_1)
	v_div_fixup_f32 v2, v3, v2, 1.0
	v_mul_f32_e32 v14, v15, v2
	s_delay_alu instid0(VALU_DEP_3)
	v_mul_f32_e32 v15, v0, v2
.LBB172_128:                            ;   in Loop: Header=BB172_118 Depth=2
	s_lshl_b32 s37, s37, 3
	s_lshl_b32 s34, s34, 3
	s_wait_alu 0xfffe
	s_add_co_i32 s38, s37, s36
	s_add_co_i32 s34, s37, s34
	s_wait_alu 0xfffe
	v_dual_mov_b32 v0, s38 :: v_dual_mov_b32 v1, s34
	s_mov_b32 s34, -1
	ds_load_b128 v[29:32], v0
	ds_load_b64 v[0:1], v1
	ds_store_b64 v28, v[14:15]
	s_wait_dscnt 0x1
	v_dual_mul_f32 v2, v13, v30 :: v_dual_and_b32 v33, 0x7fffffff, v0
	v_dual_mul_f32 v3, v12, v30 :: v_dual_mul_f32 v30, v15, v32
	v_mul_f32_e32 v32, v14, v32
	s_delay_alu instid0(VALU_DEP_3) | instskip(NEXT) | instid1(VALU_DEP_3)
	v_fma_f32 v2, v12, v29, -v2
	v_fmac_f32_e32 v3, v13, v29
	s_delay_alu instid0(VALU_DEP_3) | instskip(SKIP_1) | instid1(VALU_DEP_3)
	v_dual_fmac_f32 v32, v15, v31 :: v_dual_and_b32 v29, 0x7fffffff, v1
	v_fma_f32 v30, v14, v31, -v30
	v_dual_sub_f32 v2, v10, v2 :: v_dual_sub_f32 v3, v11, v3
	s_delay_alu instid0(VALU_DEP_3) | instskip(NEXT) | instid1(VALU_DEP_2)
	v_cmp_ngt_f32_e32 vcc_lo, v33, v29
                                        ; implicit-def: $vgpr11
	v_dual_sub_f32 v2, v2, v30 :: v_dual_sub_f32 v3, v3, v32
	s_cbranch_vccz .LBB172_130
; %bb.129:                              ;   in Loop: Header=BB172_118 Depth=2
	v_div_scale_f32 v10, null, v1, v1, v0
	v_div_scale_f32 v29, vcc_lo, v0, v1, v0
	s_mov_b32 s34, 0
	v_rcp_f32_e32 v11, v10
	v_xor_b32_e32 v10, 0x80000000, v10
	s_delay_alu instid0(TRANS32_DEP_1) | instid1(VALU_DEP_1)
	v_fma_f32 v28, v10, v11, 1.0
	s_delay_alu instid0(VALU_DEP_1) | instskip(NEXT) | instid1(VALU_DEP_1)
	v_fmac_f32_e32 v11, v28, v11
	v_mul_f32_e32 v28, v29, v11
	s_delay_alu instid0(VALU_DEP_1) | instskip(NEXT) | instid1(VALU_DEP_1)
	v_fma_f32 v30, v10, v28, v29
	v_fmac_f32_e32 v28, v30, v11
	s_delay_alu instid0(VALU_DEP_1) | instskip(SKIP_1) | instid1(VALU_DEP_1)
	v_fmac_f32_e32 v29, v10, v28
	s_wait_alu 0xfffd
	v_div_fmas_f32 v10, v29, v11, v28
	s_delay_alu instid0(VALU_DEP_1) | instskip(NEXT) | instid1(VALU_DEP_1)
	v_div_fixup_f32 v10, v10, v1, v0
	v_fma_f32 v11, v0, v10, v1
	s_delay_alu instid0(VALU_DEP_1) | instskip(SKIP_1) | instid1(VALU_DEP_2)
	v_div_scale_f32 v28, null, v11, v11, 1.0
	v_div_scale_f32 v31, vcc_lo, 1.0, v11, 1.0
	v_rcp_f32_e32 v29, v28
	v_xor_b32_e32 v28, 0x80000000, v28
	s_delay_alu instid0(TRANS32_DEP_1) | instid1(VALU_DEP_1)
	v_fma_f32 v30, v28, v29, 1.0
	s_delay_alu instid0(VALU_DEP_1) | instskip(NEXT) | instid1(VALU_DEP_1)
	v_fmac_f32_e32 v29, v30, v29
	v_mul_f32_e32 v30, v31, v29
	s_delay_alu instid0(VALU_DEP_1) | instskip(NEXT) | instid1(VALU_DEP_1)
	v_fma_f32 v32, v28, v30, v31
	v_fmac_f32_e32 v30, v32, v29
	s_delay_alu instid0(VALU_DEP_1) | instskip(SKIP_1) | instid1(VALU_DEP_1)
	v_fmac_f32_e32 v31, v28, v30
	s_wait_alu 0xfffd
	v_div_fmas_f32 v28, v31, v29, v30
	v_fma_f32 v29, v10, v2, v3
	s_delay_alu instid0(VALU_DEP_2) | instskip(SKIP_1) | instid1(VALU_DEP_2)
	v_div_fixup_f32 v11, v28, v11, 1.0
	v_fma_f32 v28, v10, v3, -v2
	v_mul_f32_e32 v10, v29, v11
	s_delay_alu instid0(VALU_DEP_2)
	v_mul_f32_e32 v11, v28, v11
.LBB172_130:                            ;   in Loop: Header=BB172_118 Depth=2
	s_wait_alu 0xfffe
	s_and_not1_b32 vcc_lo, exec_lo, s34
	s_wait_alu 0xfffe
	s_cbranch_vccnz .LBB172_132
; %bb.131:                              ;   in Loop: Header=BB172_118 Depth=2
	v_div_scale_f32 v10, null, v0, v0, v1
	v_div_scale_f32 v29, vcc_lo, v1, v0, v1
	s_delay_alu instid0(VALU_DEP_2)
	v_rcp_f32_e32 v11, v10
	v_xor_b32_e32 v10, 0x80000000, v10
	s_delay_alu instid0(TRANS32_DEP_1) | instid1(VALU_DEP_1)
	v_fma_f32 v28, v10, v11, 1.0
	s_delay_alu instid0(VALU_DEP_1) | instskip(NEXT) | instid1(VALU_DEP_1)
	v_fmac_f32_e32 v11, v28, v11
	v_mul_f32_e32 v28, v29, v11
	s_delay_alu instid0(VALU_DEP_1) | instskip(NEXT) | instid1(VALU_DEP_1)
	v_fma_f32 v30, v10, v28, v29
	v_fmac_f32_e32 v28, v30, v11
	s_delay_alu instid0(VALU_DEP_1) | instskip(SKIP_1) | instid1(VALU_DEP_1)
	v_fmac_f32_e32 v29, v10, v28
	s_wait_alu 0xfffd
	v_div_fmas_f32 v10, v29, v11, v28
	s_delay_alu instid0(VALU_DEP_1) | instskip(NEXT) | instid1(VALU_DEP_1)
	v_div_fixup_f32 v10, v10, v0, v1
	v_fmac_f32_e32 v0, v1, v10
	s_delay_alu instid0(VALU_DEP_1) | instskip(SKIP_1) | instid1(VALU_DEP_2)
	v_div_scale_f32 v1, null, v0, v0, 1.0
	v_div_scale_f32 v29, vcc_lo, 1.0, v0, 1.0
	v_rcp_f32_e32 v11, v1
	v_xor_b32_e32 v1, 0x80000000, v1
	s_delay_alu instid0(TRANS32_DEP_1) | instid1(VALU_DEP_1)
	v_fma_f32 v28, v1, v11, 1.0
	s_delay_alu instid0(VALU_DEP_1) | instskip(NEXT) | instid1(VALU_DEP_1)
	v_fmac_f32_e32 v11, v28, v11
	v_mul_f32_e32 v28, v29, v11
	s_delay_alu instid0(VALU_DEP_1) | instskip(NEXT) | instid1(VALU_DEP_1)
	v_fma_f32 v30, v1, v28, v29
	v_fmac_f32_e32 v28, v30, v11
	s_delay_alu instid0(VALU_DEP_1) | instskip(SKIP_1) | instid1(VALU_DEP_1)
	v_fmac_f32_e32 v29, v1, v28
	s_wait_alu 0xfffd
	v_div_fmas_f32 v1, v29, v11, v28
	v_fma_f32 v11, v10, v3, v2
	s_delay_alu instid0(VALU_DEP_2) | instskip(SKIP_1) | instid1(VALU_DEP_2)
	v_div_fixup_f32 v0, v1, v0, 1.0
	v_fma_f32 v1, -v10, v2, v3
	v_mul_f32_e32 v10, v11, v0
	s_delay_alu instid0(VALU_DEP_2)
	v_mul_f32_e32 v11, v1, v0
.LBB172_132:                            ;   in Loop: Header=BB172_118 Depth=2
	s_lshl_b32 s34, s35, 3
	s_wait_alu 0xfffe
	s_add_co_i32 s34, s34, s36
	s_wait_alu 0xfffe
	v_mov_b32_e32 v0, s34
	s_mov_b32 s34, -1
	ds_load_b128 v[28:31], v0
	ds_load_b128 v[0:3], v0 offset:16
	ds_store_b64 v27, v[10:11]
	s_wait_dscnt 0x2
	v_dual_mul_f32 v32, v13, v29 :: v_dual_mul_f32 v33, v15, v31
	v_mul_f32_e32 v29, v12, v29
	s_wait_dscnt 0x1
	v_dual_mul_f32 v31, v14, v31 :: v_dual_mul_f32 v34, v11, v1
	s_delay_alu instid0(VALU_DEP_3) | instskip(SKIP_3) | instid1(VALU_DEP_4)
	v_fma_f32 v12, v12, v28, -v32
	v_mul_f32_e32 v1, v10, v1
	v_fmac_f32_e32 v29, v13, v28
	v_fma_f32 v14, v14, v30, -v33
	v_dual_fmac_f32 v31, v15, v30 :: v_dual_sub_f32 v8, v8, v12
	s_delay_alu instid0(VALU_DEP_3) | instskip(SKIP_1) | instid1(VALU_DEP_3)
	v_dual_sub_f32 v9, v9, v29 :: v_dual_and_b32 v12, 0x7fffffff, v3
	v_fma_f32 v15, v10, v0, -v34
	v_dual_fmac_f32 v1, v11, v0 :: v_dual_sub_f32 v0, v8, v14
	v_and_b32_e32 v13, 0x7fffffff, v2
	s_delay_alu instid0(VALU_DEP_4) | instskip(NEXT) | instid1(VALU_DEP_3)
	v_sub_f32_e32 v9, v9, v31
	v_sub_f32_e32 v8, v0, v15
	s_delay_alu instid0(VALU_DEP_3) | instskip(NEXT) | instid1(VALU_DEP_3)
	v_cmp_ngt_f32_e32 vcc_lo, v13, v12
	v_sub_f32_e32 v9, v9, v1
                                        ; implicit-def: $vgpr1
	s_cbranch_vccz .LBB172_134
; %bb.133:                              ;   in Loop: Header=BB172_118 Depth=2
	v_div_scale_f32 v0, null, v3, v3, v2
	v_div_scale_f32 v11, vcc_lo, v2, v3, v2
	s_mov_b32 s34, 0
	v_rcp_f32_e32 v1, v0
	v_xor_b32_e32 v0, 0x80000000, v0
	s_delay_alu instid0(TRANS32_DEP_1) | instid1(VALU_DEP_1)
	v_fma_f32 v10, v0, v1, 1.0
	s_delay_alu instid0(VALU_DEP_1) | instskip(NEXT) | instid1(VALU_DEP_1)
	v_fmac_f32_e32 v1, v10, v1
	v_mul_f32_e32 v10, v11, v1
	s_delay_alu instid0(VALU_DEP_1) | instskip(NEXT) | instid1(VALU_DEP_1)
	v_fma_f32 v12, v0, v10, v11
	v_fmac_f32_e32 v10, v12, v1
	s_delay_alu instid0(VALU_DEP_1) | instskip(SKIP_1) | instid1(VALU_DEP_1)
	v_fmac_f32_e32 v11, v0, v10
	s_wait_alu 0xfffd
	v_div_fmas_f32 v0, v11, v1, v10
	s_delay_alu instid0(VALU_DEP_1) | instskip(NEXT) | instid1(VALU_DEP_1)
	v_div_fixup_f32 v0, v0, v3, v2
	v_fma_f32 v1, v2, v0, v3
	s_delay_alu instid0(VALU_DEP_1) | instskip(SKIP_1) | instid1(VALU_DEP_2)
	v_div_scale_f32 v10, null, v1, v1, 1.0
	v_div_scale_f32 v13, vcc_lo, 1.0, v1, 1.0
	v_rcp_f32_e32 v11, v10
	v_xor_b32_e32 v10, 0x80000000, v10
	s_delay_alu instid0(TRANS32_DEP_1) | instid1(VALU_DEP_1)
	v_fma_f32 v12, v10, v11, 1.0
	s_delay_alu instid0(VALU_DEP_1) | instskip(NEXT) | instid1(VALU_DEP_1)
	v_fmac_f32_e32 v11, v12, v11
	v_mul_f32_e32 v12, v13, v11
	s_delay_alu instid0(VALU_DEP_1) | instskip(NEXT) | instid1(VALU_DEP_1)
	v_fma_f32 v14, v10, v12, v13
	v_fmac_f32_e32 v12, v14, v11
	s_delay_alu instid0(VALU_DEP_1) | instskip(SKIP_1) | instid1(VALU_DEP_1)
	v_fmac_f32_e32 v13, v10, v12
	s_wait_alu 0xfffd
	v_div_fmas_f32 v10, v13, v11, v12
	v_fma_f32 v11, v0, v8, v9
	s_delay_alu instid0(VALU_DEP_2) | instskip(SKIP_1) | instid1(VALU_DEP_2)
	v_div_fixup_f32 v1, v10, v1, 1.0
	v_fma_f32 v10, v0, v9, -v8
	v_mul_f32_e32 v0, v11, v1
	s_delay_alu instid0(VALU_DEP_2)
	v_mul_f32_e32 v1, v10, v1
.LBB172_134:                            ;   in Loop: Header=BB172_118 Depth=2
	s_wait_alu 0xfffe
	s_and_not1_b32 vcc_lo, exec_lo, s34
	s_wait_alu 0xfffe
	s_cbranch_vccnz .LBB172_136
; %bb.135:                              ;   in Loop: Header=BB172_118 Depth=2
	v_div_scale_f32 v0, null, v2, v2, v3
	v_div_scale_f32 v11, vcc_lo, v3, v2, v3
	s_delay_alu instid0(VALU_DEP_2)
	v_rcp_f32_e32 v1, v0
	v_xor_b32_e32 v0, 0x80000000, v0
	s_delay_alu instid0(TRANS32_DEP_1) | instid1(VALU_DEP_1)
	v_fma_f32 v10, v0, v1, 1.0
	s_delay_alu instid0(VALU_DEP_1) | instskip(NEXT) | instid1(VALU_DEP_1)
	v_fmac_f32_e32 v1, v10, v1
	v_mul_f32_e32 v10, v11, v1
	s_delay_alu instid0(VALU_DEP_1) | instskip(NEXT) | instid1(VALU_DEP_1)
	v_fma_f32 v12, v0, v10, v11
	v_fmac_f32_e32 v10, v12, v1
	s_delay_alu instid0(VALU_DEP_1) | instskip(SKIP_1) | instid1(VALU_DEP_1)
	v_fmac_f32_e32 v11, v0, v10
	s_wait_alu 0xfffd
	v_div_fmas_f32 v0, v11, v1, v10
	s_delay_alu instid0(VALU_DEP_1) | instskip(NEXT) | instid1(VALU_DEP_1)
	v_div_fixup_f32 v0, v0, v2, v3
	v_fmac_f32_e32 v2, v3, v0
	s_delay_alu instid0(VALU_DEP_1) | instskip(SKIP_1) | instid1(VALU_DEP_2)
	v_div_scale_f32 v1, null, v2, v2, 1.0
	v_div_scale_f32 v11, vcc_lo, 1.0, v2, 1.0
	v_rcp_f32_e32 v3, v1
	v_xor_b32_e32 v1, 0x80000000, v1
	s_delay_alu instid0(TRANS32_DEP_1) | instid1(VALU_DEP_1)
	v_fma_f32 v10, v1, v3, 1.0
	s_delay_alu instid0(VALU_DEP_1) | instskip(NEXT) | instid1(VALU_DEP_1)
	v_fmac_f32_e32 v3, v10, v3
	v_mul_f32_e32 v10, v11, v3
	s_delay_alu instid0(VALU_DEP_1) | instskip(NEXT) | instid1(VALU_DEP_1)
	v_fma_f32 v12, v1, v10, v11
	v_fmac_f32_e32 v10, v12, v3
	s_delay_alu instid0(VALU_DEP_1) | instskip(SKIP_1) | instid1(VALU_DEP_1)
	v_fmac_f32_e32 v11, v1, v10
	s_wait_alu 0xfffd
	v_div_fmas_f32 v1, v11, v3, v10
	v_fma_f32 v3, v0, v9, v8
	s_delay_alu instid0(VALU_DEP_2) | instskip(SKIP_1) | instid1(VALU_DEP_2)
	v_div_fixup_f32 v1, v1, v2, 1.0
	v_fma_f32 v2, -v0, v8, v9
	v_mul_f32_e32 v0, v3, v1
	s_delay_alu instid0(VALU_DEP_2)
	v_mul_f32_e32 v1, v2, v1
.LBB172_136:                            ;   in Loop: Header=BB172_118 Depth=2
	s_add_co_i32 s34, s15, 4
	s_add_co_i32 s15, s15, 7
	s_addk_co_i32 s14, 0x400
	s_wait_alu 0xfffe
	s_cmp_ge_i32 s15, s26
	ds_store_b64 v26, v[0:1]
	s_cbranch_scc1 .LBB172_138
; %bb.137:                              ;   in Loop: Header=BB172_118 Depth=2
	s_mov_b32 s15, s34
	s_branch .LBB172_118
.LBB172_138:                            ;   in Loop: Header=BB172_3 Depth=1
	s_cmp_ge_i32 s34, s26
	s_cbranch_scc1 .LBB172_147
; %bb.139:                              ;   in Loop: Header=BB172_3 Depth=1
	s_lshl_b32 s14, s34, 8
	s_branch .LBB172_141
.LBB172_140:                            ;   in Loop: Header=BB172_141 Depth=2
	s_add_co_i32 s34, s34, 1
	s_addk_co_i32 s14, 0x100
	s_wait_alu 0xfffe
	s_cmp_ge_i32 s34, s26
	ds_store_b64 v10, v[8:9]
	s_cbranch_scc1 .LBB172_147
.LBB172_141:                            ;   Parent Loop BB172_3 Depth=1
                                        ; =>  This Loop Header: Depth=2
                                        ;       Child Loop BB172_142 Depth 3
	v_lshl_add_u32 v10, s34, 8, v17
	v_mov_b32_e32 v2, v17
	s_cmp_eq_u32 s34, 0
	s_wait_alu 0xfffe
	s_mov_b32 s15, s14
	s_mov_b32 s35, s34
	ds_load_b64 v[0:1], v10
	s_cbranch_scc1 .LBB172_143
.LBB172_142:                            ;   Parent Loop BB172_3 Depth=1
                                        ;     Parent Loop BB172_141 Depth=2
                                        ; =>    This Inner Loop Header: Depth=3
	s_wait_alu 0xfffe
	v_mov_b32_e32 v3, s15
	s_add_co_i32 s35, s35, -1
	s_add_co_i32 s15, s15, 8
	s_wait_alu 0xfffe
	s_cmp_eq_u32 s35, 0
	ds_load_b64 v[8:9], v2
	ds_load_b64 v[11:12], v3
	s_wait_dscnt 0x0
	v_dual_mul_f32 v3, v12, v9 :: v_dual_add_nc_u32 v2, 0x100, v2
	s_delay_alu instid0(VALU_DEP_1) | instskip(NEXT) | instid1(VALU_DEP_1)
	v_fma_f32 v3, v11, v8, -v3
	v_dual_mul_f32 v9, v11, v9 :: v_dual_sub_f32 v0, v0, v3
	s_delay_alu instid0(VALU_DEP_1) | instskip(NEXT) | instid1(VALU_DEP_1)
	v_fmac_f32_e32 v9, v12, v8
	v_sub_f32_e32 v1, v1, v9
	s_cbranch_scc0 .LBB172_142
.LBB172_143:                            ;   in Loop: Header=BB172_141 Depth=2
	s_mul_i32 s15, s34, 0x108
	s_wait_alu 0xfffe
	v_mov_b32_e32 v2, s15
	s_mov_b32 s15, -1
	ds_load_b64 v[2:3], v2
	s_wait_dscnt 0x0
	v_and_b32_e32 v8, 0x7fffffff, v2
	v_and_b32_e32 v9, 0x7fffffff, v3
	s_delay_alu instid0(VALU_DEP_1)
	v_cmp_ngt_f32_e32 vcc_lo, v8, v9
                                        ; implicit-def: $vgpr8
	s_cbranch_vccz .LBB172_145
; %bb.144:                              ;   in Loop: Header=BB172_141 Depth=2
	v_div_scale_f32 v8, null, v3, v3, v2
	v_div_scale_f32 v12, vcc_lo, v2, v3, v2
	s_mov_b32 s15, 0
	v_rcp_f32_e32 v9, v8
	v_xor_b32_e32 v8, 0x80000000, v8
	s_delay_alu instid0(TRANS32_DEP_1) | instid1(VALU_DEP_1)
	v_fma_f32 v11, v8, v9, 1.0
	s_delay_alu instid0(VALU_DEP_1) | instskip(NEXT) | instid1(VALU_DEP_1)
	v_fmac_f32_e32 v9, v11, v9
	v_mul_f32_e32 v11, v12, v9
	s_delay_alu instid0(VALU_DEP_1) | instskip(NEXT) | instid1(VALU_DEP_1)
	v_fma_f32 v13, v8, v11, v12
	v_fmac_f32_e32 v11, v13, v9
	s_delay_alu instid0(VALU_DEP_1) | instskip(SKIP_1) | instid1(VALU_DEP_1)
	v_fmac_f32_e32 v12, v8, v11
	s_wait_alu 0xfffd
	v_div_fmas_f32 v8, v12, v9, v11
	s_delay_alu instid0(VALU_DEP_1) | instskip(NEXT) | instid1(VALU_DEP_1)
	v_div_fixup_f32 v8, v8, v3, v2
	v_fma_f32 v9, v2, v8, v3
	s_delay_alu instid0(VALU_DEP_1) | instskip(SKIP_1) | instid1(VALU_DEP_2)
	v_div_scale_f32 v11, null, v9, v9, 1.0
	v_div_scale_f32 v14, vcc_lo, 1.0, v9, 1.0
	v_rcp_f32_e32 v12, v11
	v_xor_b32_e32 v11, 0x80000000, v11
	s_delay_alu instid0(TRANS32_DEP_1) | instid1(VALU_DEP_1)
	v_fma_f32 v13, v11, v12, 1.0
	s_delay_alu instid0(VALU_DEP_1) | instskip(NEXT) | instid1(VALU_DEP_1)
	v_fmac_f32_e32 v12, v13, v12
	v_mul_f32_e32 v13, v14, v12
	s_delay_alu instid0(VALU_DEP_1) | instskip(NEXT) | instid1(VALU_DEP_1)
	v_fma_f32 v15, v11, v13, v14
	v_fmac_f32_e32 v13, v15, v12
	s_delay_alu instid0(VALU_DEP_1) | instskip(SKIP_1) | instid1(VALU_DEP_1)
	v_fmac_f32_e32 v14, v11, v13
	s_wait_alu 0xfffd
	v_div_fmas_f32 v11, v14, v12, v13
	v_fma_f32 v12, v0, v8, v1
	s_delay_alu instid0(VALU_DEP_2) | instskip(SKIP_1) | instid1(VALU_DEP_2)
	v_div_fixup_f32 v9, v11, v9, 1.0
	v_fma_f32 v11, v1, v8, -v0
	v_mul_f32_e32 v8, v12, v9
	s_delay_alu instid0(VALU_DEP_2)
	v_mul_f32_e32 v9, v11, v9
.LBB172_145:                            ;   in Loop: Header=BB172_141 Depth=2
	s_wait_alu 0xfffe
	s_and_not1_b32 vcc_lo, exec_lo, s15
	s_wait_alu 0xfffe
	s_cbranch_vccnz .LBB172_140
; %bb.146:                              ;   in Loop: Header=BB172_141 Depth=2
	v_div_scale_f32 v8, null, v2, v2, v3
	v_div_scale_f32 v12, vcc_lo, v3, v2, v3
	s_delay_alu instid0(VALU_DEP_2)
	v_rcp_f32_e32 v9, v8
	v_xor_b32_e32 v8, 0x80000000, v8
	s_delay_alu instid0(TRANS32_DEP_1) | instid1(VALU_DEP_1)
	v_fma_f32 v11, v8, v9, 1.0
	s_delay_alu instid0(VALU_DEP_1) | instskip(NEXT) | instid1(VALU_DEP_1)
	v_fmac_f32_e32 v9, v11, v9
	v_mul_f32_e32 v11, v12, v9
	s_delay_alu instid0(VALU_DEP_1) | instskip(NEXT) | instid1(VALU_DEP_1)
	v_fma_f32 v13, v8, v11, v12
	v_fmac_f32_e32 v11, v13, v9
	s_delay_alu instid0(VALU_DEP_1) | instskip(SKIP_1) | instid1(VALU_DEP_1)
	v_fmac_f32_e32 v12, v8, v11
	s_wait_alu 0xfffd
	v_div_fmas_f32 v8, v12, v9, v11
	s_delay_alu instid0(VALU_DEP_1) | instskip(NEXT) | instid1(VALU_DEP_1)
	v_div_fixup_f32 v8, v8, v2, v3
	v_fmac_f32_e32 v2, v3, v8
	s_delay_alu instid0(VALU_DEP_1) | instskip(SKIP_1) | instid1(VALU_DEP_2)
	v_div_scale_f32 v3, null, v2, v2, 1.0
	v_div_scale_f32 v12, vcc_lo, 1.0, v2, 1.0
	v_rcp_f32_e32 v9, v3
	v_xor_b32_e32 v3, 0x80000000, v3
	s_delay_alu instid0(TRANS32_DEP_1) | instid1(VALU_DEP_1)
	v_fma_f32 v11, v3, v9, 1.0
	s_delay_alu instid0(VALU_DEP_1) | instskip(NEXT) | instid1(VALU_DEP_1)
	v_fmac_f32_e32 v9, v11, v9
	v_mul_f32_e32 v11, v12, v9
	s_delay_alu instid0(VALU_DEP_1) | instskip(NEXT) | instid1(VALU_DEP_1)
	v_fma_f32 v13, v3, v11, v12
	v_fmac_f32_e32 v11, v13, v9
	s_delay_alu instid0(VALU_DEP_1) | instskip(SKIP_1) | instid1(VALU_DEP_1)
	v_fmac_f32_e32 v12, v3, v11
	s_wait_alu 0xfffd
	v_div_fmas_f32 v3, v12, v9, v11
	v_fma_f32 v9, v1, v8, v0
	v_fma_f32 v0, -v0, v8, v1
	s_delay_alu instid0(VALU_DEP_3) | instskip(NEXT) | instid1(VALU_DEP_1)
	v_div_fixup_f32 v2, v3, v2, 1.0
	v_mul_f32_e32 v8, v9, v2
	s_delay_alu instid0(VALU_DEP_3)
	v_mul_f32_e32 v9, v0, v2
	s_branch .LBB172_140
.LBB172_147:                            ;   in Loop: Header=BB172_3 Depth=1
	s_and_saveexec_b32 s14, s33
	s_cbranch_execz .LBB172_2
; %bb.148:                              ;   in Loop: Header=BB172_3 Depth=1
	v_add_co_u32 v0, vcc_lo, v6, s10
	s_wait_alu 0xfffd
	v_add_co_ci_u32_e64 v1, null, s11, v7, vcc_lo
	v_mov_b32_e32 v2, v17
	s_delay_alu instid0(VALU_DEP_3) | instskip(SKIP_1) | instid1(VALU_DEP_3)
	v_add_co_u32 v0, vcc_lo, v0, s20
	s_wait_alu 0xfffd
	v_add_co_ci_u32_e64 v1, null, s21, v1, vcc_lo
	s_mov_b32 s15, s16
	v_add_co_u32 v0, vcc_lo, v0, v25
	s_wait_alu 0xfffd
	v_add_co_ci_u32_e64 v1, null, 0, v1, vcc_lo
.LBB172_149:                            ;   Parent Loop BB172_3 Depth=1
                                        ; =>  This Inner Loop Header: Depth=2
	ds_load_b64 v[6:7], v2
	v_add_nc_u32_e32 v2, 0x100, v2
	s_wait_alu 0xfffe
	s_add_co_i32 s15, s15, -1
	s_wait_alu 0xfffe
	s_cmp_lg_u32 s15, 0
	s_wait_dscnt 0x0
	flat_store_b64 v[0:1], v[6:7]
	v_add_co_u32 v0, vcc_lo, v0, s12
	s_wait_alu 0xfffd
	v_add_co_ci_u32_e64 v1, null, s13, v1, vcc_lo
	s_cbranch_scc1 .LBB172_149
	s_branch .LBB172_2
.LBB172_150:
	s_endpgm
	.section	.rodata,"a",@progbits
	.p2align	6, 0x0
	.amdhsa_kernel _ZL31rocblas_trsm_small_right_deviceI19rocblas_complex_numIfES1_PKPKS1_PKPS1_Li32EEv13rocblas_fill_18rocblas_operation_17rocblas_diagonal_iiT0_T1_lilT2_lili
		.amdhsa_group_segment_fixed_size 16384
		.amdhsa_private_segment_fixed_size 0
		.amdhsa_kernarg_size 360
		.amdhsa_user_sgpr_count 2
		.amdhsa_user_sgpr_dispatch_ptr 0
		.amdhsa_user_sgpr_queue_ptr 0
		.amdhsa_user_sgpr_kernarg_segment_ptr 1
		.amdhsa_user_sgpr_dispatch_id 0
		.amdhsa_user_sgpr_private_segment_size 0
		.amdhsa_wavefront_size32 1
		.amdhsa_uses_dynamic_stack 0
		.amdhsa_enable_private_segment 0
		.amdhsa_system_sgpr_workgroup_id_x 1
		.amdhsa_system_sgpr_workgroup_id_y 0
		.amdhsa_system_sgpr_workgroup_id_z 1
		.amdhsa_system_sgpr_workgroup_info 0
		.amdhsa_system_vgpr_workitem_id 0
		.amdhsa_next_free_vgpr 241
		.amdhsa_next_free_sgpr 41
		.amdhsa_reserve_vcc 1
		.amdhsa_float_round_mode_32 0
		.amdhsa_float_round_mode_16_64 0
		.amdhsa_float_denorm_mode_32 3
		.amdhsa_float_denorm_mode_16_64 3
		.amdhsa_fp16_overflow 0
		.amdhsa_workgroup_processor_mode 1
		.amdhsa_memory_ordered 1
		.amdhsa_forward_progress 1
		.amdhsa_inst_pref_size 124
		.amdhsa_round_robin_scheduling 0
		.amdhsa_exception_fp_ieee_invalid_op 0
		.amdhsa_exception_fp_denorm_src 0
		.amdhsa_exception_fp_ieee_div_zero 0
		.amdhsa_exception_fp_ieee_overflow 0
		.amdhsa_exception_fp_ieee_underflow 0
		.amdhsa_exception_fp_ieee_inexact 0
		.amdhsa_exception_int_div_zero 0
	.end_amdhsa_kernel
	.section	.text._ZL31rocblas_trsm_small_right_deviceI19rocblas_complex_numIfES1_PKPKS1_PKPS1_Li32EEv13rocblas_fill_18rocblas_operation_17rocblas_diagonal_iiT0_T1_lilT2_lili,"axG",@progbits,_ZL31rocblas_trsm_small_right_deviceI19rocblas_complex_numIfES1_PKPKS1_PKPS1_Li32EEv13rocblas_fill_18rocblas_operation_17rocblas_diagonal_iiT0_T1_lilT2_lili,comdat
.Lfunc_end172:
	.size	_ZL31rocblas_trsm_small_right_deviceI19rocblas_complex_numIfES1_PKPKS1_PKPS1_Li32EEv13rocblas_fill_18rocblas_operation_17rocblas_diagonal_iiT0_T1_lilT2_lili, .Lfunc_end172-_ZL31rocblas_trsm_small_right_deviceI19rocblas_complex_numIfES1_PKPKS1_PKPS1_Li32EEv13rocblas_fill_18rocblas_operation_17rocblas_diagonal_iiT0_T1_lilT2_lili
                                        ; -- End function
	.set _ZL31rocblas_trsm_small_right_deviceI19rocblas_complex_numIfES1_PKPKS1_PKPS1_Li32EEv13rocblas_fill_18rocblas_operation_17rocblas_diagonal_iiT0_T1_lilT2_lili.num_vgpr, 42
	.set _ZL31rocblas_trsm_small_right_deviceI19rocblas_complex_numIfES1_PKPKS1_PKPS1_Li32EEv13rocblas_fill_18rocblas_operation_17rocblas_diagonal_iiT0_T1_lilT2_lili.num_agpr, 0
	.set _ZL31rocblas_trsm_small_right_deviceI19rocblas_complex_numIfES1_PKPKS1_PKPS1_Li32EEv13rocblas_fill_18rocblas_operation_17rocblas_diagonal_iiT0_T1_lilT2_lili.numbered_sgpr, 41
	.set _ZL31rocblas_trsm_small_right_deviceI19rocblas_complex_numIfES1_PKPKS1_PKPS1_Li32EEv13rocblas_fill_18rocblas_operation_17rocblas_diagonal_iiT0_T1_lilT2_lili.num_named_barrier, 0
	.set _ZL31rocblas_trsm_small_right_deviceI19rocblas_complex_numIfES1_PKPKS1_PKPS1_Li32EEv13rocblas_fill_18rocblas_operation_17rocblas_diagonal_iiT0_T1_lilT2_lili.private_seg_size, 0
	.set _ZL31rocblas_trsm_small_right_deviceI19rocblas_complex_numIfES1_PKPKS1_PKPS1_Li32EEv13rocblas_fill_18rocblas_operation_17rocblas_diagonal_iiT0_T1_lilT2_lili.uses_vcc, 1
	.set _ZL31rocblas_trsm_small_right_deviceI19rocblas_complex_numIfES1_PKPKS1_PKPS1_Li32EEv13rocblas_fill_18rocblas_operation_17rocblas_diagonal_iiT0_T1_lilT2_lili.uses_flat_scratch, 0
	.set _ZL31rocblas_trsm_small_right_deviceI19rocblas_complex_numIfES1_PKPKS1_PKPS1_Li32EEv13rocblas_fill_18rocblas_operation_17rocblas_diagonal_iiT0_T1_lilT2_lili.has_dyn_sized_stack, 0
	.set _ZL31rocblas_trsm_small_right_deviceI19rocblas_complex_numIfES1_PKPKS1_PKPS1_Li32EEv13rocblas_fill_18rocblas_operation_17rocblas_diagonal_iiT0_T1_lilT2_lili.has_recursion, 0
	.set _ZL31rocblas_trsm_small_right_deviceI19rocblas_complex_numIfES1_PKPKS1_PKPS1_Li32EEv13rocblas_fill_18rocblas_operation_17rocblas_diagonal_iiT0_T1_lilT2_lili.has_indirect_call, 0
	.section	.AMDGPU.csdata,"",@progbits
; Kernel info:
; codeLenInByte = 15784
; TotalNumSgprs: 43
; NumVgprs: 42
; ScratchSize: 0
; MemoryBound: 0
; FloatMode: 240
; IeeeMode: 1
; LDSByteSize: 16384 bytes/workgroup (compile time only)
; SGPRBlocks: 0
; VGPRBlocks: 30
; NumSGPRsForWavesPerEU: 43
; NumVGPRsForWavesPerEU: 241
; Occupancy: 2
; WaveLimiterHint : 0
; COMPUTE_PGM_RSRC2:SCRATCH_EN: 0
; COMPUTE_PGM_RSRC2:USER_SGPR: 2
; COMPUTE_PGM_RSRC2:TRAP_HANDLER: 0
; COMPUTE_PGM_RSRC2:TGID_X_EN: 1
; COMPUTE_PGM_RSRC2:TGID_Y_EN: 0
; COMPUTE_PGM_RSRC2:TGID_Z_EN: 1
; COMPUTE_PGM_RSRC2:TIDIG_COMP_CNT: 0
	.section	.text._ZL38rocblas_trsm_small_left_device_sharedBILi64ELi32ELb0E19rocblas_complex_numIfES1_PKPKS1_PKPS1_Ev13rocblas_fill_18rocblas_operation_17rocblas_diagonal_iiT3_T4_lilT5_lili,"axG",@progbits,_ZL38rocblas_trsm_small_left_device_sharedBILi64ELi32ELb0E19rocblas_complex_numIfES1_PKPKS1_PKPS1_Ev13rocblas_fill_18rocblas_operation_17rocblas_diagonal_iiT3_T4_lilT5_lili,comdat
	.globl	_ZL38rocblas_trsm_small_left_device_sharedBILi64ELi32ELb0E19rocblas_complex_numIfES1_PKPKS1_PKPS1_Ev13rocblas_fill_18rocblas_operation_17rocblas_diagonal_iiT3_T4_lilT5_lili ; -- Begin function _ZL38rocblas_trsm_small_left_device_sharedBILi64ELi32ELb0E19rocblas_complex_numIfES1_PKPKS1_PKPS1_Ev13rocblas_fill_18rocblas_operation_17rocblas_diagonal_iiT3_T4_lilT5_lili
	.p2align	8
	.type	_ZL38rocblas_trsm_small_left_device_sharedBILi64ELi32ELb0E19rocblas_complex_numIfES1_PKPKS1_PKPS1_Ev13rocblas_fill_18rocblas_operation_17rocblas_diagonal_iiT3_T4_lilT5_lili,@function
_ZL38rocblas_trsm_small_left_device_sharedBILi64ELi32ELb0E19rocblas_complex_numIfES1_PKPKS1_PKPS1_Ev13rocblas_fill_18rocblas_operation_17rocblas_diagonal_iiT3_T4_lilT5_lili: ; @_ZL38rocblas_trsm_small_left_device_sharedBILi64ELi32ELb0E19rocblas_complex_numIfES1_PKPKS1_PKPS1_Ev13rocblas_fill_18rocblas_operation_17rocblas_diagonal_iiT3_T4_lilT5_lili
; %bb.0:
	s_load_b32 s22, s[0:1], 0x60
	s_lshr_b32 s2, ttmp7, 16
	s_wait_kmcnt 0x0
	s_cmp_ge_u32 s2, s22
	s_cbranch_scc1 .LBB173_66
; %bb.1:
	s_clause 0x6
	s_load_b32 s20, s[0:1], 0x30
	s_load_b32 s30, s[0:1], 0x50
	s_load_b128 s[12:15], s[0:1], 0x4
	s_load_b32 s3, s[0:1], 0x68
	s_load_b128 s[4:7], s[0:1], 0x20
	s_load_b128 s[8:11], s[0:1], 0x40
	s_load_b64 s[16:17], s[0:1], 0x14
	v_dual_mov_b32 v1, 0 :: v_dual_lshlrev_b32 v10, 3, v0
	v_lshlrev_b32_e32 v6, 9, v0
	s_mov_b32 s19, 0
	s_delay_alu instid0(VALU_DEP_2) | instskip(NEXT) | instid1(VALU_DEP_2)
	v_or_b32_e32 v11, 0x8000, v10
	v_add_nc_u32_e32 v16, v10, v6
	s_wait_kmcnt 0x0
	s_ashr_i32 s21, s20, 31
	s_ashr_i32 s31, s30, 31
	s_cmp_lg_u32 s12, 0x71
	v_mad_co_i64_i32 v[2:3], null, s30, v0, 0
	s_cselect_b32 s1, -1, 0
	s_min_i32 s23, s14, 64
	s_lshl_b32 s28, ttmp9, 6
	s_add_co_i32 s3, s3, -1
	s_add_co_i32 s24, s23, -1
	s_sub_co_i32 s0, s15, s28
	s_cmp_ge_u32 ttmp9, s3
	v_lshlrev_b64_e32 v[2:3], 3, v[2:3]
	s_cselect_b32 s0, s0, 64
	s_ashr_i32 s29, s28, 31
	s_cmp_lg_u32 s13, 0x84
	v_cmp_gt_i32_e32 vcc_lo, s0, v0
	s_cselect_b32 s25, -1, 0
	s_cmp_gt_i32 s14, 0
	v_cmp_gt_i32_e64 s0, s23, v0
	s_cselect_b32 s3, -1, 0
	s_cmp_lg_u32 s12, 0x6f
	s_mul_u64 s[14:15], s[30:31], s[28:29]
	s_cselect_b32 s26, -1, 0
	s_lshl_b64 s[12:13], s[28:29], 3
	s_lshl_b64 s[28:29], s[6:7], 3
	v_or_b32_e32 v0, s12, v10
	s_lshl_b64 s[6:7], s[10:11], 3
	s_and_b32 s27, vcc_lo, s3
	s_lshl_b64 s[10:11], s[20:21], 3
	s_delay_alu instid0(VALU_DEP_1) | instskip(SKIP_2) | instid1(VALU_DEP_1)
	v_mul_lo_u32 v7, v0, s31
	v_mad_co_u64_u32 v[4:5], null, v0, s30, s[6:7]
	v_add_co_u32 v0, s3, s28, v10
	v_add_co_ci_u32_e64 v12, null, s29, 0, s3
	s_mul_i32 s3, s13, s30
	v_or_b32_e32 v13, 4, v0
	s_wait_alu 0xfffe
	v_add3_u32 v14, s3, v5, v7
	v_or_b32_e32 v15, 4, v4
	v_mov_b32_e32 v0, 1.0
	s_lshl_b32 s3, s23, 9
	s_or_b32 s28, 0, 4
	s_wait_alu 0xfffe
	s_add_co_i32 s20, s3, 0xfffffe00
	s_lshl_b64 s[12:13], s[14:15], 3
	s_branch .LBB173_3
.LBB173_2:                              ;   in Loop: Header=BB173_3 Depth=1
	s_wait_alu 0xfffe
	s_or_b32 exec_lo, exec_lo, s3
	s_add_co_i32 s2, s2, 0x10000
	s_wait_alu 0xfffe
	s_cmp_lt_u32 s2, s22
	s_cbranch_scc0 .LBB173_66
.LBB173_3:                              ; =>This Loop Header: Depth=1
                                        ;     Child Loop BB173_6 Depth 2
                                        ;     Child Loop BB173_20 Depth 2
	;; [unrolled: 1-line block ×3, first 2 shown]
                                        ;       Child Loop BB173_27 Depth 3
                                        ;         Child Loop BB173_28 Depth 4
                                        ;         Child Loop BB173_31 Depth 4
                                        ;           Child Loop BB173_32 Depth 5
                                        ;         Child Loop BB173_36 Depth 4
                                        ;           Child Loop BB173_38 Depth 5
                                        ;     Child Loop BB173_46 Depth 2
                                        ;       Child Loop BB173_49 Depth 3
                                        ;         Child Loop BB173_50 Depth 4
                                        ;         Child Loop BB173_52 Depth 4
                                        ;           Child Loop BB173_53 Depth 5
                                        ;         Child Loop BB173_57 Depth 4
                                        ;           Child Loop BB173_59 Depth 5
                                        ;     Child Loop BB173_65 Depth 2
	s_mov_b32 s3, s19
	s_wait_alu 0xfffe
	s_lshl_b64 s[14:15], s[2:3], 3
	s_delay_alu instid0(SALU_CYCLE_1)
	s_add_nc_u64 s[30:31], s[8:9], s[14:15]
	global_load_b64 v[4:5], v1, s[30:31]
	s_and_saveexec_b32 s3, s0
	s_cbranch_execz .LBB173_18
; %bb.4:                                ;   in Loop: Header=BB173_3 Depth=1
	s_add_nc_u64 s[14:15], s[4:5], s[14:15]
	v_mov_b32_e32 v17, v10
	global_load_b64 v[6:7], v1, s[14:15]
	s_mov_b32 s14, s23
	s_wait_loadcnt 0x0
	v_add_co_u32 v6, vcc_lo, v6, v13
	s_wait_alu 0xfffd
	v_add_co_ci_u32_e64 v7, null, v7, v12, vcc_lo
	s_branch .LBB173_6
.LBB173_5:                              ;   in Loop: Header=BB173_6 Depth=2
	flat_load_b32 v8, v[6:7] offset:-4
	v_add_co_u32 v6, vcc_lo, v6, s10
	s_wait_alu 0xfffd
	v_add_co_ci_u32_e64 v7, null, s11, v7, vcc_lo
	s_add_co_i32 s14, s14, -1
	s_delay_alu instid0(SALU_CYCLE_1)
	s_cmp_eq_u32 s14, 0
	s_wait_loadcnt_dscnt 0x0
	ds_store_b64 v17, v[8:9]
	v_add_nc_u32_e32 v17, 0x200, v17
	s_cbranch_scc1 .LBB173_10
.LBB173_6:                              ;   Parent Loop BB173_3 Depth=1
                                        ; =>  This Inner Loop Header: Depth=2
	s_and_b32 vcc_lo, exec_lo, s1
	s_mov_b32 s15, -1
                                        ; implicit-def: $vgpr9
	s_wait_alu 0xfffe
	s_cbranch_vccz .LBB173_8
; %bb.7:                                ;   in Loop: Header=BB173_6 Depth=2
	flat_load_b32 v9, v[6:7]
	s_mov_b32 s15, 0
.LBB173_8:                              ;   in Loop: Header=BB173_6 Depth=2
	s_delay_alu instid0(SALU_CYCLE_1)
	s_and_not1_b32 vcc_lo, exec_lo, s15
	s_wait_alu 0xfffe
	s_cbranch_vccnz .LBB173_5
; %bb.9:                                ;   in Loop: Header=BB173_6 Depth=2
	flat_load_b32 v8, v[6:7]
	s_wait_loadcnt_dscnt 0x0
	v_xor_b32_e32 v9, 0x80000000, v8
	s_branch .LBB173_5
.LBB173_10:                             ;   in Loop: Header=BB173_3 Depth=1
	s_and_b32 vcc_lo, exec_lo, s25
	s_mov_b32 s14, -1
	s_wait_alu 0xfffe
	s_cbranch_vccz .LBB173_16
; %bb.11:                               ;   in Loop: Header=BB173_3 Depth=1
	ds_load_b64 v[6:7], v16
                                        ; implicit-def: $vgpr8
	s_wait_dscnt 0x0
	v_cmp_ngt_f32_e64 s14, |v6|, |v7|
	s_and_saveexec_b32 s15, s14
	s_delay_alu instid0(SALU_CYCLE_1)
	s_xor_b32 s14, exec_lo, s15
	s_cbranch_execz .LBB173_13
; %bb.12:                               ;   in Loop: Header=BB173_3 Depth=1
	v_div_scale_f32 v8, null, v7, v7, v6
	v_div_scale_f32 v18, vcc_lo, v6, v7, v6
	s_delay_alu instid0(VALU_DEP_2) | instskip(NEXT) | instid1(TRANS32_DEP_1)
	v_rcp_f32_e32 v9, v8
	v_fma_f32 v17, -v8, v9, 1.0
	s_delay_alu instid0(VALU_DEP_1) | instskip(NEXT) | instid1(VALU_DEP_1)
	v_fmac_f32_e32 v9, v17, v9
	v_mul_f32_e32 v17, v18, v9
	s_delay_alu instid0(VALU_DEP_1) | instskip(NEXT) | instid1(VALU_DEP_1)
	v_fma_f32 v19, -v8, v17, v18
	v_fmac_f32_e32 v17, v19, v9
	s_delay_alu instid0(VALU_DEP_1) | instskip(SKIP_1) | instid1(VALU_DEP_1)
	v_fma_f32 v8, -v8, v17, v18
	s_wait_alu 0xfffd
	v_div_fmas_f32 v8, v8, v9, v17
	s_delay_alu instid0(VALU_DEP_1) | instskip(NEXT) | instid1(VALU_DEP_1)
	v_div_fixup_f32 v8, v8, v7, v6
	v_fmac_f32_e32 v7, v6, v8
	s_delay_alu instid0(VALU_DEP_1) | instskip(SKIP_1) | instid1(VALU_DEP_2)
	v_div_scale_f32 v6, null, v7, v7, 1.0
	v_div_scale_f32 v18, vcc_lo, 1.0, v7, 1.0
	v_rcp_f32_e32 v9, v6
	s_delay_alu instid0(TRANS32_DEP_1) | instskip(NEXT) | instid1(VALU_DEP_1)
	v_fma_f32 v17, -v6, v9, 1.0
	v_fmac_f32_e32 v9, v17, v9
	s_delay_alu instid0(VALU_DEP_1) | instskip(NEXT) | instid1(VALU_DEP_1)
	v_mul_f32_e32 v17, v18, v9
	v_fma_f32 v19, -v6, v17, v18
	s_delay_alu instid0(VALU_DEP_1) | instskip(NEXT) | instid1(VALU_DEP_1)
	v_fmac_f32_e32 v17, v19, v9
	v_fma_f32 v6, -v6, v17, v18
	s_wait_alu 0xfffd
	s_delay_alu instid0(VALU_DEP_1) | instskip(SKIP_1) | instid1(VALU_DEP_2)
	v_div_fmas_f32 v6, v6, v9, v17
	v_add_f32_e32 v9, 0, v8
	v_div_fixup_f32 v6, v6, v7, 1.0
	v_fma_f32 v7, v8, 0, -1.0
	s_delay_alu instid0(VALU_DEP_2) | instskip(NEXT) | instid1(VALU_DEP_2)
	v_mul_f32_e32 v8, v9, v6
	v_mul_f32_e32 v9, v7, v6
                                        ; implicit-def: $vgpr6_vgpr7
.LBB173_13:                             ;   in Loop: Header=BB173_3 Depth=1
	s_and_not1_saveexec_b32 s14, s14
	s_cbranch_execz .LBB173_15
; %bb.14:                               ;   in Loop: Header=BB173_3 Depth=1
	v_div_scale_f32 v8, null, v6, v6, v7
	v_div_scale_f32 v18, vcc_lo, v7, v6, v7
	s_delay_alu instid0(VALU_DEP_2) | instskip(NEXT) | instid1(TRANS32_DEP_1)
	v_rcp_f32_e32 v9, v8
	v_fma_f32 v17, -v8, v9, 1.0
	s_delay_alu instid0(VALU_DEP_1) | instskip(NEXT) | instid1(VALU_DEP_1)
	v_fmac_f32_e32 v9, v17, v9
	v_mul_f32_e32 v17, v18, v9
	s_delay_alu instid0(VALU_DEP_1) | instskip(NEXT) | instid1(VALU_DEP_1)
	v_fma_f32 v19, -v8, v17, v18
	v_fmac_f32_e32 v17, v19, v9
	s_delay_alu instid0(VALU_DEP_1) | instskip(SKIP_1) | instid1(VALU_DEP_1)
	v_fma_f32 v8, -v8, v17, v18
	s_wait_alu 0xfffd
	v_div_fmas_f32 v8, v8, v9, v17
	s_delay_alu instid0(VALU_DEP_1) | instskip(NEXT) | instid1(VALU_DEP_1)
	v_div_fixup_f32 v9, v8, v6, v7
	v_fmac_f32_e32 v6, v7, v9
	s_delay_alu instid0(VALU_DEP_1) | instskip(SKIP_1) | instid1(VALU_DEP_2)
	v_div_scale_f32 v7, null, v6, v6, 1.0
	v_div_scale_f32 v18, vcc_lo, 1.0, v6, 1.0
	v_rcp_f32_e32 v8, v7
	s_delay_alu instid0(TRANS32_DEP_1) | instskip(NEXT) | instid1(VALU_DEP_1)
	v_fma_f32 v17, -v7, v8, 1.0
	v_fmac_f32_e32 v8, v17, v8
	s_delay_alu instid0(VALU_DEP_1) | instskip(NEXT) | instid1(VALU_DEP_1)
	v_mul_f32_e32 v17, v18, v8
	v_fma_f32 v19, -v7, v17, v18
	s_delay_alu instid0(VALU_DEP_1) | instskip(NEXT) | instid1(VALU_DEP_1)
	v_fmac_f32_e32 v17, v19, v8
	v_fma_f32 v7, -v7, v17, v18
	s_wait_alu 0xfffd
	s_delay_alu instid0(VALU_DEP_1) | instskip(SKIP_1) | instid1(VALU_DEP_2)
	v_div_fmas_f32 v7, v7, v8, v17
	v_fma_f32 v8, v9, 0, 1.0
	v_div_fixup_f32 v6, v7, v6, 1.0
	s_delay_alu instid0(VALU_DEP_1)
	v_mul_f32_e32 v8, v8, v6
	v_mul_f32_e64 v9, -v9, v6
.LBB173_15:                             ;   in Loop: Header=BB173_3 Depth=1
	s_or_b32 exec_lo, exec_lo, s14
	s_mov_b32 s14, 0
	ds_store_b64 v16, v[8:9]
.LBB173_16:                             ;   in Loop: Header=BB173_3 Depth=1
	s_and_b32 vcc_lo, exec_lo, s14
	s_wait_alu 0xfffe
	s_cbranch_vccz .LBB173_18
; %bb.17:                               ;   in Loop: Header=BB173_3 Depth=1
	ds_store_b64 v16, v[0:1]
.LBB173_18:                             ;   in Loop: Header=BB173_3 Depth=1
	s_wait_alu 0xfffe
	s_or_b32 exec_lo, exec_lo, s3
	s_and_saveexec_b32 s3, s27
	s_cbranch_execz .LBB173_21
; %bb.19:                               ;   in Loop: Header=BB173_3 Depth=1
	s_wait_loadcnt 0x0
	v_add_co_u32 v6, vcc_lo, v4, v15
	s_wait_alu 0xfffd
	v_add_co_ci_u32_e64 v7, null, v5, v14, vcc_lo
	v_mov_b32_e32 v8, v11
	s_mov_b32 s14, s23
.LBB173_20:                             ;   Parent Loop BB173_3 Depth=1
                                        ; =>  This Inner Loop Header: Depth=2
	flat_load_b64 v[17:18], v[6:7] offset:-4
	v_add_co_u32 v6, vcc_lo, v6, 8
	s_wait_alu 0xfffd
	v_add_co_ci_u32_e64 v7, null, 0, v7, vcc_lo
	s_add_co_i32 s14, s14, -1
	s_delay_alu instid0(SALU_CYCLE_1) | instskip(SKIP_3) | instid1(VALU_DEP_2)
	s_cmp_lg_u32 s14, 0
	s_wait_loadcnt_dscnt 0x0
	v_mul_f32_e32 v9, s17, v18
	v_mul_f32_e32 v19, s16, v18
	v_fma_f32 v18, s16, v17, -v9
	s_delay_alu instid0(VALU_DEP_2)
	v_fmac_f32_e32 v19, s17, v17
	ds_store_b64 v8, v[18:19]
	v_add_nc_u32_e32 v8, 0x200, v8
	s_cbranch_scc1 .LBB173_20
.LBB173_21:                             ;   in Loop: Header=BB173_3 Depth=1
	s_wait_alu 0xfffe
	s_or_b32 exec_lo, exec_lo, s3
	s_delay_alu instid0(SALU_CYCLE_1)
	s_and_not1_b32 vcc_lo, exec_lo, s26
	s_mov_b32 s3, -1
	s_wait_loadcnt_dscnt 0x0
	s_barrier_signal -1
	s_barrier_wait -1
	global_inv scope:SCOPE_SE
	s_wait_alu 0xfffe
	s_cbranch_vccnz .LBB173_43
; %bb.22:                               ;   in Loop: Header=BB173_3 Depth=1
	s_mov_b32 s18, 0
	s_delay_alu instid0(SALU_CYCLE_1)
	s_mov_b32 s3, s18
	s_branch .LBB173_24
.LBB173_23:                             ;   in Loop: Header=BB173_24 Depth=2
	s_cmp_lt_i32 s3, s23
	s_cselect_b32 s14, -1, 0
	s_add_co_i32 s15, s18, 1
	s_cmp_lt_u32 s18, 2
	s_cselect_b32 s18, -1, 0
	s_delay_alu instid0(SALU_CYCLE_1)
	s_and_b32 s14, s14, s18
	s_mov_b32 s18, s15
	s_and_b32 vcc_lo, exec_lo, s14
	s_wait_alu 0xfffe
	s_cbranch_vccz .LBB173_42
.LBB173_24:                             ;   Parent Loop BB173_3 Depth=1
                                        ; =>  This Loop Header: Depth=2
                                        ;       Child Loop BB173_27 Depth 3
                                        ;         Child Loop BB173_28 Depth 4
                                        ;         Child Loop BB173_31 Depth 4
                                        ;           Child Loop BB173_32 Depth 5
                                        ;         Child Loop BB173_36 Depth 4
                                        ;           Child Loop BB173_38 Depth 5
	s_getpc_b64 s[14:15]
	s_sext_i32_i16 s15, s15
	s_add_co_u32 s14, s14, __const._ZL38rocblas_trsm_small_left_device_sharedBILi64ELi32ELb0E19rocblas_complex_numIfES1_PKPKS1_PKPS1_Ev13rocblas_fill_18rocblas_operation_17rocblas_diagonal_iiT3_T4_lilT5_lili.step_sizes@rel32@lo+8
	s_add_co_ci_u32 s15, s15, __const._ZL38rocblas_trsm_small_left_device_sharedBILi64ELi32ELb0E19rocblas_complex_numIfES1_PKPKS1_PKPS1_Ev13rocblas_fill_18rocblas_operation_17rocblas_diagonal_iiT3_T4_lilT5_lili.step_sizes@rel32@hi+16
	s_lshl_b64 s[30:31], s[18:19], 2
	s_wait_alu 0xfffe
	s_add_nc_u64 s[14:15], s[14:15], s[30:31]
	s_load_b32 s14, s[14:15], 0x0
	s_wait_kmcnt 0x0
	s_add_co_i32 s15, s14, -1
	s_delay_alu instid0(SALU_CYCLE_1)
	s_add_co_i32 s21, s15, s3
	s_wait_alu 0xfffe
	s_cmp_ge_i32 s21, s23
	s_cbranch_scc1 .LBB173_23
; %bb.25:                               ;   in Loop: Header=BB173_24 Depth=2
	s_lshl_b32 s21, s3, 9
	s_max_i32 s29, s14, 1
	s_wait_alu 0xfffe
	v_add_nc_u32_e32 v8, s21, v11
	s_lshl_b32 s30, s14, 9
	s_mul_i32 s31, s3, 0x208
	s_mul_i32 s33, s14, 0x208
	s_branch .LBB173_27
.LBB173_26:                             ;   in Loop: Header=BB173_27 Depth=3
	s_add_co_i32 s3, s3, s14
	v_add_nc_u32_e32 v8, s30, v8
	s_wait_alu 0xfffe
	s_add_co_i32 s34, s15, s3
	s_add_co_i32 s21, s21, s30
	;; [unrolled: 1-line block ×3, first 2 shown]
	s_wait_alu 0xfffe
	s_cmp_ge_i32 s34, s23
	s_cbranch_scc1 .LBB173_23
.LBB173_27:                             ;   Parent Loop BB173_3 Depth=1
                                        ;     Parent Loop BB173_24 Depth=2
                                        ; =>    This Loop Header: Depth=3
                                        ;         Child Loop BB173_28 Depth 4
                                        ;         Child Loop BB173_31 Depth 4
                                        ;           Child Loop BB173_32 Depth 5
                                        ;         Child Loop BB173_36 Depth 4
                                        ;           Child Loop BB173_38 Depth 5
	v_mov_b32_e32 v6, v8
	s_mov_b32 s34, 0
	s_wait_alu 0xfffe
	s_mov_b32 s35, s29
.LBB173_28:                             ;   Parent Loop BB173_3 Depth=1
                                        ;     Parent Loop BB173_24 Depth=2
                                        ;       Parent Loop BB173_27 Depth=3
                                        ; =>      This Inner Loop Header: Depth=4
	ds_load_b64 v[17:18], v6
	v_add_nc_u32_e32 v6, 0x200, v6
	s_wait_alu 0xfffe
	s_add_co_i32 s35, s35, -1
	s_wait_dscnt 0x0
	scratch_store_b64 off, v[17:18], s34
	s_add_co_i32 s34, s34, 8
	s_wait_alu 0xfffe
	s_cmp_eq_u32 s35, 0
	s_cbranch_scc0 .LBB173_28
; %bb.29:                               ;   in Loop: Header=BB173_27 Depth=3
	s_cmp_lt_i32 s3, 1
	s_cbranch_scc1 .LBB173_34
; %bb.30:                               ;   in Loop: Header=BB173_27 Depth=3
	s_mov_b32 s34, 0
	s_mov_b32 s35, s21
.LBB173_31:                             ;   Parent Loop BB173_3 Depth=1
                                        ;     Parent Loop BB173_24 Depth=2
                                        ;       Parent Loop BB173_27 Depth=3
                                        ; =>      This Loop Header: Depth=4
                                        ;           Child Loop BB173_32 Depth 5
	s_wait_alu 0xfffe
	v_lshl_add_u32 v6, s34, 9, v11
	s_mov_b32 s36, s28
	s_mov_b32 s37, s35
	;; [unrolled: 1-line block ×3, first 2 shown]
	ds_load_b64 v[6:7], v6
.LBB173_32:                             ;   Parent Loop BB173_3 Depth=1
                                        ;     Parent Loop BB173_24 Depth=2
                                        ;       Parent Loop BB173_27 Depth=3
                                        ;         Parent Loop BB173_31 Depth=4
                                        ; =>        This Inner Loop Header: Depth=5
	scratch_load_b64 v[17:18], off, s36 offset:-4
	s_wait_alu 0xfffe
	v_mov_b32_e32 v9, s37
	s_add_co_i32 s38, s38, -1
	s_addk_co_i32 s37, 0x200
	ds_load_b64 v[19:20], v9
	s_wait_dscnt 0x0
	v_mul_f32_e32 v9, v20, v7
	v_mul_f32_e32 v20, v20, v6
	s_delay_alu instid0(VALU_DEP_1) | instskip(SKIP_1) | instid1(VALU_DEP_1)
	v_fmac_f32_e32 v20, v19, v7
	s_wait_loadcnt 0x0
	v_sub_f32_e32 v18, v18, v20
	v_fma_f32 v9, v19, v6, -v9
	s_delay_alu instid0(VALU_DEP_1)
	v_sub_f32_e32 v17, v17, v9
	scratch_store_b64 off, v[17:18], s36 offset:-4
	s_add_co_i32 s36, s36, 8
	s_wait_alu 0xfffe
	s_cmp_eq_u32 s38, 0
	s_cbranch_scc0 .LBB173_32
; %bb.33:                               ;   in Loop: Header=BB173_31 Depth=4
	s_add_co_i32 s34, s34, 1
	s_add_co_i32 s35, s35, 8
	s_wait_alu 0xfffe
	s_cmp_eq_u32 s34, s3
	s_cbranch_scc0 .LBB173_31
.LBB173_34:                             ;   in Loop: Header=BB173_27 Depth=3
	s_lshl_b32 s34, s3, 9
	s_mov_b32 s35, 0
	s_mov_b32 s36, s31
	s_branch .LBB173_36
.LBB173_35:                             ;   in Loop: Header=BB173_36 Depth=4
	s_wait_alu 0xfffe
	s_mulk_i32 s38, 0x208
	s_addk_co_i32 s36, 0x200
	s_wait_alu 0xfffe
	v_mov_b32_e32 v9, s38
	s_lshl_b32 s38, s35, 3
	s_add_co_i32 s35, s35, 1
	s_wait_alu 0xfffe
	s_cmp_eq_u32 s35, s29
	ds_load_b64 v[17:18], v9
	s_wait_loadcnt_dscnt 0x0
	v_mul_f32_e32 v9, v18, v7
	v_mul_f32_e32 v20, v17, v7
	v_add_nc_u32_e32 v7, s37, v11
	s_delay_alu instid0(VALU_DEP_3) | instskip(NEXT) | instid1(VALU_DEP_3)
	v_fma_f32 v19, v17, v6, -v9
	v_fmac_f32_e32 v20, v18, v6
	scratch_store_b64 off, v[19:20], s38
	ds_store_b64 v7, v[19:20]
	s_cbranch_scc1 .LBB173_26
.LBB173_36:                             ;   Parent Loop BB173_3 Depth=1
                                        ;     Parent Loop BB173_24 Depth=2
                                        ;       Parent Loop BB173_27 Depth=3
                                        ; =>      This Loop Header: Depth=4
                                        ;           Child Loop BB173_38 Depth 5
	s_wait_alu 0xfffe
	s_cmp_lg_u32 s35, 0
	s_cbranch_scc0 .LBB173_40
; %bb.37:                               ;   in Loop: Header=BB173_36 Depth=4
	s_lshl_b32 s39, s35, 3
	s_add_co_i32 s38, s35, s3
	scratch_load_b64 v[6:7], off, s39
	s_wait_alu 0xfffe
	s_lshl_b32 s37, s38, 9
	s_mov_b32 s40, 0
	s_mov_b32 s41, s36
	;; [unrolled: 1-line block ×3, first 2 shown]
.LBB173_38:                             ;   Parent Loop BB173_3 Depth=1
                                        ;     Parent Loop BB173_24 Depth=2
                                        ;       Parent Loop BB173_27 Depth=3
                                        ;         Parent Loop BB173_36 Depth=4
                                        ; =>        This Inner Loop Header: Depth=5
	scratch_load_b64 v[17:18], off, s40
	s_wait_alu 0xfffe
	v_mov_b32_e32 v9, s41
	s_add_co_i32 s42, s42, -1
	s_add_co_i32 s40, s40, 8
	s_add_co_i32 s41, s41, 8
	s_cmp_eq_u32 s42, 0
	ds_load_b64 v[19:20], v9
	s_wait_loadcnt_dscnt 0x0
	v_mul_f32_e32 v9, v20, v18
	v_mul_f32_e32 v18, v19, v18
	s_delay_alu instid0(VALU_DEP_2) | instskip(NEXT) | instid1(VALU_DEP_2)
	v_fma_f32 v9, v19, v17, -v9
	v_fmac_f32_e32 v18, v20, v17
	s_delay_alu instid0(VALU_DEP_1)
	v_dual_sub_f32 v6, v6, v9 :: v_dual_sub_f32 v7, v7, v18
	scratch_store_b64 off, v[6:7], s39
	s_cbranch_scc0 .LBB173_38
; %bb.39:                               ;   in Loop: Header=BB173_36 Depth=4
	s_branch .LBB173_35
.LBB173_40:                             ;   in Loop: Header=BB173_36 Depth=4
                                        ; implicit-def: $vgpr6
                                        ; implicit-def: $sgpr38
                                        ; implicit-def: $sgpr37
	s_cbranch_execz .LBB173_35
; %bb.41:                               ;   in Loop: Header=BB173_36 Depth=4
	scratch_load_b64 v[6:7], off, off
	s_mov_b32 s37, s34
	s_mov_b32 s38, s3
	s_branch .LBB173_35
.LBB173_42:                             ;   in Loop: Header=BB173_3 Depth=1
	s_mov_b32 s3, 0
.LBB173_43:                             ;   in Loop: Header=BB173_3 Depth=1
	s_wait_alu 0xfffe
	s_and_b32 vcc_lo, exec_lo, s3
	s_wait_alu 0xfffe
	s_cbranch_vccz .LBB173_63
; %bb.44:                               ;   in Loop: Header=BB173_3 Depth=1
	s_mov_b32 s18, 0
	s_mov_b32 s3, s24
	s_branch .LBB173_46
.LBB173_45:                             ;   in Loop: Header=BB173_46 Depth=2
	s_cmp_gt_i32 s3, -1
	s_cselect_b32 s14, -1, 0
	s_add_co_i32 s15, s18, 1
	s_cmp_lt_u32 s18, 2
	s_cselect_b32 s18, -1, 0
	s_delay_alu instid0(SALU_CYCLE_1)
	s_and_b32 s14, s14, s18
	s_mov_b32 s18, s15
	s_and_not1_b32 vcc_lo, exec_lo, s14
	s_wait_alu 0xfffe
	s_cbranch_vccnz .LBB173_63
.LBB173_46:                             ;   Parent Loop BB173_3 Depth=1
                                        ; =>  This Loop Header: Depth=2
                                        ;       Child Loop BB173_49 Depth 3
                                        ;         Child Loop BB173_50 Depth 4
                                        ;         Child Loop BB173_52 Depth 4
                                        ;           Child Loop BB173_53 Depth 5
                                        ;         Child Loop BB173_57 Depth 4
                                        ;           Child Loop BB173_59 Depth 5
	s_getpc_b64 s[14:15]
	s_sext_i32_i16 s15, s15
	s_add_co_u32 s14, s14, __const._ZL38rocblas_trsm_small_left_device_sharedBILi64ELi32ELb0E19rocblas_complex_numIfES1_PKPKS1_PKPS1_Ev13rocblas_fill_18rocblas_operation_17rocblas_diagonal_iiT3_T4_lilT5_lili.step_sizes@rel32@lo+8
	s_add_co_ci_u32 s15, s15, __const._ZL38rocblas_trsm_small_left_device_sharedBILi64ELi32ELb0E19rocblas_complex_numIfES1_PKPKS1_PKPS1_Ev13rocblas_fill_18rocblas_operation_17rocblas_diagonal_iiT3_T4_lilT5_lili.step_sizes@rel32@hi+16
	s_lshl_b64 s[30:31], s[18:19], 2
	s_wait_alu 0xfffe
	s_add_nc_u64 s[14:15], s[14:15], s[30:31]
	s_load_b32 s14, s[14:15], 0x0
	s_wait_kmcnt 0x0
	s_add_co_i32 s15, s14, -1
	s_delay_alu instid0(SALU_CYCLE_1)
	s_cmp_lt_i32 s3, s15
	s_cbranch_scc1 .LBB173_45
; %bb.47:                               ;   in Loop: Header=BB173_46 Depth=2
	v_lshl_add_u32 v8, s3, 9, v11
	s_lshl_b32 s29, s14, 9
	s_lshl_b32 s30, s3, 3
	;; [unrolled: 1-line block ×3, first 2 shown]
	s_max_i32 s21, s14, 1
	s_wait_alu 0xfffe
	s_sub_co_i32 s29, 0, s29
	s_add_co_i32 s30, s20, s30
	s_sub_co_i32 s31, 0, s31
	s_mul_i32 s33, s3, 0x208
	s_mul_i32 s34, s14, 0xfffffdf8
	s_branch .LBB173_49
.LBB173_48:                             ;   in Loop: Header=BB173_49 Depth=3
	v_add_nc_u32_e32 v8, s29, v8
	s_sub_co_i32 s3, s3, s14
	s_add_co_i32 s30, s30, s31
	s_add_co_i32 s33, s33, s34
	s_wait_alu 0xfffe
	s_cmp_lt_i32 s3, s15
	s_cbranch_scc1 .LBB173_45
.LBB173_49:                             ;   Parent Loop BB173_3 Depth=1
                                        ;     Parent Loop BB173_46 Depth=2
                                        ; =>    This Loop Header: Depth=3
                                        ;         Child Loop BB173_50 Depth 4
                                        ;         Child Loop BB173_52 Depth 4
                                        ;           Child Loop BB173_53 Depth 5
                                        ;         Child Loop BB173_57 Depth 4
                                        ;           Child Loop BB173_59 Depth 5
	v_mov_b32_e32 v6, v8
	s_mov_b32 s35, 0
	s_mov_b32 s36, s21
.LBB173_50:                             ;   Parent Loop BB173_3 Depth=1
                                        ;     Parent Loop BB173_46 Depth=2
                                        ;       Parent Loop BB173_49 Depth=3
                                        ; =>      This Inner Loop Header: Depth=4
	ds_load_b64 v[17:18], v6
	v_add_nc_u32_e32 v6, 0xfffffe00, v6
	s_wait_alu 0xfffe
	s_add_co_i32 s36, s36, -1
	s_wait_dscnt 0x0
	scratch_store_b64 off, v[17:18], s35
	s_add_co_i32 s35, s35, 8
	s_wait_alu 0xfffe
	s_cmp_eq_u32 s36, 0
	s_cbranch_scc0 .LBB173_50
; %bb.51:                               ;   in Loop: Header=BB173_49 Depth=3
	s_cmp_le_i32 s24, s3
	s_mov_b32 s35, s30
	s_mov_b32 s36, s24
	s_cbranch_scc1 .LBB173_55
.LBB173_52:                             ;   Parent Loop BB173_3 Depth=1
                                        ;     Parent Loop BB173_46 Depth=2
                                        ;       Parent Loop BB173_49 Depth=3
                                        ; =>      This Loop Header: Depth=4
                                        ;           Child Loop BB173_53 Depth 5
	s_wait_alu 0xfffe
	v_lshl_add_u32 v6, s36, 9, v11
	s_mov_b32 s37, s28
	s_mov_b32 s38, s35
	;; [unrolled: 1-line block ×3, first 2 shown]
	ds_load_b64 v[6:7], v6
.LBB173_53:                             ;   Parent Loop BB173_3 Depth=1
                                        ;     Parent Loop BB173_46 Depth=2
                                        ;       Parent Loop BB173_49 Depth=3
                                        ;         Parent Loop BB173_52 Depth=4
                                        ; =>        This Inner Loop Header: Depth=5
	scratch_load_b64 v[17:18], off, s37 offset:-4
	s_wait_alu 0xfffe
	v_mov_b32_e32 v9, s38
	s_add_co_i32 s39, s39, -1
	s_add_co_i32 s38, s38, -8
	ds_load_b64 v[19:20], v9
	s_wait_dscnt 0x0
	v_mul_f32_e32 v9, v20, v7
	v_mul_f32_e32 v20, v20, v6
	s_delay_alu instid0(VALU_DEP_1) | instskip(SKIP_1) | instid1(VALU_DEP_1)
	v_fmac_f32_e32 v20, v19, v7
	s_wait_loadcnt 0x0
	v_sub_f32_e32 v18, v18, v20
	v_fma_f32 v9, v19, v6, -v9
	s_delay_alu instid0(VALU_DEP_1)
	v_sub_f32_e32 v17, v17, v9
	scratch_store_b64 off, v[17:18], s37 offset:-4
	s_add_co_i32 s37, s37, 8
	s_wait_alu 0xfffe
	s_cmp_eq_u32 s39, 0
	s_cbranch_scc0 .LBB173_53
; %bb.54:                               ;   in Loop: Header=BB173_52 Depth=4
	s_add_co_i32 s36, s36, -1
	s_addk_co_i32 s35, 0xfe00
	s_wait_alu 0xfffe
	s_cmp_le_i32 s36, s3
	s_cbranch_scc0 .LBB173_52
.LBB173_55:                             ;   in Loop: Header=BB173_49 Depth=3
	s_mov_b32 s35, 0
	s_mov_b32 s36, s33
	s_branch .LBB173_57
.LBB173_56:                             ;   in Loop: Header=BB173_57 Depth=4
	s_wait_alu 0xfffe
	s_mul_i32 s38, s37, 0x208
	s_add_co_i32 s36, s36, -8
	s_wait_alu 0xfffe
	v_mov_b32_e32 v9, s38
	s_lshl_b32 s38, s35, 3
	s_add_co_i32 s35, s35, 1
	s_wait_alu 0xfffe
	s_cmp_eq_u32 s35, s21
	ds_load_b64 v[17:18], v9
	s_wait_loadcnt_dscnt 0x0
	v_mul_f32_e32 v9, v18, v7
	v_mul_f32_e32 v20, v17, v7
	v_lshl_add_u32 v7, s37, 9, v11
	s_delay_alu instid0(VALU_DEP_3) | instskip(NEXT) | instid1(VALU_DEP_3)
	v_fma_f32 v19, v17, v6, -v9
	v_fmac_f32_e32 v20, v18, v6
	scratch_store_b64 off, v[19:20], s38
	ds_store_b64 v7, v[19:20]
	s_cbranch_scc1 .LBB173_48
.LBB173_57:                             ;   Parent Loop BB173_3 Depth=1
                                        ;     Parent Loop BB173_46 Depth=2
                                        ;       Parent Loop BB173_49 Depth=3
                                        ; =>      This Loop Header: Depth=4
                                        ;           Child Loop BB173_59 Depth 5
	s_wait_alu 0xfffe
	s_cmp_lg_u32 s35, 0
	s_cbranch_scc0 .LBB173_61
; %bb.58:                               ;   in Loop: Header=BB173_57 Depth=4
	s_lshl_b32 s38, s35, 3
	s_sub_co_i32 s37, s3, s35
	scratch_load_b64 v[6:7], off, s38
	s_mov_b32 s39, 0
	s_mov_b32 s40, s36
	;; [unrolled: 1-line block ×3, first 2 shown]
.LBB173_59:                             ;   Parent Loop BB173_3 Depth=1
                                        ;     Parent Loop BB173_46 Depth=2
                                        ;       Parent Loop BB173_49 Depth=3
                                        ;         Parent Loop BB173_57 Depth=4
                                        ; =>        This Inner Loop Header: Depth=5
	scratch_load_b64 v[17:18], off, s39
	s_wait_alu 0xfffe
	v_mov_b32_e32 v9, s40
	s_add_co_i32 s41, s41, -1
	s_addk_co_i32 s40, 0xfe00
	s_add_co_i32 s39, s39, 8
	s_wait_alu 0xfffe
	s_cmp_eq_u32 s41, 0
	ds_load_b64 v[19:20], v9
	s_wait_loadcnt_dscnt 0x0
	v_mul_f32_e32 v9, v20, v18
	v_mul_f32_e32 v18, v19, v18
	s_delay_alu instid0(VALU_DEP_2) | instskip(NEXT) | instid1(VALU_DEP_2)
	v_fma_f32 v9, v19, v17, -v9
	v_fmac_f32_e32 v18, v20, v17
	s_delay_alu instid0(VALU_DEP_1)
	v_dual_sub_f32 v6, v6, v9 :: v_dual_sub_f32 v7, v7, v18
	scratch_store_b64 off, v[6:7], s38
	s_cbranch_scc0 .LBB173_59
; %bb.60:                               ;   in Loop: Header=BB173_57 Depth=4
	s_branch .LBB173_56
.LBB173_61:                             ;   in Loop: Header=BB173_57 Depth=4
                                        ; implicit-def: $vgpr6
                                        ; implicit-def: $sgpr37
	s_cbranch_execz .LBB173_56
; %bb.62:                               ;   in Loop: Header=BB173_57 Depth=4
	scratch_load_b64 v[6:7], off, off
	s_mov_b32 s37, s3
	s_branch .LBB173_56
.LBB173_63:                             ;   in Loop: Header=BB173_3 Depth=1
	s_wait_storecnt 0x0
	s_wait_loadcnt_dscnt 0x0
	s_barrier_signal -1
	s_barrier_wait -1
	global_inv scope:SCOPE_SE
	s_and_saveexec_b32 s3, s27
	s_cbranch_execz .LBB173_2
; %bb.64:                               ;   in Loop: Header=BB173_3 Depth=1
	v_add_co_u32 v4, vcc_lo, v4, s6
	s_wait_alu 0xfffd
	v_add_co_ci_u32_e64 v5, null, s7, v5, vcc_lo
	v_mov_b32_e32 v6, v11
	s_delay_alu instid0(VALU_DEP_3) | instskip(SKIP_1) | instid1(VALU_DEP_3)
	v_add_co_u32 v4, vcc_lo, v4, s12
	s_wait_alu 0xfffd
	v_add_co_ci_u32_e64 v5, null, s13, v5, vcc_lo
	s_mov_b32 s14, s23
	v_add_co_u32 v4, vcc_lo, v4, v2
	s_wait_alu 0xfffd
	v_add_co_ci_u32_e64 v5, null, v5, v3, vcc_lo
.LBB173_65:                             ;   Parent Loop BB173_3 Depth=1
                                        ; =>  This Inner Loop Header: Depth=2
	ds_load_b64 v[7:8], v6
	v_add_nc_u32_e32 v6, 0x200, v6
	s_add_co_i32 s14, s14, -1
	s_delay_alu instid0(SALU_CYCLE_1)
	s_cmp_lg_u32 s14, 0
	s_wait_dscnt 0x0
	flat_store_b64 v[4:5], v[7:8]
	v_add_co_u32 v4, vcc_lo, v4, 8
	s_wait_alu 0xfffd
	v_add_co_ci_u32_e64 v5, null, 0, v5, vcc_lo
	s_cbranch_scc1 .LBB173_65
	s_branch .LBB173_2
.LBB173_66:
	s_endpgm
	.section	.rodata,"a",@progbits
	.p2align	6, 0x0
	.amdhsa_kernel _ZL38rocblas_trsm_small_left_device_sharedBILi64ELi32ELb0E19rocblas_complex_numIfES1_PKPKS1_PKPS1_Ev13rocblas_fill_18rocblas_operation_17rocblas_diagonal_iiT3_T4_lilT5_lili
		.amdhsa_group_segment_fixed_size 65536
		.amdhsa_private_segment_fixed_size 272
		.amdhsa_kernarg_size 360
		.amdhsa_user_sgpr_count 2
		.amdhsa_user_sgpr_dispatch_ptr 0
		.amdhsa_user_sgpr_queue_ptr 0
		.amdhsa_user_sgpr_kernarg_segment_ptr 1
		.amdhsa_user_sgpr_dispatch_id 0
		.amdhsa_user_sgpr_private_segment_size 0
		.amdhsa_wavefront_size32 1
		.amdhsa_uses_dynamic_stack 0
		.amdhsa_enable_private_segment 1
		.amdhsa_system_sgpr_workgroup_id_x 1
		.amdhsa_system_sgpr_workgroup_id_y 0
		.amdhsa_system_sgpr_workgroup_id_z 1
		.amdhsa_system_sgpr_workgroup_info 0
		.amdhsa_system_vgpr_workitem_id 0
		.amdhsa_next_free_vgpr 241
		.amdhsa_next_free_sgpr 43
		.amdhsa_reserve_vcc 1
		.amdhsa_float_round_mode_32 0
		.amdhsa_float_round_mode_16_64 0
		.amdhsa_float_denorm_mode_32 3
		.amdhsa_float_denorm_mode_16_64 3
		.amdhsa_fp16_overflow 0
		.amdhsa_workgroup_processor_mode 1
		.amdhsa_memory_ordered 1
		.amdhsa_forward_progress 1
		.amdhsa_inst_pref_size 24
		.amdhsa_round_robin_scheduling 0
		.amdhsa_exception_fp_ieee_invalid_op 0
		.amdhsa_exception_fp_denorm_src 0
		.amdhsa_exception_fp_ieee_div_zero 0
		.amdhsa_exception_fp_ieee_overflow 0
		.amdhsa_exception_fp_ieee_underflow 0
		.amdhsa_exception_fp_ieee_inexact 0
		.amdhsa_exception_int_div_zero 0
	.end_amdhsa_kernel
	.section	.text._ZL38rocblas_trsm_small_left_device_sharedBILi64ELi32ELb0E19rocblas_complex_numIfES1_PKPKS1_PKPS1_Ev13rocblas_fill_18rocblas_operation_17rocblas_diagonal_iiT3_T4_lilT5_lili,"axG",@progbits,_ZL38rocblas_trsm_small_left_device_sharedBILi64ELi32ELb0E19rocblas_complex_numIfES1_PKPKS1_PKPS1_Ev13rocblas_fill_18rocblas_operation_17rocblas_diagonal_iiT3_T4_lilT5_lili,comdat
.Lfunc_end173:
	.size	_ZL38rocblas_trsm_small_left_device_sharedBILi64ELi32ELb0E19rocblas_complex_numIfES1_PKPKS1_PKPS1_Ev13rocblas_fill_18rocblas_operation_17rocblas_diagonal_iiT3_T4_lilT5_lili, .Lfunc_end173-_ZL38rocblas_trsm_small_left_device_sharedBILi64ELi32ELb0E19rocblas_complex_numIfES1_PKPKS1_PKPS1_Ev13rocblas_fill_18rocblas_operation_17rocblas_diagonal_iiT3_T4_lilT5_lili
                                        ; -- End function
	.set _ZL38rocblas_trsm_small_left_device_sharedBILi64ELi32ELb0E19rocblas_complex_numIfES1_PKPKS1_PKPS1_Ev13rocblas_fill_18rocblas_operation_17rocblas_diagonal_iiT3_T4_lilT5_lili.num_vgpr, 21
	.set _ZL38rocblas_trsm_small_left_device_sharedBILi64ELi32ELb0E19rocblas_complex_numIfES1_PKPKS1_PKPS1_Ev13rocblas_fill_18rocblas_operation_17rocblas_diagonal_iiT3_T4_lilT5_lili.num_agpr, 0
	.set _ZL38rocblas_trsm_small_left_device_sharedBILi64ELi32ELb0E19rocblas_complex_numIfES1_PKPKS1_PKPS1_Ev13rocblas_fill_18rocblas_operation_17rocblas_diagonal_iiT3_T4_lilT5_lili.numbered_sgpr, 43
	.set _ZL38rocblas_trsm_small_left_device_sharedBILi64ELi32ELb0E19rocblas_complex_numIfES1_PKPKS1_PKPS1_Ev13rocblas_fill_18rocblas_operation_17rocblas_diagonal_iiT3_T4_lilT5_lili.num_named_barrier, 0
	.set _ZL38rocblas_trsm_small_left_device_sharedBILi64ELi32ELb0E19rocblas_complex_numIfES1_PKPKS1_PKPS1_Ev13rocblas_fill_18rocblas_operation_17rocblas_diagonal_iiT3_T4_lilT5_lili.private_seg_size, 272
	.set _ZL38rocblas_trsm_small_left_device_sharedBILi64ELi32ELb0E19rocblas_complex_numIfES1_PKPKS1_PKPS1_Ev13rocblas_fill_18rocblas_operation_17rocblas_diagonal_iiT3_T4_lilT5_lili.uses_vcc, 1
	.set _ZL38rocblas_trsm_small_left_device_sharedBILi64ELi32ELb0E19rocblas_complex_numIfES1_PKPKS1_PKPS1_Ev13rocblas_fill_18rocblas_operation_17rocblas_diagonal_iiT3_T4_lilT5_lili.uses_flat_scratch, 0
	.set _ZL38rocblas_trsm_small_left_device_sharedBILi64ELi32ELb0E19rocblas_complex_numIfES1_PKPKS1_PKPS1_Ev13rocblas_fill_18rocblas_operation_17rocblas_diagonal_iiT3_T4_lilT5_lili.has_dyn_sized_stack, 0
	.set _ZL38rocblas_trsm_small_left_device_sharedBILi64ELi32ELb0E19rocblas_complex_numIfES1_PKPKS1_PKPS1_Ev13rocblas_fill_18rocblas_operation_17rocblas_diagonal_iiT3_T4_lilT5_lili.has_recursion, 0
	.set _ZL38rocblas_trsm_small_left_device_sharedBILi64ELi32ELb0E19rocblas_complex_numIfES1_PKPKS1_PKPS1_Ev13rocblas_fill_18rocblas_operation_17rocblas_diagonal_iiT3_T4_lilT5_lili.has_indirect_call, 0
	.section	.AMDGPU.csdata,"",@progbits
; Kernel info:
; codeLenInByte = 3048
; TotalNumSgprs: 45
; NumVgprs: 21
; ScratchSize: 272
; MemoryBound: 0
; FloatMode: 240
; IeeeMode: 1
; LDSByteSize: 65536 bytes/workgroup (compile time only)
; SGPRBlocks: 0
; VGPRBlocks: 30
; NumSGPRsForWavesPerEU: 45
; NumVGPRsForWavesPerEU: 241
; Occupancy: 1
; WaveLimiterHint : 0
; COMPUTE_PGM_RSRC2:SCRATCH_EN: 1
; COMPUTE_PGM_RSRC2:USER_SGPR: 2
; COMPUTE_PGM_RSRC2:TRAP_HANDLER: 0
; COMPUTE_PGM_RSRC2:TGID_X_EN: 1
; COMPUTE_PGM_RSRC2:TGID_Y_EN: 0
; COMPUTE_PGM_RSRC2:TGID_Z_EN: 1
; COMPUTE_PGM_RSRC2:TIDIG_COMP_CNT: 0
	.section	.text._ZL30rocblas_trsm_small_left_deviceILi64ELi32ELb0E19rocblas_complex_numIfES1_PKPKS1_PKPS1_Ev13rocblas_fill_18rocblas_operation_17rocblas_diagonal_iiT3_T4_lilT5_lili,"axG",@progbits,_ZL30rocblas_trsm_small_left_deviceILi64ELi32ELb0E19rocblas_complex_numIfES1_PKPKS1_PKPS1_Ev13rocblas_fill_18rocblas_operation_17rocblas_diagonal_iiT3_T4_lilT5_lili,comdat
	.globl	_ZL30rocblas_trsm_small_left_deviceILi64ELi32ELb0E19rocblas_complex_numIfES1_PKPKS1_PKPS1_Ev13rocblas_fill_18rocblas_operation_17rocblas_diagonal_iiT3_T4_lilT5_lili ; -- Begin function _ZL30rocblas_trsm_small_left_deviceILi64ELi32ELb0E19rocblas_complex_numIfES1_PKPKS1_PKPS1_Ev13rocblas_fill_18rocblas_operation_17rocblas_diagonal_iiT3_T4_lilT5_lili
	.p2align	8
	.type	_ZL30rocblas_trsm_small_left_deviceILi64ELi32ELb0E19rocblas_complex_numIfES1_PKPKS1_PKPS1_Ev13rocblas_fill_18rocblas_operation_17rocblas_diagonal_iiT3_T4_lilT5_lili,@function
_ZL30rocblas_trsm_small_left_deviceILi64ELi32ELb0E19rocblas_complex_numIfES1_PKPKS1_PKPS1_Ev13rocblas_fill_18rocblas_operation_17rocblas_diagonal_iiT3_T4_lilT5_lili: ; @_ZL30rocblas_trsm_small_left_deviceILi64ELi32ELb0E19rocblas_complex_numIfES1_PKPKS1_PKPS1_Ev13rocblas_fill_18rocblas_operation_17rocblas_diagonal_iiT3_T4_lilT5_lili
; %bb.0:
	s_load_b32 s26, s[0:1], 0x60
	s_lshr_b32 s2, ttmp7, 16
	s_wait_kmcnt 0x0
	s_cmp_ge_u32 s2, s26
	s_cbranch_scc1 .LBB174_63
; %bb.1:
	s_clause 0x5
	s_load_b32 s18, s[0:1], 0x30
	s_load_b128 s[12:15], s[0:1], 0x4
	s_load_b32 s3, s[0:1], 0x68
	s_load_b128 s[4:7], s[0:1], 0x20
	s_load_b128 s[8:11], s[0:1], 0x40
	s_load_b32 s20, s[0:1], 0x50
	v_dual_mov_b32 v1, 0 :: v_dual_lshlrev_b32 v10, 3, v0
	v_lshlrev_b32_e32 v2, 9, v0
	s_load_b64 s[16:17], s[0:1], 0x14
	s_mov_b32 s35, 0
                                        ; implicit-def: $sgpr36
                                        ; implicit-def: $sgpr37
	s_delay_alu instid0(VALU_DEP_1)
	v_add_nc_u32_e32 v11, v10, v2
	s_wait_kmcnt 0x0
	s_ashr_i32 s19, s18, 31
	s_cmp_lg_u32 s12, 0x71
	s_cselect_b32 s27, -1, 0
	s_lshl_b32 s0, ttmp9, 6
	s_min_i32 s28, s14, 64
	v_or_b32_e32 v2, s0, v0
	s_add_co_i32 s3, s3, -1
	s_add_co_i32 s29, s28, -1
	s_sub_co_i32 s1, s15, s0
	s_cmp_ge_u32 ttmp9, s3
	v_mad_co_i64_i32 v[2:3], null, s20, v2, 0
	s_wait_alu 0xfffe
	s_cselect_b32 s1, s1, 64
	s_cmp_lg_u32 s13, 0x84
	v_cmp_gt_i32_e64 s0, s28, v0
	s_cselect_b32 s30, -1, 0
	s_cmp_lg_u32 s12, 0x6f
	s_wait_alu 0xfffe
	v_cmp_gt_i32_e64 s1, s1, v0
	v_lshlrev_b64_e32 v[2:3], 3, v[2:3]
	s_cselect_b32 s31, -1, 0
	s_lshl_b64 s[12:13], s[6:7], 3
	s_lshl_b64 s[10:11], s[10:11], 3
	v_add_co_u32 v0, s3, s12, v10
	s_delay_alu instid0(VALU_DEP_2) | instskip(SKIP_1) | instid1(VALU_DEP_3)
	v_add_co_u32 v4, vcc_lo, v2, s10
	v_add_co_ci_u32_e64 v12, null, s13, 0, s3
	v_or_b32_e32 v13, 4, v0
	v_add_co_ci_u32_e64 v14, null, s11, v3, vcc_lo
	s_delay_alu instid0(VALU_DEP_4)
	v_or_b32_e32 v15, 4, v4
	v_mov_b32_e32 v0, 1.0
	s_lshl_b32 s34, s28, 9
	s_or_b32 s33, 0, 4
	s_lshl_b64 s[6:7], s[18:19], 3
	s_addk_co_i32 s34, 0xfe00
	s_mov_b32 s13, 0
	s_branch .LBB174_4
.LBB174_2:                              ;   in Loop: Header=BB174_4 Depth=1
	s_add_co_i32 s2, s2, 0x10000
	s_wait_alu 0xfffe
	s_cmp_ge_u32 s2, s26
	s_cselect_b32 s12, -1, 0
	s_and_not1_b32 s37, s37, exec_lo
	s_wait_alu 0xfffe
	s_or_not1_b32 s12, s12, exec_lo
.LBB174_3:                              ;   in Loop: Header=BB174_4 Depth=1
	s_wait_alu 0xfffe
	s_or_b32 exec_lo, exec_lo, s3
	s_delay_alu instid0(SALU_CYCLE_1)
	s_and_b32 s3, exec_lo, s12
	s_wait_alu 0xfffe
	s_or_b32 s35, s3, s35
	s_and_not1_b32 s3, s36, exec_lo
	s_and_b32 s12, s37, exec_lo
	s_wait_alu 0xfffe
	s_or_b32 s36, s3, s12
	s_and_not1_b32 exec_lo, exec_lo, s35
	s_cbranch_execz .LBB174_62
.LBB174_4:                              ; =>This Loop Header: Depth=1
                                        ;     Child Loop BB174_7 Depth 2
                                        ;     Child Loop BB174_23 Depth 2
                                        ;       Child Loop BB174_26 Depth 3
                                        ;         Child Loop BB174_27 Depth 4
                                        ;         Child Loop BB174_30 Depth 4
                                        ;           Child Loop BB174_31 Depth 5
                                        ;         Child Loop BB174_35 Depth 4
                                        ;           Child Loop BB174_37 Depth 5
                                        ;     Child Loop BB174_45 Depth 2
                                        ;       Child Loop BB174_48 Depth 3
                                        ;         Child Loop BB174_49 Depth 4
                                        ;         Child Loop BB174_51 Depth 4
                                        ;           Child Loop BB174_52 Depth 5
                                        ;         Child Loop BB174_56 Depth 4
                                        ;           Child Loop BB174_58 Depth 5
	s_wait_alu 0xfffe
	s_mov_b32 s3, s13
	s_wait_alu 0xfffe
	s_lshl_b64 s[14:15], s[2:3], 3
	s_delay_alu instid0(SALU_CYCLE_1)
	s_add_nc_u64 s[18:19], s[8:9], s[14:15]
	global_load_b64 v[4:5], v1, s[18:19]
	s_and_saveexec_b32 s3, s0
	s_cbranch_execz .LBB174_19
; %bb.5:                                ;   in Loop: Header=BB174_4 Depth=1
	s_add_nc_u64 s[14:15], s[4:5], s[14:15]
	v_mov_b32_e32 v16, v10
	global_load_b64 v[6:7], v1, s[14:15]
	s_mov_b32 s12, s28
	s_wait_loadcnt 0x0
	v_add_co_u32 v6, vcc_lo, v6, v13
	s_wait_alu 0xfffd
	v_add_co_ci_u32_e64 v7, null, v7, v12, vcc_lo
	s_branch .LBB174_7
.LBB174_6:                              ;   in Loop: Header=BB174_7 Depth=2
	flat_load_b32 v8, v[6:7] offset:-4
	v_add_co_u32 v6, vcc_lo, v6, s6
	s_wait_alu 0xfffd
	v_add_co_ci_u32_e64 v7, null, s7, v7, vcc_lo
	s_add_co_i32 s12, s12, -1
	s_wait_alu 0xfffe
	s_cmp_eq_u32 s12, 0
	s_wait_loadcnt_dscnt 0x0
	ds_store_b64 v16, v[8:9]
	v_add_nc_u32_e32 v16, 0x200, v16
	s_cbranch_scc1 .LBB174_11
.LBB174_7:                              ;   Parent Loop BB174_4 Depth=1
                                        ; =>  This Inner Loop Header: Depth=2
	s_and_b32 vcc_lo, exec_lo, s27
	s_mov_b32 s14, -1
                                        ; implicit-def: $vgpr9
	s_wait_alu 0xfffe
	s_cbranch_vccz .LBB174_9
; %bb.8:                                ;   in Loop: Header=BB174_7 Depth=2
	flat_load_b32 v9, v[6:7]
	s_mov_b32 s14, 0
.LBB174_9:                              ;   in Loop: Header=BB174_7 Depth=2
	s_delay_alu instid0(SALU_CYCLE_1)
	s_and_not1_b32 vcc_lo, exec_lo, s14
	s_wait_alu 0xfffe
	s_cbranch_vccnz .LBB174_6
; %bb.10:                               ;   in Loop: Header=BB174_7 Depth=2
	flat_load_b32 v8, v[6:7]
	s_wait_loadcnt_dscnt 0x0
	v_xor_b32_e32 v9, 0x80000000, v8
	s_branch .LBB174_6
.LBB174_11:                             ;   in Loop: Header=BB174_4 Depth=1
	s_and_b32 vcc_lo, exec_lo, s30
	s_mov_b32 s12, -1
	s_wait_alu 0xfffe
	s_cbranch_vccz .LBB174_17
; %bb.12:                               ;   in Loop: Header=BB174_4 Depth=1
	ds_load_b64 v[6:7], v11
                                        ; implicit-def: $vgpr8
	s_wait_dscnt 0x0
	v_cmp_ngt_f32_e64 s12, |v6|, |v7|
	s_and_saveexec_b32 s14, s12
	s_delay_alu instid0(SALU_CYCLE_1)
	s_xor_b32 s12, exec_lo, s14
	s_cbranch_execz .LBB174_14
; %bb.13:                               ;   in Loop: Header=BB174_4 Depth=1
	v_div_scale_f32 v8, null, v7, v7, v6
	v_div_scale_f32 v17, vcc_lo, v6, v7, v6
	s_delay_alu instid0(VALU_DEP_2) | instskip(NEXT) | instid1(TRANS32_DEP_1)
	v_rcp_f32_e32 v9, v8
	v_fma_f32 v16, -v8, v9, 1.0
	s_delay_alu instid0(VALU_DEP_1) | instskip(NEXT) | instid1(VALU_DEP_1)
	v_fmac_f32_e32 v9, v16, v9
	v_mul_f32_e32 v16, v17, v9
	s_delay_alu instid0(VALU_DEP_1) | instskip(NEXT) | instid1(VALU_DEP_1)
	v_fma_f32 v18, -v8, v16, v17
	v_fmac_f32_e32 v16, v18, v9
	s_delay_alu instid0(VALU_DEP_1) | instskip(SKIP_1) | instid1(VALU_DEP_1)
	v_fma_f32 v8, -v8, v16, v17
	s_wait_alu 0xfffd
	v_div_fmas_f32 v8, v8, v9, v16
	s_delay_alu instid0(VALU_DEP_1) | instskip(NEXT) | instid1(VALU_DEP_1)
	v_div_fixup_f32 v8, v8, v7, v6
	v_fmac_f32_e32 v7, v6, v8
	s_delay_alu instid0(VALU_DEP_1) | instskip(SKIP_1) | instid1(VALU_DEP_2)
	v_div_scale_f32 v6, null, v7, v7, 1.0
	v_div_scale_f32 v17, vcc_lo, 1.0, v7, 1.0
	v_rcp_f32_e32 v9, v6
	s_delay_alu instid0(TRANS32_DEP_1) | instskip(NEXT) | instid1(VALU_DEP_1)
	v_fma_f32 v16, -v6, v9, 1.0
	v_fmac_f32_e32 v9, v16, v9
	s_delay_alu instid0(VALU_DEP_1) | instskip(NEXT) | instid1(VALU_DEP_1)
	v_mul_f32_e32 v16, v17, v9
	v_fma_f32 v18, -v6, v16, v17
	s_delay_alu instid0(VALU_DEP_1) | instskip(NEXT) | instid1(VALU_DEP_1)
	v_fmac_f32_e32 v16, v18, v9
	v_fma_f32 v6, -v6, v16, v17
	s_wait_alu 0xfffd
	s_delay_alu instid0(VALU_DEP_1) | instskip(SKIP_1) | instid1(VALU_DEP_2)
	v_div_fmas_f32 v6, v6, v9, v16
	v_add_f32_e32 v9, 0, v8
	v_div_fixup_f32 v6, v6, v7, 1.0
	v_fma_f32 v7, v8, 0, -1.0
	s_delay_alu instid0(VALU_DEP_2) | instskip(NEXT) | instid1(VALU_DEP_2)
	v_mul_f32_e32 v8, v9, v6
	v_mul_f32_e32 v9, v7, v6
                                        ; implicit-def: $vgpr6_vgpr7
.LBB174_14:                             ;   in Loop: Header=BB174_4 Depth=1
	s_wait_alu 0xfffe
	s_and_not1_saveexec_b32 s12, s12
	s_cbranch_execz .LBB174_16
; %bb.15:                               ;   in Loop: Header=BB174_4 Depth=1
	v_div_scale_f32 v8, null, v6, v6, v7
	v_div_scale_f32 v17, vcc_lo, v7, v6, v7
	s_delay_alu instid0(VALU_DEP_2) | instskip(NEXT) | instid1(TRANS32_DEP_1)
	v_rcp_f32_e32 v9, v8
	v_fma_f32 v16, -v8, v9, 1.0
	s_delay_alu instid0(VALU_DEP_1) | instskip(NEXT) | instid1(VALU_DEP_1)
	v_fmac_f32_e32 v9, v16, v9
	v_mul_f32_e32 v16, v17, v9
	s_delay_alu instid0(VALU_DEP_1) | instskip(NEXT) | instid1(VALU_DEP_1)
	v_fma_f32 v18, -v8, v16, v17
	v_fmac_f32_e32 v16, v18, v9
	s_delay_alu instid0(VALU_DEP_1) | instskip(SKIP_1) | instid1(VALU_DEP_1)
	v_fma_f32 v8, -v8, v16, v17
	s_wait_alu 0xfffd
	v_div_fmas_f32 v8, v8, v9, v16
	s_delay_alu instid0(VALU_DEP_1) | instskip(NEXT) | instid1(VALU_DEP_1)
	v_div_fixup_f32 v9, v8, v6, v7
	v_fmac_f32_e32 v6, v7, v9
	s_delay_alu instid0(VALU_DEP_1) | instskip(SKIP_1) | instid1(VALU_DEP_2)
	v_div_scale_f32 v7, null, v6, v6, 1.0
	v_div_scale_f32 v17, vcc_lo, 1.0, v6, 1.0
	v_rcp_f32_e32 v8, v7
	s_delay_alu instid0(TRANS32_DEP_1) | instskip(NEXT) | instid1(VALU_DEP_1)
	v_fma_f32 v16, -v7, v8, 1.0
	v_fmac_f32_e32 v8, v16, v8
	s_delay_alu instid0(VALU_DEP_1) | instskip(NEXT) | instid1(VALU_DEP_1)
	v_mul_f32_e32 v16, v17, v8
	v_fma_f32 v18, -v7, v16, v17
	s_delay_alu instid0(VALU_DEP_1) | instskip(NEXT) | instid1(VALU_DEP_1)
	v_fmac_f32_e32 v16, v18, v8
	v_fma_f32 v7, -v7, v16, v17
	s_wait_alu 0xfffd
	s_delay_alu instid0(VALU_DEP_1) | instskip(SKIP_1) | instid1(VALU_DEP_2)
	v_div_fmas_f32 v7, v7, v8, v16
	v_fma_f32 v8, v9, 0, 1.0
	v_div_fixup_f32 v6, v7, v6, 1.0
	s_delay_alu instid0(VALU_DEP_1)
	v_mul_f32_e32 v8, v8, v6
	v_mul_f32_e64 v9, -v9, v6
.LBB174_16:                             ;   in Loop: Header=BB174_4 Depth=1
	s_wait_alu 0xfffe
	s_or_b32 exec_lo, exec_lo, s12
	s_mov_b32 s12, 0
	ds_store_b64 v11, v[8:9]
.LBB174_17:                             ;   in Loop: Header=BB174_4 Depth=1
	s_wait_alu 0xfffe
	s_and_b32 vcc_lo, exec_lo, s12
	s_wait_alu 0xfffe
	s_cbranch_vccz .LBB174_19
; %bb.18:                               ;   in Loop: Header=BB174_4 Depth=1
	ds_store_b64 v11, v[0:1]
.LBB174_19:                             ;   in Loop: Header=BB174_4 Depth=1
	s_wait_alu 0xfffe
	s_or_b32 exec_lo, exec_lo, s3
	s_mov_b32 s12, -1
	s_or_b32 s37, s37, exec_lo
	s_wait_loadcnt_dscnt 0x0
	s_barrier_signal -1
	s_barrier_wait -1
	global_inv scope:SCOPE_SE
	s_and_saveexec_b32 s3, s1
	s_cbranch_execz .LBB174_3
; %bb.20:                               ;   in Loop: Header=BB174_4 Depth=1
	v_add_co_u32 v6, vcc_lo, v4, s10
	s_wait_alu 0xfffd
	v_add_co_ci_u32_e64 v7, null, s11, v5, vcc_lo
	s_delay_alu instid0(VALU_DEP_2) | instskip(SKIP_1) | instid1(VALU_DEP_2)
	v_add_co_u32 v16, vcc_lo, v6, v2
	s_wait_alu 0xfffd
	v_add_co_ci_u32_e64 v17, null, v7, v3, vcc_lo
	s_and_not1_b32 vcc_lo, exec_lo, s31
	s_wait_alu 0xfffe
	s_cbranch_vccnz .LBB174_42
; %bb.21:                               ;   in Loop: Header=BB174_4 Depth=1
	v_add_co_u32 v18, vcc_lo, v4, v15
	s_wait_alu 0xfffd
	v_add_co_ci_u32_e64 v19, null, v5, v14, vcc_lo
	s_mov_b32 s18, 0
	s_mov_b32 s14, 0
	s_branch .LBB174_23
.LBB174_22:                             ;   in Loop: Header=BB174_23 Depth=2
	s_cmp_lt_i32 s14, s28
	s_cselect_b32 s12, -1, 0
	s_add_co_i32 s15, s18, 1
	s_cmp_lt_u32 s18, 2
	s_cselect_b32 s18, -1, 0
	s_wait_alu 0xfffe
	s_and_b32 s12, s12, s18
	s_mov_b32 s18, s15
	s_wait_alu 0xfffe
	s_and_b32 vcc_lo, exec_lo, s12
	s_wait_alu 0xfffe
	s_cbranch_vccz .LBB174_41
.LBB174_23:                             ;   Parent Loop BB174_4 Depth=1
                                        ; =>  This Loop Header: Depth=2
                                        ;       Child Loop BB174_26 Depth 3
                                        ;         Child Loop BB174_27 Depth 4
                                        ;         Child Loop BB174_30 Depth 4
                                        ;           Child Loop BB174_31 Depth 5
                                        ;         Child Loop BB174_35 Depth 4
                                        ;           Child Loop BB174_37 Depth 5
	s_mov_b32 s19, s13
	s_getpc_b64 s[20:21]
	s_wait_alu 0xfffe
	s_sext_i32_i16 s21, s21
	s_add_co_u32 s20, s20, __const._ZL30rocblas_trsm_small_left_deviceILi64ELi32ELb0E19rocblas_complex_numIfES1_PKPKS1_PKPS1_Ev13rocblas_fill_18rocblas_operation_17rocblas_diagonal_iiT3_T4_lilT5_lili.step_sizes@rel32@lo+12
	s_wait_alu 0xfffe
	s_add_co_ci_u32 s21, s21, __const._ZL30rocblas_trsm_small_left_deviceILi64ELi32ELb0E19rocblas_complex_numIfES1_PKPKS1_PKPS1_Ev13rocblas_fill_18rocblas_operation_17rocblas_diagonal_iiT3_T4_lilT5_lili.step_sizes@rel32@hi+24
	s_lshl_b64 s[22:23], s[18:19], 2
	s_wait_alu 0xfffe
	s_add_nc_u64 s[20:21], s[20:21], s[22:23]
	s_load_b32 s20, s[20:21], 0x0
	s_wait_kmcnt 0x0
	s_add_co_i32 s19, s20, -1
	s_wait_alu 0xfffe
	s_add_co_i32 s12, s19, s14
	s_wait_alu 0xfffe
	s_cmp_ge_i32 s12, s28
	s_cbranch_scc1 .LBB174_22
; %bb.24:                               ;   in Loop: Header=BB174_23 Depth=2
	s_ashr_i32 s15, s14, 31
	s_ashr_i32 s21, s20, 31
	s_lshl_b64 s[22:23], s[14:15], 3
	s_max_i32 s38, s20, 1
	s_wait_alu 0xfffe
	v_add_co_u32 v6, vcc_lo, v18, s22
	s_wait_alu 0xfffd
	v_add_co_ci_u32_e64 v7, null, s23, v19, vcc_lo
	s_lshl_b64 s[22:23], s[20:21], 3
	s_lshl_b32 s15, s14, 9
	s_lshl_b32 s21, s20, 9
	s_mul_i32 s39, s14, 0x208
	s_mul_i32 s40, s20, 0x208
	s_branch .LBB174_26
.LBB174_25:                             ;   in Loop: Header=BB174_26 Depth=3
	v_add_co_u32 v6, vcc_lo, v6, s22
	s_add_co_i32 s14, s14, s20
	s_wait_alu 0xfffd
	v_add_co_ci_u32_e64 v7, null, s23, v7, vcc_lo
	s_add_co_i32 s12, s19, s14
	s_add_co_i32 s15, s15, s21
	;; [unrolled: 1-line block ×3, first 2 shown]
	s_wait_alu 0xfffe
	s_cmp_ge_i32 s12, s28
	s_cbranch_scc1 .LBB174_22
.LBB174_26:                             ;   Parent Loop BB174_4 Depth=1
                                        ;     Parent Loop BB174_23 Depth=2
                                        ; =>    This Loop Header: Depth=3
                                        ;         Child Loop BB174_27 Depth 4
                                        ;         Child Loop BB174_30 Depth 4
                                        ;           Child Loop BB174_31 Depth 5
                                        ;         Child Loop BB174_35 Depth 4
                                        ;           Child Loop BB174_37 Depth 5
	v_dual_mov_b32 v9, v7 :: v_dual_mov_b32 v8, v6
	s_mov_b32 s12, 4
	s_mov_b32 s24, s38
.LBB174_27:                             ;   Parent Loop BB174_4 Depth=1
                                        ;     Parent Loop BB174_23 Depth=2
                                        ;       Parent Loop BB174_26 Depth=3
                                        ; =>      This Inner Loop Header: Depth=4
	flat_load_b64 v[20:21], v[8:9] offset:-4
	v_add_co_u32 v8, vcc_lo, v8, 8
	s_wait_alu 0xfffd
	v_add_co_ci_u32_e64 v9, null, 0, v9, vcc_lo
	s_wait_alu 0xfffe
	s_add_co_i32 s24, s24, -1
	s_mov_b32 s25, s12
	s_add_co_i32 s12, s12, 8
	s_wait_alu 0xfffe
	s_cmp_eq_u32 s24, 0
	s_wait_loadcnt_dscnt 0x0
	v_mul_f32_e32 v22, s16, v21
	s_delay_alu instid0(VALU_DEP_1) | instskip(NEXT) | instid1(VALU_DEP_1)
	v_dual_mul_f32 v23, s17, v21 :: v_dual_fmac_f32 v22, s17, v20
	v_fma_f32 v21, v20, s16, -v23
	scratch_store_b64 off, v[21:22], s25 offset:-4
	s_cbranch_scc0 .LBB174_27
; %bb.28:                               ;   in Loop: Header=BB174_26 Depth=3
	s_cmp_lt_i32 s14, 1
	s_cbranch_scc1 .LBB174_33
; %bb.29:                               ;   in Loop: Header=BB174_26 Depth=3
	s_mov_b32 s12, 0
	s_mov_b32 s24, s15
.LBB174_30:                             ;   Parent Loop BB174_4 Depth=1
                                        ;     Parent Loop BB174_23 Depth=2
                                        ;       Parent Loop BB174_26 Depth=3
                                        ; =>      This Loop Header: Depth=4
                                        ;           Child Loop BB174_31 Depth 5
	s_wait_alu 0xfffe
	s_lshl_b64 s[42:43], s[12:13], 3
	s_mov_b32 s25, s33
	s_wait_alu 0xfffe
	v_add_co_u32 v8, vcc_lo, v16, s42
	s_wait_alu 0xfffd
	v_add_co_ci_u32_e64 v9, null, s43, v17, vcc_lo
	s_mov_b32 s41, s24
	s_mov_b32 s42, s38
	flat_load_b64 v[8:9], v[8:9]
.LBB174_31:                             ;   Parent Loop BB174_4 Depth=1
                                        ;     Parent Loop BB174_23 Depth=2
                                        ;       Parent Loop BB174_26 Depth=3
                                        ;         Parent Loop BB174_30 Depth=4
                                        ; =>        This Inner Loop Header: Depth=5
	scratch_load_b64 v[20:21], off, s25 offset:-4
	s_wait_alu 0xfffe
	v_mov_b32_e32 v22, s41
	s_add_co_i32 s42, s42, -1
	s_addk_co_i32 s41, 0x200
	ds_load_b64 v[22:23], v22
	s_wait_loadcnt_dscnt 0x100
	v_mul_f32_e32 v24, v23, v9
	v_mul_f32_e32 v23, v23, v8
	s_delay_alu instid0(VALU_DEP_1) | instskip(SKIP_1) | instid1(VALU_DEP_1)
	v_fmac_f32_e32 v23, v22, v9
	s_wait_loadcnt 0x0
	v_sub_f32_e32 v21, v21, v23
	v_fma_f32 v24, v22, v8, -v24
	s_delay_alu instid0(VALU_DEP_1)
	v_sub_f32_e32 v20, v20, v24
	scratch_store_b64 off, v[20:21], s25 offset:-4
	s_add_co_i32 s25, s25, 8
	s_wait_alu 0xfffe
	s_cmp_eq_u32 s42, 0
	s_cbranch_scc0 .LBB174_31
; %bb.32:                               ;   in Loop: Header=BB174_30 Depth=4
	s_add_co_i32 s12, s12, 1
	s_add_co_i32 s24, s24, 8
	s_wait_alu 0xfffe
	s_cmp_eq_u32 s12, s14
	s_cbranch_scc0 .LBB174_30
.LBB174_33:                             ;   in Loop: Header=BB174_26 Depth=3
	s_mov_b32 s12, 0
	s_mov_b32 s41, s39
	s_branch .LBB174_35
.LBB174_34:                             ;   in Loop: Header=BB174_35 Depth=4
	s_wait_alu 0xfffe
	s_mul_i32 s25, s24, 0x208
	s_lshl_b32 s42, s12, 3
	s_wait_alu 0xfffe
	v_mov_b32_e32 v20, s25
	s_ashr_i32 s25, s24, 31
	s_add_co_i32 s12, s12, 1
	s_wait_alu 0xfffe
	s_lshl_b64 s[24:25], s[24:25], 3
	s_addk_co_i32 s41, 0x200
	ds_load_b64 v[20:21], v20
	s_cmp_eq_u32 s12, s38
	s_wait_loadcnt_dscnt 0x0
	v_mul_f32_e32 v22, v21, v9
	v_mul_f32_e32 v23, v20, v9
	s_delay_alu instid0(VALU_DEP_2) | instskip(NEXT) | instid1(VALU_DEP_2)
	v_fma_f32 v22, v20, v8, -v22
	v_fmac_f32_e32 v23, v21, v8
	s_wait_alu 0xfffe
	v_add_co_u32 v8, vcc_lo, v16, s24
	s_wait_alu 0xfffd
	v_add_co_ci_u32_e64 v9, null, s25, v17, vcc_lo
	scratch_store_b64 off, v[22:23], s42
	flat_store_b64 v[8:9], v[22:23]
	s_cbranch_scc1 .LBB174_25
.LBB174_35:                             ;   Parent Loop BB174_4 Depth=1
                                        ;     Parent Loop BB174_23 Depth=2
                                        ;       Parent Loop BB174_26 Depth=3
                                        ; =>      This Loop Header: Depth=4
                                        ;           Child Loop BB174_37 Depth 5
	s_wait_alu 0xfffe
	s_cmp_lg_u32 s12, 0
	s_cbranch_scc0 .LBB174_39
; %bb.36:                               ;   in Loop: Header=BB174_35 Depth=4
	s_lshl_b32 s25, s12, 3
	s_add_co_i32 s24, s12, s14
	scratch_load_b64 v[8:9], off, s25
	s_mov_b32 s42, 0
	s_mov_b32 s43, s41
	;; [unrolled: 1-line block ×3, first 2 shown]
.LBB174_37:                             ;   Parent Loop BB174_4 Depth=1
                                        ;     Parent Loop BB174_23 Depth=2
                                        ;       Parent Loop BB174_26 Depth=3
                                        ;         Parent Loop BB174_35 Depth=4
                                        ; =>        This Inner Loop Header: Depth=5
	scratch_load_b64 v[20:21], off, s42
	s_wait_alu 0xfffe
	v_mov_b32_e32 v22, s43
	s_add_co_i32 s44, s44, -1
	s_add_co_i32 s42, s42, 8
	s_add_co_i32 s43, s43, 8
	s_cmp_eq_u32 s44, 0
	ds_load_b64 v[22:23], v22
	s_wait_loadcnt_dscnt 0x0
	v_mul_f32_e32 v24, v23, v21
	v_mul_f32_e32 v21, v22, v21
	s_delay_alu instid0(VALU_DEP_2) | instskip(NEXT) | instid1(VALU_DEP_1)
	v_fma_f32 v22, v22, v20, -v24
	v_dual_sub_f32 v8, v8, v22 :: v_dual_fmac_f32 v21, v23, v20
	s_delay_alu instid0(VALU_DEP_1)
	v_sub_f32_e32 v9, v9, v21
	scratch_store_b64 off, v[8:9], s25
	s_cbranch_scc0 .LBB174_37
; %bb.38:                               ;   in Loop: Header=BB174_35 Depth=4
	s_branch .LBB174_34
.LBB174_39:                             ;   in Loop: Header=BB174_35 Depth=4
                                        ; implicit-def: $vgpr8
                                        ; implicit-def: $sgpr24
	s_cbranch_execz .LBB174_34
; %bb.40:                               ;   in Loop: Header=BB174_35 Depth=4
	scratch_load_b64 v[8:9], off, off
	s_mov_b32 s24, s14
	s_branch .LBB174_34
.LBB174_41:                             ;   in Loop: Header=BB174_4 Depth=1
	s_mov_b32 s12, 0
.LBB174_42:                             ;   in Loop: Header=BB174_4 Depth=1
	s_wait_alu 0xfffe
	s_and_b32 vcc_lo, exec_lo, s12
	s_wait_alu 0xfffe
	s_cbranch_vccz .LBB174_2
; %bb.43:                               ;   in Loop: Header=BB174_4 Depth=1
	v_add_co_u32 v6, vcc_lo, v4, v15
	s_wait_alu 0xfffd
	v_add_co_ci_u32_e64 v7, null, v5, v14, vcc_lo
	s_mov_b32 s12, 0
	s_mov_b32 s14, s29
	s_branch .LBB174_45
.LBB174_44:                             ;   in Loop: Header=BB174_45 Depth=2
	s_cmp_gt_i32 s14, -1
	s_cselect_b32 s15, -1, 0
	s_add_co_i32 s18, s12, 1
	s_cmp_lt_u32 s12, 2
	s_cselect_b32 s12, -1, 0
	s_wait_alu 0xfffe
	s_and_b32 s12, s15, s12
	s_wait_alu 0xfffe
	s_and_not1_b32 vcc_lo, exec_lo, s12
	s_mov_b32 s12, s18
	s_wait_alu 0xfffe
	s_cbranch_vccnz .LBB174_2
.LBB174_45:                             ;   Parent Loop BB174_4 Depth=1
                                        ; =>  This Loop Header: Depth=2
                                        ;       Child Loop BB174_48 Depth 3
                                        ;         Child Loop BB174_49 Depth 4
                                        ;         Child Loop BB174_51 Depth 4
                                        ;           Child Loop BB174_52 Depth 5
                                        ;         Child Loop BB174_56 Depth 4
                                        ;           Child Loop BB174_58 Depth 5
	s_getpc_b64 s[18:19]
	s_wait_alu 0xfffe
	s_sext_i32_i16 s19, s19
	s_add_co_u32 s18, s18, __const._ZL30rocblas_trsm_small_left_deviceILi64ELi32ELb0E19rocblas_complex_numIfES1_PKPKS1_PKPS1_Ev13rocblas_fill_18rocblas_operation_17rocblas_diagonal_iiT3_T4_lilT5_lili.step_sizes@rel32@lo+12
	s_wait_alu 0xfffe
	s_add_co_ci_u32 s19, s19, __const._ZL30rocblas_trsm_small_left_deviceILi64ELi32ELb0E19rocblas_complex_numIfES1_PKPKS1_PKPS1_Ev13rocblas_fill_18rocblas_operation_17rocblas_diagonal_iiT3_T4_lilT5_lili.step_sizes@rel32@hi+24
	s_lshl_b64 s[20:21], s[12:13], 2
	s_wait_alu 0xfffe
	s_add_nc_u64 s[18:19], s[18:19], s[20:21]
	s_load_b32 s22, s[18:19], 0x0
	s_wait_kmcnt 0x0
	s_add_co_i32 s23, s22, -1
	s_wait_alu 0xfffe
	s_cmp_lt_i32 s14, s23
	s_cbranch_scc1 .LBB174_44
; %bb.46:                               ;   in Loop: Header=BB174_45 Depth=2
	s_lshl_b32 s15, s14, 3
	s_lshl_b32 s18, s22, 3
	s_max_i32 s24, s22, 1
	s_add_co_i32 s25, s34, s15
	s_wait_alu 0xfffe
	s_sub_co_i32 s38, 0, s18
	s_mul_i32 s39, s14, 0x208
	s_mul_i32 s40, s22, 0xfffffdf8
	s_branch .LBB174_48
.LBB174_47:                             ;   in Loop: Header=BB174_48 Depth=3
	s_sub_co_i32 s14, s14, s22
	s_add_co_i32 s25, s25, s38
	s_add_co_i32 s39, s39, s40
	s_cmp_lt_i32 s14, s23
	s_cbranch_scc1 .LBB174_44
.LBB174_48:                             ;   Parent Loop BB174_4 Depth=1
                                        ;     Parent Loop BB174_45 Depth=2
                                        ; =>    This Loop Header: Depth=3
                                        ;         Child Loop BB174_49 Depth 4
                                        ;         Child Loop BB174_51 Depth 4
                                        ;           Child Loop BB174_52 Depth 5
                                        ;         Child Loop BB174_56 Depth 4
                                        ;           Child Loop BB174_58 Depth 5
	s_ashr_i32 s15, s14, 31
	s_delay_alu instid0(SALU_CYCLE_1)
	s_lshl_b64 s[18:19], s[14:15], 3
	s_wait_alu 0xfffe
	v_add_co_u32 v4, vcc_lo, v6, s18
	s_wait_alu 0xfffd
	v_add_co_ci_u32_e64 v5, null, s19, v7, vcc_lo
	s_mov_b32 s18, 4
	s_mov_b32 s19, s24
.LBB174_49:                             ;   Parent Loop BB174_4 Depth=1
                                        ;     Parent Loop BB174_45 Depth=2
                                        ;       Parent Loop BB174_48 Depth=3
                                        ; =>      This Inner Loop Header: Depth=4
	flat_load_b64 v[8:9], v[4:5] offset:-4
	v_add_co_u32 v4, vcc_lo, v4, -8
	s_wait_alu 0xfffd
	v_add_co_ci_u32_e64 v5, null, -1, v5, vcc_lo
	s_wait_alu 0xfffe
	s_add_co_i32 s19, s19, -1
	s_mov_b32 s20, s18
	s_add_co_i32 s18, s18, 8
	s_wait_alu 0xfffe
	s_cmp_eq_u32 s19, 0
	s_wait_loadcnt_dscnt 0x0
	v_mul_f32_e32 v19, s16, v9
	s_delay_alu instid0(VALU_DEP_1) | instskip(NEXT) | instid1(VALU_DEP_1)
	v_dual_mul_f32 v18, s17, v9 :: v_dual_fmac_f32 v19, s17, v8
	v_fma_f32 v18, v8, s16, -v18
	scratch_store_b64 off, v[18:19], s20 offset:-4
	s_cbranch_scc0 .LBB174_49
; %bb.50:                               ;   in Loop: Header=BB174_48 Depth=3
	s_cmp_le_i32 s29, s14
	s_mov_b32 s20, s25
	s_mov_b32 s18, s29
	s_cbranch_scc1 .LBB174_54
.LBB174_51:                             ;   Parent Loop BB174_4 Depth=1
                                        ;     Parent Loop BB174_45 Depth=2
                                        ;       Parent Loop BB174_48 Depth=3
                                        ; =>      This Loop Header: Depth=4
                                        ;           Child Loop BB174_52 Depth 5
	s_wait_alu 0xfffe
	s_ashr_i32 s19, s18, 31
	s_mov_b32 s21, s20
	s_wait_alu 0xfffe
	s_lshl_b64 s[42:43], s[18:19], 3
	s_mov_b32 s19, s33
	s_wait_alu 0xfffe
	v_add_co_u32 v4, vcc_lo, v16, s42
	s_wait_alu 0xfffd
	v_add_co_ci_u32_e64 v5, null, s43, v17, vcc_lo
	s_mov_b32 s41, s24
	flat_load_b64 v[4:5], v[4:5]
.LBB174_52:                             ;   Parent Loop BB174_4 Depth=1
                                        ;     Parent Loop BB174_45 Depth=2
                                        ;       Parent Loop BB174_48 Depth=3
                                        ;         Parent Loop BB174_51 Depth=4
                                        ; =>        This Inner Loop Header: Depth=5
	scratch_load_b64 v[8:9], off, s19 offset:-4
	v_mov_b32_e32 v18, s21
	s_wait_alu 0xfffe
	s_add_co_i32 s41, s41, -1
	s_add_co_i32 s21, s21, -8
	ds_load_b64 v[18:19], v18
	s_wait_loadcnt_dscnt 0x100
	v_mul_f32_e32 v20, v19, v5
	v_mul_f32_e32 v19, v19, v4
	s_delay_alu instid0(VALU_DEP_1) | instskip(SKIP_1) | instid1(VALU_DEP_1)
	v_fmac_f32_e32 v19, v18, v5
	s_wait_loadcnt 0x0
	v_sub_f32_e32 v9, v9, v19
	v_fma_f32 v20, v18, v4, -v20
	s_delay_alu instid0(VALU_DEP_1)
	v_sub_f32_e32 v8, v8, v20
	scratch_store_b64 off, v[8:9], s19 offset:-4
	s_add_co_i32 s19, s19, 8
	s_wait_alu 0xfffe
	s_cmp_eq_u32 s41, 0
	s_cbranch_scc0 .LBB174_52
; %bb.53:                               ;   in Loop: Header=BB174_51 Depth=4
	s_add_co_i32 s18, s18, -1
	s_addk_co_i32 s20, 0xfe00
	s_wait_alu 0xfffe
	s_cmp_le_i32 s18, s14
	s_cbranch_scc0 .LBB174_51
.LBB174_54:                             ;   in Loop: Header=BB174_48 Depth=3
	s_mov_b32 s41, 0
	s_mov_b32 s42, s39
	s_branch .LBB174_56
.LBB174_55:                             ;   in Loop: Header=BB174_56 Depth=4
	s_wait_alu 0xfffe
	s_mulk_i32 s20, 0x208
	s_lshl_b64 s[18:19], s[18:19], 3
	s_wait_alu 0xfffe
	v_mov_b32_e32 v8, s20
	s_lshl_b32 s20, s41, 3
	s_add_co_i32 s41, s41, 1
	s_add_co_i32 s42, s42, -8
	s_wait_alu 0xfffe
	s_cmp_eq_u32 s41, s24
	ds_load_b64 v[8:9], v8
	s_wait_loadcnt_dscnt 0x0
	v_mul_f32_e32 v18, v9, v5
	v_mul_f32_e32 v19, v8, v5
	s_delay_alu instid0(VALU_DEP_2) | instskip(NEXT) | instid1(VALU_DEP_2)
	v_fma_f32 v18, v8, v4, -v18
	v_fmac_f32_e32 v19, v9, v4
	v_add_co_u32 v4, vcc_lo, v16, s18
	s_wait_alu 0xfffd
	v_add_co_ci_u32_e64 v5, null, s19, v17, vcc_lo
	scratch_store_b64 off, v[18:19], s20
	flat_store_b64 v[4:5], v[18:19]
	s_cbranch_scc1 .LBB174_47
.LBB174_56:                             ;   Parent Loop BB174_4 Depth=1
                                        ;     Parent Loop BB174_45 Depth=2
                                        ;       Parent Loop BB174_48 Depth=3
                                        ; =>      This Loop Header: Depth=4
                                        ;           Child Loop BB174_58 Depth 5
	s_wait_alu 0xfffe
	s_cmp_lg_u32 s41, 0
	s_cbranch_scc0 .LBB174_60
; %bb.57:                               ;   in Loop: Header=BB174_56 Depth=4
	s_lshl_b32 s18, s41, 3
	s_mov_b32 s19, 0
	scratch_load_b64 v[4:5], off, s18
	s_mov_b32 s20, s42
	s_mov_b32 s21, s41
.LBB174_58:                             ;   Parent Loop BB174_4 Depth=1
                                        ;     Parent Loop BB174_45 Depth=2
                                        ;       Parent Loop BB174_48 Depth=3
                                        ;         Parent Loop BB174_56 Depth=4
                                        ; =>        This Inner Loop Header: Depth=5
	scratch_load_b64 v[8:9], off, s19
	s_wait_alu 0xfffe
	v_mov_b32_e32 v18, s20
	s_add_co_i32 s21, s21, -1
	s_addk_co_i32 s20, 0xfe00
	s_add_co_i32 s19, s19, 8
	s_wait_alu 0xfffe
	s_cmp_eq_u32 s21, 0
	ds_load_b64 v[18:19], v18
	s_wait_loadcnt_dscnt 0x0
	v_mul_f32_e32 v20, v19, v9
	v_mul_f32_e32 v9, v18, v9
	s_delay_alu instid0(VALU_DEP_2) | instskip(NEXT) | instid1(VALU_DEP_1)
	v_fma_f32 v18, v18, v8, -v20
	v_dual_sub_f32 v4, v4, v18 :: v_dual_fmac_f32 v9, v19, v8
	s_delay_alu instid0(VALU_DEP_1)
	v_sub_f32_e32 v5, v5, v9
	scratch_store_b64 off, v[4:5], s18
	s_cbranch_scc0 .LBB174_58
; %bb.59:                               ;   in Loop: Header=BB174_56 Depth=4
	s_sub_co_i32 s20, s14, s41
	s_wait_alu 0xfffe
	s_ashr_i32 s21, s20, 31
	s_wait_alu 0xfffe
	s_mov_b64 s[18:19], s[20:21]
	s_branch .LBB174_55
.LBB174_60:                             ;   in Loop: Header=BB174_56 Depth=4
                                        ; implicit-def: $vgpr4
                                        ; implicit-def: $sgpr20
                                        ; implicit-def: $sgpr18_sgpr19
	s_cbranch_execz .LBB174_55
; %bb.61:                               ;   in Loop: Header=BB174_56 Depth=4
	scratch_load_b64 v[4:5], off, off
	s_mov_b64 s[18:19], s[14:15]
	s_mov_b32 s20, s14
	s_branch .LBB174_55
.LBB174_62:
	s_or_b32 exec_lo, exec_lo, s35
	s_and_saveexec_b32 s0, s36
	s_wait_alu 0xfffe
	s_xor_b32 s0, exec_lo, s0
.LBB174_63:
	s_endpgm
	.section	.rodata,"a",@progbits
	.p2align	6, 0x0
	.amdhsa_kernel _ZL30rocblas_trsm_small_left_deviceILi64ELi32ELb0E19rocblas_complex_numIfES1_PKPKS1_PKPS1_Ev13rocblas_fill_18rocblas_operation_17rocblas_diagonal_iiT3_T4_lilT5_lili
		.amdhsa_group_segment_fixed_size 32768
		.amdhsa_private_segment_fixed_size 272
		.amdhsa_kernarg_size 360
		.amdhsa_user_sgpr_count 2
		.amdhsa_user_sgpr_dispatch_ptr 0
		.amdhsa_user_sgpr_queue_ptr 0
		.amdhsa_user_sgpr_kernarg_segment_ptr 1
		.amdhsa_user_sgpr_dispatch_id 0
		.amdhsa_user_sgpr_private_segment_size 0
		.amdhsa_wavefront_size32 1
		.amdhsa_uses_dynamic_stack 0
		.amdhsa_enable_private_segment 1
		.amdhsa_system_sgpr_workgroup_id_x 1
		.amdhsa_system_sgpr_workgroup_id_y 0
		.amdhsa_system_sgpr_workgroup_id_z 1
		.amdhsa_system_sgpr_workgroup_info 0
		.amdhsa_system_vgpr_workitem_id 0
		.amdhsa_next_free_vgpr 241
		.amdhsa_next_free_sgpr 45
		.amdhsa_reserve_vcc 1
		.amdhsa_float_round_mode_32 0
		.amdhsa_float_round_mode_16_64 0
		.amdhsa_float_denorm_mode_32 3
		.amdhsa_float_denorm_mode_16_64 3
		.amdhsa_fp16_overflow 0
		.amdhsa_workgroup_processor_mode 1
		.amdhsa_memory_ordered 1
		.amdhsa_forward_progress 1
		.amdhsa_inst_pref_size 25
		.amdhsa_round_robin_scheduling 0
		.amdhsa_exception_fp_ieee_invalid_op 0
		.amdhsa_exception_fp_denorm_src 0
		.amdhsa_exception_fp_ieee_div_zero 0
		.amdhsa_exception_fp_ieee_overflow 0
		.amdhsa_exception_fp_ieee_underflow 0
		.amdhsa_exception_fp_ieee_inexact 0
		.amdhsa_exception_int_div_zero 0
	.end_amdhsa_kernel
	.section	.text._ZL30rocblas_trsm_small_left_deviceILi64ELi32ELb0E19rocblas_complex_numIfES1_PKPKS1_PKPS1_Ev13rocblas_fill_18rocblas_operation_17rocblas_diagonal_iiT3_T4_lilT5_lili,"axG",@progbits,_ZL30rocblas_trsm_small_left_deviceILi64ELi32ELb0E19rocblas_complex_numIfES1_PKPKS1_PKPS1_Ev13rocblas_fill_18rocblas_operation_17rocblas_diagonal_iiT3_T4_lilT5_lili,comdat
.Lfunc_end174:
	.size	_ZL30rocblas_trsm_small_left_deviceILi64ELi32ELb0E19rocblas_complex_numIfES1_PKPKS1_PKPS1_Ev13rocblas_fill_18rocblas_operation_17rocblas_diagonal_iiT3_T4_lilT5_lili, .Lfunc_end174-_ZL30rocblas_trsm_small_left_deviceILi64ELi32ELb0E19rocblas_complex_numIfES1_PKPKS1_PKPS1_Ev13rocblas_fill_18rocblas_operation_17rocblas_diagonal_iiT3_T4_lilT5_lili
                                        ; -- End function
	.set _ZL30rocblas_trsm_small_left_deviceILi64ELi32ELb0E19rocblas_complex_numIfES1_PKPKS1_PKPS1_Ev13rocblas_fill_18rocblas_operation_17rocblas_diagonal_iiT3_T4_lilT5_lili.num_vgpr, 25
	.set _ZL30rocblas_trsm_small_left_deviceILi64ELi32ELb0E19rocblas_complex_numIfES1_PKPKS1_PKPS1_Ev13rocblas_fill_18rocblas_operation_17rocblas_diagonal_iiT3_T4_lilT5_lili.num_agpr, 0
	.set _ZL30rocblas_trsm_small_left_deviceILi64ELi32ELb0E19rocblas_complex_numIfES1_PKPKS1_PKPS1_Ev13rocblas_fill_18rocblas_operation_17rocblas_diagonal_iiT3_T4_lilT5_lili.numbered_sgpr, 45
	.set _ZL30rocblas_trsm_small_left_deviceILi64ELi32ELb0E19rocblas_complex_numIfES1_PKPKS1_PKPS1_Ev13rocblas_fill_18rocblas_operation_17rocblas_diagonal_iiT3_T4_lilT5_lili.num_named_barrier, 0
	.set _ZL30rocblas_trsm_small_left_deviceILi64ELi32ELb0E19rocblas_complex_numIfES1_PKPKS1_PKPS1_Ev13rocblas_fill_18rocblas_operation_17rocblas_diagonal_iiT3_T4_lilT5_lili.private_seg_size, 272
	.set _ZL30rocblas_trsm_small_left_deviceILi64ELi32ELb0E19rocblas_complex_numIfES1_PKPKS1_PKPS1_Ev13rocblas_fill_18rocblas_operation_17rocblas_diagonal_iiT3_T4_lilT5_lili.uses_vcc, 1
	.set _ZL30rocblas_trsm_small_left_deviceILi64ELi32ELb0E19rocblas_complex_numIfES1_PKPKS1_PKPS1_Ev13rocblas_fill_18rocblas_operation_17rocblas_diagonal_iiT3_T4_lilT5_lili.uses_flat_scratch, 0
	.set _ZL30rocblas_trsm_small_left_deviceILi64ELi32ELb0E19rocblas_complex_numIfES1_PKPKS1_PKPS1_Ev13rocblas_fill_18rocblas_operation_17rocblas_diagonal_iiT3_T4_lilT5_lili.has_dyn_sized_stack, 0
	.set _ZL30rocblas_trsm_small_left_deviceILi64ELi32ELb0E19rocblas_complex_numIfES1_PKPKS1_PKPS1_Ev13rocblas_fill_18rocblas_operation_17rocblas_diagonal_iiT3_T4_lilT5_lili.has_recursion, 0
	.set _ZL30rocblas_trsm_small_left_deviceILi64ELi32ELb0E19rocblas_complex_numIfES1_PKPKS1_PKPS1_Ev13rocblas_fill_18rocblas_operation_17rocblas_diagonal_iiT3_T4_lilT5_lili.has_indirect_call, 0
	.section	.AMDGPU.csdata,"",@progbits
; Kernel info:
; codeLenInByte = 3136
; TotalNumSgprs: 47
; NumVgprs: 25
; ScratchSize: 272
; MemoryBound: 0
; FloatMode: 240
; IeeeMode: 1
; LDSByteSize: 32768 bytes/workgroup (compile time only)
; SGPRBlocks: 0
; VGPRBlocks: 30
; NumSGPRsForWavesPerEU: 47
; NumVGPRsForWavesPerEU: 241
; Occupancy: 2
; WaveLimiterHint : 1
; COMPUTE_PGM_RSRC2:SCRATCH_EN: 1
; COMPUTE_PGM_RSRC2:USER_SGPR: 2
; COMPUTE_PGM_RSRC2:TRAP_HANDLER: 0
; COMPUTE_PGM_RSRC2:TGID_X_EN: 1
; COMPUTE_PGM_RSRC2:TGID_Y_EN: 0
; COMPUTE_PGM_RSRC2:TGID_Z_EN: 1
; COMPUTE_PGM_RSRC2:TIDIG_COMP_CNT: 0
	.section	.text._ZL38rocblas_trsm_small_left_device_sharedBILi64ELi32ELb1E19rocblas_complex_numIfES1_PKPKS1_PKPS1_Ev13rocblas_fill_18rocblas_operation_17rocblas_diagonal_iiT3_T4_lilT5_lili,"axG",@progbits,_ZL38rocblas_trsm_small_left_device_sharedBILi64ELi32ELb1E19rocblas_complex_numIfES1_PKPKS1_PKPS1_Ev13rocblas_fill_18rocblas_operation_17rocblas_diagonal_iiT3_T4_lilT5_lili,comdat
	.globl	_ZL38rocblas_trsm_small_left_device_sharedBILi64ELi32ELb1E19rocblas_complex_numIfES1_PKPKS1_PKPS1_Ev13rocblas_fill_18rocblas_operation_17rocblas_diagonal_iiT3_T4_lilT5_lili ; -- Begin function _ZL38rocblas_trsm_small_left_device_sharedBILi64ELi32ELb1E19rocblas_complex_numIfES1_PKPKS1_PKPS1_Ev13rocblas_fill_18rocblas_operation_17rocblas_diagonal_iiT3_T4_lilT5_lili
	.p2align	8
	.type	_ZL38rocblas_trsm_small_left_device_sharedBILi64ELi32ELb1E19rocblas_complex_numIfES1_PKPKS1_PKPS1_Ev13rocblas_fill_18rocblas_operation_17rocblas_diagonal_iiT3_T4_lilT5_lili,@function
_ZL38rocblas_trsm_small_left_device_sharedBILi64ELi32ELb1E19rocblas_complex_numIfES1_PKPKS1_PKPS1_Ev13rocblas_fill_18rocblas_operation_17rocblas_diagonal_iiT3_T4_lilT5_lili: ; @_ZL38rocblas_trsm_small_left_device_sharedBILi64ELi32ELb1E19rocblas_complex_numIfES1_PKPKS1_PKPS1_Ev13rocblas_fill_18rocblas_operation_17rocblas_diagonal_iiT3_T4_lilT5_lili
; %bb.0:
	s_load_b32 s22, s[0:1], 0x60
	s_lshr_b32 s2, ttmp7, 16
	s_wait_kmcnt 0x0
	s_cmp_ge_u32 s2, s22
	s_cbranch_scc1 .LBB175_66
; %bb.1:
	s_clause 0x6
	s_load_b32 s20, s[0:1], 0x30
	s_load_b32 s30, s[0:1], 0x50
	s_load_b128 s[12:15], s[0:1], 0x4
	s_load_b32 s3, s[0:1], 0x68
	s_load_b128 s[4:7], s[0:1], 0x20
	s_load_b128 s[8:11], s[0:1], 0x40
	s_load_b64 s[16:17], s[0:1], 0x14
	v_dual_mov_b32 v1, 0 :: v_dual_lshlrev_b32 v10, 3, v0
	v_lshlrev_b32_e32 v6, 9, v0
	s_mov_b32 s19, 0
	s_delay_alu instid0(VALU_DEP_2) | instskip(NEXT) | instid1(VALU_DEP_2)
	v_or_b32_e32 v11, 0x8000, v10
	v_add_nc_u32_e32 v16, v10, v6
	s_wait_kmcnt 0x0
	s_ashr_i32 s21, s20, 31
	s_ashr_i32 s31, s30, 31
	s_cmp_lg_u32 s12, 0x71
	v_mad_co_i64_i32 v[2:3], null, s30, v0, 0
	s_cselect_b32 s1, -1, 0
	s_min_i32 s23, s14, 64
	s_lshl_b32 s28, ttmp9, 6
	s_add_co_i32 s3, s3, -1
	s_add_co_i32 s24, s23, -1
	s_sub_co_i32 s0, s15, s28
	s_cmp_ge_u32 ttmp9, s3
	v_lshlrev_b64_e32 v[2:3], 3, v[2:3]
	s_cselect_b32 s0, s0, 64
	s_ashr_i32 s29, s28, 31
	s_cmp_lg_u32 s13, 0x84
	v_cmp_gt_i32_e32 vcc_lo, s0, v0
	s_cselect_b32 s25, -1, 0
	s_cmp_gt_i32 s14, 0
	v_cmp_gt_i32_e64 s0, s23, v0
	s_cselect_b32 s3, -1, 0
	s_cmp_lg_u32 s12, 0x6f
	s_mul_u64 s[14:15], s[30:31], s[28:29]
	s_cselect_b32 s26, -1, 0
	s_lshl_b64 s[12:13], s[28:29], 3
	s_lshl_b64 s[28:29], s[6:7], 3
	v_or_b32_e32 v0, s12, v10
	s_lshl_b64 s[6:7], s[10:11], 3
	s_and_b32 s27, vcc_lo, s3
	s_lshl_b64 s[10:11], s[20:21], 3
	s_delay_alu instid0(VALU_DEP_1) | instskip(SKIP_2) | instid1(VALU_DEP_1)
	v_mul_lo_u32 v7, v0, s31
	v_mad_co_u64_u32 v[4:5], null, v0, s30, s[6:7]
	v_add_co_u32 v0, s3, s28, v10
	v_add_co_ci_u32_e64 v12, null, s29, 0, s3
	s_mul_i32 s3, s13, s30
	v_or_b32_e32 v13, 4, v0
	s_wait_alu 0xfffe
	v_add3_u32 v14, s3, v5, v7
	v_or_b32_e32 v15, 4, v4
	v_mov_b32_e32 v0, 1.0
	s_lshl_b32 s3, s23, 3
	s_or_b32 s28, 0, 4
	s_wait_alu 0xfffe
	s_add_co_i32 s20, s3, -8
	s_lshl_b64 s[12:13], s[14:15], 3
	s_branch .LBB175_3
.LBB175_2:                              ;   in Loop: Header=BB175_3 Depth=1
	s_wait_alu 0xfffe
	s_or_b32 exec_lo, exec_lo, s3
	s_add_co_i32 s2, s2, 0x10000
	s_wait_alu 0xfffe
	s_cmp_lt_u32 s2, s22
	s_cbranch_scc0 .LBB175_66
.LBB175_3:                              ; =>This Loop Header: Depth=1
                                        ;     Child Loop BB175_6 Depth 2
                                        ;     Child Loop BB175_20 Depth 2
	;; [unrolled: 1-line block ×3, first 2 shown]
                                        ;       Child Loop BB175_27 Depth 3
                                        ;         Child Loop BB175_28 Depth 4
                                        ;         Child Loop BB175_30 Depth 4
                                        ;           Child Loop BB175_31 Depth 5
                                        ;         Child Loop BB175_35 Depth 4
                                        ;           Child Loop BB175_37 Depth 5
                                        ;     Child Loop BB175_45 Depth 2
                                        ;       Child Loop BB175_48 Depth 3
                                        ;         Child Loop BB175_49 Depth 4
                                        ;         Child Loop BB175_52 Depth 4
                                        ;           Child Loop BB175_53 Depth 5
                                        ;         Child Loop BB175_57 Depth 4
                                        ;           Child Loop BB175_59 Depth 5
                                        ;     Child Loop BB175_65 Depth 2
	s_mov_b32 s3, s19
	s_wait_alu 0xfffe
	s_lshl_b64 s[14:15], s[2:3], 3
	s_delay_alu instid0(SALU_CYCLE_1)
	s_add_nc_u64 s[30:31], s[8:9], s[14:15]
	global_load_b64 v[4:5], v1, s[30:31]
	s_and_saveexec_b32 s3, s0
	s_cbranch_execz .LBB175_18
; %bb.4:                                ;   in Loop: Header=BB175_3 Depth=1
	s_add_nc_u64 s[14:15], s[4:5], s[14:15]
	v_mov_b32_e32 v17, v10
	global_load_b64 v[6:7], v1, s[14:15]
	s_mov_b32 s14, s23
	s_wait_loadcnt 0x0
	v_add_co_u32 v6, vcc_lo, v6, v13
	s_wait_alu 0xfffd
	v_add_co_ci_u32_e64 v7, null, v7, v12, vcc_lo
	s_branch .LBB175_6
.LBB175_5:                              ;   in Loop: Header=BB175_6 Depth=2
	flat_load_b32 v8, v[6:7] offset:-4
	v_add_co_u32 v6, vcc_lo, v6, s10
	s_wait_alu 0xfffd
	v_add_co_ci_u32_e64 v7, null, s11, v7, vcc_lo
	s_add_co_i32 s14, s14, -1
	s_delay_alu instid0(SALU_CYCLE_1)
	s_cmp_eq_u32 s14, 0
	s_wait_loadcnt_dscnt 0x0
	ds_store_b64 v17, v[8:9]
	v_add_nc_u32_e32 v17, 0x200, v17
	s_cbranch_scc1 .LBB175_10
.LBB175_6:                              ;   Parent Loop BB175_3 Depth=1
                                        ; =>  This Inner Loop Header: Depth=2
	s_and_b32 vcc_lo, exec_lo, s1
	s_mov_b32 s15, -1
                                        ; implicit-def: $vgpr9
	s_wait_alu 0xfffe
	s_cbranch_vccz .LBB175_8
; %bb.7:                                ;   in Loop: Header=BB175_6 Depth=2
	flat_load_b32 v9, v[6:7]
	s_mov_b32 s15, 0
.LBB175_8:                              ;   in Loop: Header=BB175_6 Depth=2
	s_delay_alu instid0(SALU_CYCLE_1)
	s_and_not1_b32 vcc_lo, exec_lo, s15
	s_wait_alu 0xfffe
	s_cbranch_vccnz .LBB175_5
; %bb.9:                                ;   in Loop: Header=BB175_6 Depth=2
	flat_load_b32 v8, v[6:7]
	s_wait_loadcnt_dscnt 0x0
	v_xor_b32_e32 v9, 0x80000000, v8
	s_branch .LBB175_5
.LBB175_10:                             ;   in Loop: Header=BB175_3 Depth=1
	s_and_b32 vcc_lo, exec_lo, s25
	s_mov_b32 s14, -1
	s_wait_alu 0xfffe
	s_cbranch_vccz .LBB175_16
; %bb.11:                               ;   in Loop: Header=BB175_3 Depth=1
	ds_load_b64 v[6:7], v16
                                        ; implicit-def: $vgpr8
	s_wait_dscnt 0x0
	v_cmp_ngt_f32_e64 s14, |v6|, |v7|
	s_and_saveexec_b32 s15, s14
	s_delay_alu instid0(SALU_CYCLE_1)
	s_xor_b32 s14, exec_lo, s15
	s_cbranch_execz .LBB175_13
; %bb.12:                               ;   in Loop: Header=BB175_3 Depth=1
	v_div_scale_f32 v8, null, v7, v7, v6
	v_div_scale_f32 v18, vcc_lo, v6, v7, v6
	s_delay_alu instid0(VALU_DEP_2) | instskip(NEXT) | instid1(TRANS32_DEP_1)
	v_rcp_f32_e32 v9, v8
	v_fma_f32 v17, -v8, v9, 1.0
	s_delay_alu instid0(VALU_DEP_1) | instskip(NEXT) | instid1(VALU_DEP_1)
	v_fmac_f32_e32 v9, v17, v9
	v_mul_f32_e32 v17, v18, v9
	s_delay_alu instid0(VALU_DEP_1) | instskip(NEXT) | instid1(VALU_DEP_1)
	v_fma_f32 v19, -v8, v17, v18
	v_fmac_f32_e32 v17, v19, v9
	s_delay_alu instid0(VALU_DEP_1) | instskip(SKIP_1) | instid1(VALU_DEP_1)
	v_fma_f32 v8, -v8, v17, v18
	s_wait_alu 0xfffd
	v_div_fmas_f32 v8, v8, v9, v17
	s_delay_alu instid0(VALU_DEP_1) | instskip(NEXT) | instid1(VALU_DEP_1)
	v_div_fixup_f32 v8, v8, v7, v6
	v_fmac_f32_e32 v7, v6, v8
	s_delay_alu instid0(VALU_DEP_1) | instskip(SKIP_1) | instid1(VALU_DEP_2)
	v_div_scale_f32 v6, null, v7, v7, 1.0
	v_div_scale_f32 v18, vcc_lo, 1.0, v7, 1.0
	v_rcp_f32_e32 v9, v6
	s_delay_alu instid0(TRANS32_DEP_1) | instskip(NEXT) | instid1(VALU_DEP_1)
	v_fma_f32 v17, -v6, v9, 1.0
	v_fmac_f32_e32 v9, v17, v9
	s_delay_alu instid0(VALU_DEP_1) | instskip(NEXT) | instid1(VALU_DEP_1)
	v_mul_f32_e32 v17, v18, v9
	v_fma_f32 v19, -v6, v17, v18
	s_delay_alu instid0(VALU_DEP_1) | instskip(NEXT) | instid1(VALU_DEP_1)
	v_fmac_f32_e32 v17, v19, v9
	v_fma_f32 v6, -v6, v17, v18
	s_wait_alu 0xfffd
	s_delay_alu instid0(VALU_DEP_1) | instskip(SKIP_1) | instid1(VALU_DEP_2)
	v_div_fmas_f32 v6, v6, v9, v17
	v_add_f32_e32 v9, 0, v8
	v_div_fixup_f32 v6, v6, v7, 1.0
	v_fma_f32 v7, v8, 0, -1.0
	s_delay_alu instid0(VALU_DEP_2) | instskip(NEXT) | instid1(VALU_DEP_2)
	v_mul_f32_e32 v8, v9, v6
	v_mul_f32_e32 v9, v7, v6
                                        ; implicit-def: $vgpr6_vgpr7
.LBB175_13:                             ;   in Loop: Header=BB175_3 Depth=1
	s_and_not1_saveexec_b32 s14, s14
	s_cbranch_execz .LBB175_15
; %bb.14:                               ;   in Loop: Header=BB175_3 Depth=1
	v_div_scale_f32 v8, null, v6, v6, v7
	v_div_scale_f32 v18, vcc_lo, v7, v6, v7
	s_delay_alu instid0(VALU_DEP_2) | instskip(NEXT) | instid1(TRANS32_DEP_1)
	v_rcp_f32_e32 v9, v8
	v_fma_f32 v17, -v8, v9, 1.0
	s_delay_alu instid0(VALU_DEP_1) | instskip(NEXT) | instid1(VALU_DEP_1)
	v_fmac_f32_e32 v9, v17, v9
	v_mul_f32_e32 v17, v18, v9
	s_delay_alu instid0(VALU_DEP_1) | instskip(NEXT) | instid1(VALU_DEP_1)
	v_fma_f32 v19, -v8, v17, v18
	v_fmac_f32_e32 v17, v19, v9
	s_delay_alu instid0(VALU_DEP_1) | instskip(SKIP_1) | instid1(VALU_DEP_1)
	v_fma_f32 v8, -v8, v17, v18
	s_wait_alu 0xfffd
	v_div_fmas_f32 v8, v8, v9, v17
	s_delay_alu instid0(VALU_DEP_1) | instskip(NEXT) | instid1(VALU_DEP_1)
	v_div_fixup_f32 v9, v8, v6, v7
	v_fmac_f32_e32 v6, v7, v9
	s_delay_alu instid0(VALU_DEP_1) | instskip(SKIP_1) | instid1(VALU_DEP_2)
	v_div_scale_f32 v7, null, v6, v6, 1.0
	v_div_scale_f32 v18, vcc_lo, 1.0, v6, 1.0
	v_rcp_f32_e32 v8, v7
	s_delay_alu instid0(TRANS32_DEP_1) | instskip(NEXT) | instid1(VALU_DEP_1)
	v_fma_f32 v17, -v7, v8, 1.0
	v_fmac_f32_e32 v8, v17, v8
	s_delay_alu instid0(VALU_DEP_1) | instskip(NEXT) | instid1(VALU_DEP_1)
	v_mul_f32_e32 v17, v18, v8
	v_fma_f32 v19, -v7, v17, v18
	s_delay_alu instid0(VALU_DEP_1) | instskip(NEXT) | instid1(VALU_DEP_1)
	v_fmac_f32_e32 v17, v19, v8
	v_fma_f32 v7, -v7, v17, v18
	s_wait_alu 0xfffd
	s_delay_alu instid0(VALU_DEP_1) | instskip(SKIP_1) | instid1(VALU_DEP_2)
	v_div_fmas_f32 v7, v7, v8, v17
	v_fma_f32 v8, v9, 0, 1.0
	v_div_fixup_f32 v6, v7, v6, 1.0
	s_delay_alu instid0(VALU_DEP_1)
	v_mul_f32_e32 v8, v8, v6
	v_mul_f32_e64 v9, -v9, v6
.LBB175_15:                             ;   in Loop: Header=BB175_3 Depth=1
	s_or_b32 exec_lo, exec_lo, s14
	s_mov_b32 s14, 0
	ds_store_b64 v16, v[8:9]
.LBB175_16:                             ;   in Loop: Header=BB175_3 Depth=1
	s_and_b32 vcc_lo, exec_lo, s14
	s_wait_alu 0xfffe
	s_cbranch_vccz .LBB175_18
; %bb.17:                               ;   in Loop: Header=BB175_3 Depth=1
	ds_store_b64 v16, v[0:1]
.LBB175_18:                             ;   in Loop: Header=BB175_3 Depth=1
	s_wait_alu 0xfffe
	s_or_b32 exec_lo, exec_lo, s3
	s_and_saveexec_b32 s3, s27
	s_cbranch_execz .LBB175_21
; %bb.19:                               ;   in Loop: Header=BB175_3 Depth=1
	s_wait_loadcnt 0x0
	v_add_co_u32 v6, vcc_lo, v4, v15
	s_wait_alu 0xfffd
	v_add_co_ci_u32_e64 v7, null, v5, v14, vcc_lo
	v_mov_b32_e32 v8, v11
	s_mov_b32 s14, s23
.LBB175_20:                             ;   Parent Loop BB175_3 Depth=1
                                        ; =>  This Inner Loop Header: Depth=2
	flat_load_b64 v[17:18], v[6:7] offset:-4
	v_add_co_u32 v6, vcc_lo, v6, 8
	s_wait_alu 0xfffd
	v_add_co_ci_u32_e64 v7, null, 0, v7, vcc_lo
	s_add_co_i32 s14, s14, -1
	s_delay_alu instid0(SALU_CYCLE_1) | instskip(SKIP_3) | instid1(VALU_DEP_2)
	s_cmp_lg_u32 s14, 0
	s_wait_loadcnt_dscnt 0x0
	v_mul_f32_e32 v9, s17, v18
	v_mul_f32_e32 v19, s16, v18
	v_fma_f32 v18, s16, v17, -v9
	s_delay_alu instid0(VALU_DEP_2)
	v_fmac_f32_e32 v19, s17, v17
	ds_store_b64 v8, v[18:19]
	v_add_nc_u32_e32 v8, 0x200, v8
	s_cbranch_scc1 .LBB175_20
.LBB175_21:                             ;   in Loop: Header=BB175_3 Depth=1
	s_wait_alu 0xfffe
	s_or_b32 exec_lo, exec_lo, s3
	s_delay_alu instid0(SALU_CYCLE_1)
	s_and_not1_b32 vcc_lo, exec_lo, s26
	s_mov_b32 s3, -1
	s_wait_loadcnt_dscnt 0x0
	s_barrier_signal -1
	s_barrier_wait -1
	global_inv scope:SCOPE_SE
	s_wait_alu 0xfffe
	s_cbranch_vccnz .LBB175_42
; %bb.22:                               ;   in Loop: Header=BB175_3 Depth=1
	s_mov_b32 s18, 0
	s_mov_b32 s3, s24
	s_branch .LBB175_24
.LBB175_23:                             ;   in Loop: Header=BB175_24 Depth=2
	s_cmp_gt_i32 s3, -1
	s_cselect_b32 s14, -1, 0
	s_add_co_i32 s15, s18, 1
	s_cmp_lt_u32 s18, 2
	s_cselect_b32 s18, -1, 0
	s_delay_alu instid0(SALU_CYCLE_1)
	s_and_b32 s14, s14, s18
	s_mov_b32 s18, s15
	s_and_b32 vcc_lo, exec_lo, s14
	s_wait_alu 0xfffe
	s_cbranch_vccz .LBB175_41
.LBB175_24:                             ;   Parent Loop BB175_3 Depth=1
                                        ; =>  This Loop Header: Depth=2
                                        ;       Child Loop BB175_27 Depth 3
                                        ;         Child Loop BB175_28 Depth 4
                                        ;         Child Loop BB175_30 Depth 4
                                        ;           Child Loop BB175_31 Depth 5
                                        ;         Child Loop BB175_35 Depth 4
                                        ;           Child Loop BB175_37 Depth 5
	s_getpc_b64 s[14:15]
	s_sext_i32_i16 s15, s15
	s_add_co_u32 s14, s14, __const._ZL38rocblas_trsm_small_left_device_sharedBILi64ELi32ELb1E19rocblas_complex_numIfES1_PKPKS1_PKPS1_Ev13rocblas_fill_18rocblas_operation_17rocblas_diagonal_iiT3_T4_lilT5_lili.step_sizes@rel32@lo+8
	s_add_co_ci_u32 s15, s15, __const._ZL38rocblas_trsm_small_left_device_sharedBILi64ELi32ELb1E19rocblas_complex_numIfES1_PKPKS1_PKPS1_Ev13rocblas_fill_18rocblas_operation_17rocblas_diagonal_iiT3_T4_lilT5_lili.step_sizes@rel32@hi+16
	s_lshl_b64 s[30:31], s[18:19], 2
	s_wait_alu 0xfffe
	s_add_nc_u64 s[14:15], s[14:15], s[30:31]
	s_load_b32 s14, s[14:15], 0x0
	s_wait_kmcnt 0x0
	s_add_co_i32 s15, s14, -1
	s_delay_alu instid0(SALU_CYCLE_1)
	s_cmp_lt_i32 s3, s15
	s_cbranch_scc1 .LBB175_23
; %bb.25:                               ;   in Loop: Header=BB175_24 Depth=2
	s_lshl_b32 s30, s3, 9
	s_lshl_b32 s29, s14, 9
	s_wait_alu 0xfffe
	v_add_nc_u32_e32 v8, s30, v11
	s_max_i32 s21, s14, 1
	s_sub_co_i32 s29, 0, s29
	s_add_co_i32 s30, s20, s30
	s_mul_i32 s31, s3, 0x208
	s_mul_i32 s33, s14, 0xfffffdf8
	s_branch .LBB175_27
.LBB175_26:                             ;   in Loop: Header=BB175_27 Depth=3
	v_add_nc_u32_e32 v8, s29, v8
	s_sub_co_i32 s3, s3, s14
	s_add_co_i32 s30, s30, s29
	s_add_co_i32 s31, s31, s33
	s_wait_alu 0xfffe
	s_cmp_lt_i32 s3, s15
	s_cbranch_scc1 .LBB175_23
.LBB175_27:                             ;   Parent Loop BB175_3 Depth=1
                                        ;     Parent Loop BB175_24 Depth=2
                                        ; =>    This Loop Header: Depth=3
                                        ;         Child Loop BB175_28 Depth 4
                                        ;         Child Loop BB175_30 Depth 4
                                        ;           Child Loop BB175_31 Depth 5
                                        ;         Child Loop BB175_35 Depth 4
                                        ;           Child Loop BB175_37 Depth 5
	v_mov_b32_e32 v6, v8
	s_mov_b32 s34, 0
	s_mov_b32 s35, s21
.LBB175_28:                             ;   Parent Loop BB175_3 Depth=1
                                        ;     Parent Loop BB175_24 Depth=2
                                        ;       Parent Loop BB175_27 Depth=3
                                        ; =>      This Inner Loop Header: Depth=4
	ds_load_b64 v[17:18], v6
	v_add_nc_u32_e32 v6, 0xfffffe00, v6
	s_wait_alu 0xfffe
	s_add_co_i32 s35, s35, -1
	s_wait_dscnt 0x0
	scratch_store_b64 off, v[17:18], s34
	s_add_co_i32 s34, s34, 8
	s_wait_alu 0xfffe
	s_cmp_eq_u32 s35, 0
	s_cbranch_scc0 .LBB175_28
; %bb.29:                               ;   in Loop: Header=BB175_27 Depth=3
	s_cmp_le_i32 s24, s3
	s_mov_b32 s34, s30
	s_mov_b32 s35, s24
	s_cbranch_scc1 .LBB175_33
.LBB175_30:                             ;   Parent Loop BB175_3 Depth=1
                                        ;     Parent Loop BB175_24 Depth=2
                                        ;       Parent Loop BB175_27 Depth=3
                                        ; =>      This Loop Header: Depth=4
                                        ;           Child Loop BB175_31 Depth 5
	s_wait_alu 0xfffe
	v_lshl_add_u32 v6, s35, 9, v11
	s_mov_b32 s36, s28
	s_mov_b32 s37, s34
	;; [unrolled: 1-line block ×3, first 2 shown]
	ds_load_b64 v[6:7], v6
.LBB175_31:                             ;   Parent Loop BB175_3 Depth=1
                                        ;     Parent Loop BB175_24 Depth=2
                                        ;       Parent Loop BB175_27 Depth=3
                                        ;         Parent Loop BB175_30 Depth=4
                                        ; =>        This Inner Loop Header: Depth=5
	scratch_load_b64 v[17:18], off, s36 offset:-4
	s_wait_alu 0xfffe
	v_mov_b32_e32 v9, s37
	s_add_co_i32 s38, s38, -1
	s_addk_co_i32 s37, 0xfe00
	ds_load_b64 v[19:20], v9
	s_wait_dscnt 0x0
	v_mul_f32_e32 v9, v20, v7
	v_mul_f32_e32 v20, v20, v6
	s_delay_alu instid0(VALU_DEP_1) | instskip(SKIP_1) | instid1(VALU_DEP_1)
	v_fmac_f32_e32 v20, v19, v7
	s_wait_loadcnt 0x0
	v_sub_f32_e32 v18, v18, v20
	v_fma_f32 v9, v19, v6, -v9
	s_delay_alu instid0(VALU_DEP_1)
	v_sub_f32_e32 v17, v17, v9
	scratch_store_b64 off, v[17:18], s36 offset:-4
	s_add_co_i32 s36, s36, 8
	s_wait_alu 0xfffe
	s_cmp_eq_u32 s38, 0
	s_cbranch_scc0 .LBB175_31
; %bb.32:                               ;   in Loop: Header=BB175_30 Depth=4
	s_add_co_i32 s35, s35, -1
	s_add_co_i32 s34, s34, -8
	s_wait_alu 0xfffe
	s_cmp_le_i32 s35, s3
	s_cbranch_scc0 .LBB175_30
.LBB175_33:                             ;   in Loop: Header=BB175_27 Depth=3
	s_lshl_b32 s34, s3, 9
	s_mov_b32 s35, 0
	s_mov_b32 s36, s31
	s_branch .LBB175_35
.LBB175_34:                             ;   in Loop: Header=BB175_35 Depth=4
	s_wait_alu 0xfffe
	s_mulk_i32 s38, 0x208
	s_addk_co_i32 s36, 0xfe00
	s_wait_alu 0xfffe
	v_mov_b32_e32 v9, s38
	s_lshl_b32 s38, s35, 3
	s_add_co_i32 s35, s35, 1
	s_wait_alu 0xfffe
	s_cmp_eq_u32 s35, s21
	ds_load_b64 v[17:18], v9
	s_wait_loadcnt_dscnt 0x0
	v_mul_f32_e32 v9, v18, v7
	v_mul_f32_e32 v20, v17, v7
	v_add_nc_u32_e32 v7, s37, v11
	s_delay_alu instid0(VALU_DEP_3) | instskip(NEXT) | instid1(VALU_DEP_3)
	v_fma_f32 v19, v17, v6, -v9
	v_fmac_f32_e32 v20, v18, v6
	scratch_store_b64 off, v[19:20], s38
	ds_store_b64 v7, v[19:20]
	s_cbranch_scc1 .LBB175_26
.LBB175_35:                             ;   Parent Loop BB175_3 Depth=1
                                        ;     Parent Loop BB175_24 Depth=2
                                        ;       Parent Loop BB175_27 Depth=3
                                        ; =>      This Loop Header: Depth=4
                                        ;           Child Loop BB175_37 Depth 5
	s_wait_alu 0xfffe
	s_cmp_lg_u32 s35, 0
	s_cbranch_scc0 .LBB175_39
; %bb.36:                               ;   in Loop: Header=BB175_35 Depth=4
	s_lshl_b32 s39, s35, 3
	s_sub_co_i32 s38, s3, s35
	scratch_load_b64 v[6:7], off, s39
	s_wait_alu 0xfffe
	s_lshl_b32 s37, s38, 9
	s_mov_b32 s40, 0
	s_mov_b32 s41, s36
	;; [unrolled: 1-line block ×3, first 2 shown]
.LBB175_37:                             ;   Parent Loop BB175_3 Depth=1
                                        ;     Parent Loop BB175_24 Depth=2
                                        ;       Parent Loop BB175_27 Depth=3
                                        ;         Parent Loop BB175_35 Depth=4
                                        ; =>        This Inner Loop Header: Depth=5
	scratch_load_b64 v[17:18], off, s40
	s_wait_alu 0xfffe
	v_mov_b32_e32 v9, s41
	s_add_co_i32 s42, s42, -1
	s_add_co_i32 s41, s41, -8
	s_add_co_i32 s40, s40, 8
	s_cmp_eq_u32 s42, 0
	ds_load_b64 v[19:20], v9
	s_wait_loadcnt_dscnt 0x0
	v_mul_f32_e32 v9, v20, v18
	v_mul_f32_e32 v18, v19, v18
	s_delay_alu instid0(VALU_DEP_2) | instskip(NEXT) | instid1(VALU_DEP_2)
	v_fma_f32 v9, v19, v17, -v9
	v_fmac_f32_e32 v18, v20, v17
	s_delay_alu instid0(VALU_DEP_1)
	v_dual_sub_f32 v6, v6, v9 :: v_dual_sub_f32 v7, v7, v18
	scratch_store_b64 off, v[6:7], s39
	s_cbranch_scc0 .LBB175_37
; %bb.38:                               ;   in Loop: Header=BB175_35 Depth=4
	s_branch .LBB175_34
.LBB175_39:                             ;   in Loop: Header=BB175_35 Depth=4
                                        ; implicit-def: $vgpr6
                                        ; implicit-def: $sgpr38
                                        ; implicit-def: $sgpr37
	s_cbranch_execz .LBB175_34
; %bb.40:                               ;   in Loop: Header=BB175_35 Depth=4
	scratch_load_b64 v[6:7], off, off
	s_mov_b32 s37, s34
	s_mov_b32 s38, s3
	s_branch .LBB175_34
.LBB175_41:                             ;   in Loop: Header=BB175_3 Depth=1
	s_mov_b32 s3, 0
.LBB175_42:                             ;   in Loop: Header=BB175_3 Depth=1
	s_wait_alu 0xfffe
	s_and_b32 vcc_lo, exec_lo, s3
	s_wait_alu 0xfffe
	s_cbranch_vccz .LBB175_63
; %bb.43:                               ;   in Loop: Header=BB175_3 Depth=1
	s_mov_b32 s18, 0
	s_delay_alu instid0(SALU_CYCLE_1)
	s_mov_b32 s3, s18
	s_branch .LBB175_45
.LBB175_44:                             ;   in Loop: Header=BB175_45 Depth=2
	s_cmp_lt_i32 s3, s23
	s_cselect_b32 s14, -1, 0
	s_add_co_i32 s15, s18, 1
	s_cmp_lt_u32 s18, 2
	s_cselect_b32 s18, -1, 0
	s_delay_alu instid0(SALU_CYCLE_1)
	s_and_b32 s14, s14, s18
	s_mov_b32 s18, s15
	s_and_not1_b32 vcc_lo, exec_lo, s14
	s_wait_alu 0xfffe
	s_cbranch_vccnz .LBB175_63
.LBB175_45:                             ;   Parent Loop BB175_3 Depth=1
                                        ; =>  This Loop Header: Depth=2
                                        ;       Child Loop BB175_48 Depth 3
                                        ;         Child Loop BB175_49 Depth 4
                                        ;         Child Loop BB175_52 Depth 4
                                        ;           Child Loop BB175_53 Depth 5
                                        ;         Child Loop BB175_57 Depth 4
                                        ;           Child Loop BB175_59 Depth 5
	s_getpc_b64 s[14:15]
	s_sext_i32_i16 s15, s15
	s_add_co_u32 s14, s14, __const._ZL38rocblas_trsm_small_left_device_sharedBILi64ELi32ELb1E19rocblas_complex_numIfES1_PKPKS1_PKPS1_Ev13rocblas_fill_18rocblas_operation_17rocblas_diagonal_iiT3_T4_lilT5_lili.step_sizes@rel32@lo+8
	s_add_co_ci_u32 s15, s15, __const._ZL38rocblas_trsm_small_left_device_sharedBILi64ELi32ELb1E19rocblas_complex_numIfES1_PKPKS1_PKPS1_Ev13rocblas_fill_18rocblas_operation_17rocblas_diagonal_iiT3_T4_lilT5_lili.step_sizes@rel32@hi+16
	s_lshl_b64 s[30:31], s[18:19], 2
	s_wait_alu 0xfffe
	s_add_nc_u64 s[14:15], s[14:15], s[30:31]
	s_load_b32 s14, s[14:15], 0x0
	s_wait_kmcnt 0x0
	s_add_co_i32 s15, s14, -1
	s_delay_alu instid0(SALU_CYCLE_1) | instskip(NEXT) | instid1(SALU_CYCLE_1)
	s_add_co_i32 s21, s15, s3
	s_cmp_ge_i32 s21, s23
	s_cbranch_scc1 .LBB175_44
; %bb.46:                               ;   in Loop: Header=BB175_45 Depth=2
	v_lshl_add_u32 v8, s3, 9, v11
	s_max_i32 s21, s14, 1
	s_lshl_b32 s29, s14, 9
	s_lshl_b32 s30, s3, 3
	;; [unrolled: 1-line block ×3, first 2 shown]
	s_mul_i32 s33, s3, 0x208
	s_mul_i32 s34, s14, 0x208
	s_branch .LBB175_48
.LBB175_47:                             ;   in Loop: Header=BB175_48 Depth=3
	s_add_co_i32 s3, s3, s14
	v_add_nc_u32_e32 v8, s29, v8
	s_wait_alu 0xfffe
	s_add_co_i32 s35, s15, s3
	s_add_co_i32 s30, s30, s31
	;; [unrolled: 1-line block ×3, first 2 shown]
	s_wait_alu 0xfffe
	s_cmp_ge_i32 s35, s23
	s_cbranch_scc1 .LBB175_44
.LBB175_48:                             ;   Parent Loop BB175_3 Depth=1
                                        ;     Parent Loop BB175_45 Depth=2
                                        ; =>    This Loop Header: Depth=3
                                        ;         Child Loop BB175_49 Depth 4
                                        ;         Child Loop BB175_52 Depth 4
                                        ;           Child Loop BB175_53 Depth 5
                                        ;         Child Loop BB175_57 Depth 4
                                        ;           Child Loop BB175_59 Depth 5
	v_mov_b32_e32 v6, v8
	s_mov_b32 s35, 0
	s_mov_b32 s36, s21
.LBB175_49:                             ;   Parent Loop BB175_3 Depth=1
                                        ;     Parent Loop BB175_45 Depth=2
                                        ;       Parent Loop BB175_48 Depth=3
                                        ; =>      This Inner Loop Header: Depth=4
	ds_load_b64 v[17:18], v6
	v_add_nc_u32_e32 v6, 0x200, v6
	s_wait_alu 0xfffe
	s_add_co_i32 s36, s36, -1
	s_wait_dscnt 0x0
	scratch_store_b64 off, v[17:18], s35
	s_add_co_i32 s35, s35, 8
	s_wait_alu 0xfffe
	s_cmp_eq_u32 s36, 0
	s_cbranch_scc0 .LBB175_49
; %bb.50:                               ;   in Loop: Header=BB175_48 Depth=3
	s_cmp_lt_i32 s3, 1
	s_cbranch_scc1 .LBB175_55
; %bb.51:                               ;   in Loop: Header=BB175_48 Depth=3
	s_mov_b32 s35, 0
	s_mov_b32 s36, s30
.LBB175_52:                             ;   Parent Loop BB175_3 Depth=1
                                        ;     Parent Loop BB175_45 Depth=2
                                        ;       Parent Loop BB175_48 Depth=3
                                        ; =>      This Loop Header: Depth=4
                                        ;           Child Loop BB175_53 Depth 5
	s_wait_alu 0xfffe
	v_lshl_add_u32 v6, s35, 9, v11
	s_mov_b32 s37, s28
	s_mov_b32 s38, s36
	s_mov_b32 s39, s21
	ds_load_b64 v[6:7], v6
.LBB175_53:                             ;   Parent Loop BB175_3 Depth=1
                                        ;     Parent Loop BB175_45 Depth=2
                                        ;       Parent Loop BB175_48 Depth=3
                                        ;         Parent Loop BB175_52 Depth=4
                                        ; =>        This Inner Loop Header: Depth=5
	scratch_load_b64 v[17:18], off, s37 offset:-4
	s_wait_alu 0xfffe
	v_mov_b32_e32 v9, s38
	s_add_co_i32 s39, s39, -1
	s_add_co_i32 s38, s38, 8
	ds_load_b64 v[19:20], v9
	s_wait_dscnt 0x0
	v_mul_f32_e32 v9, v20, v7
	v_mul_f32_e32 v20, v20, v6
	s_delay_alu instid0(VALU_DEP_1) | instskip(SKIP_1) | instid1(VALU_DEP_1)
	v_fmac_f32_e32 v20, v19, v7
	s_wait_loadcnt 0x0
	v_sub_f32_e32 v18, v18, v20
	v_fma_f32 v9, v19, v6, -v9
	s_delay_alu instid0(VALU_DEP_1)
	v_sub_f32_e32 v17, v17, v9
	scratch_store_b64 off, v[17:18], s37 offset:-4
	s_add_co_i32 s37, s37, 8
	s_wait_alu 0xfffe
	s_cmp_eq_u32 s39, 0
	s_cbranch_scc0 .LBB175_53
; %bb.54:                               ;   in Loop: Header=BB175_52 Depth=4
	s_add_co_i32 s35, s35, 1
	s_addk_co_i32 s36, 0x200
	s_wait_alu 0xfffe
	s_cmp_eq_u32 s35, s3
	s_cbranch_scc0 .LBB175_52
.LBB175_55:                             ;   in Loop: Header=BB175_48 Depth=3
	s_mov_b32 s35, 0
	s_mov_b32 s36, s33
	s_branch .LBB175_57
.LBB175_56:                             ;   in Loop: Header=BB175_57 Depth=4
	s_add_co_i32 s37, s35, s3
	s_add_co_i32 s36, s36, 8
	s_wait_alu 0xfffe
	s_mul_i32 s38, s37, 0x208
	s_wait_alu 0xfffe
	v_mov_b32_e32 v9, s38
	s_lshl_b32 s38, s35, 3
	s_add_co_i32 s35, s35, 1
	s_wait_alu 0xfffe
	s_cmp_eq_u32 s35, s21
	ds_load_b64 v[17:18], v9
	s_wait_loadcnt_dscnt 0x0
	v_mul_f32_e32 v9, v18, v7
	v_mul_f32_e32 v20, v17, v7
	s_delay_alu instid0(VALU_DEP_2) | instskip(NEXT) | instid1(VALU_DEP_2)
	v_fma_f32 v19, v17, v6, -v9
	v_fmac_f32_e32 v20, v18, v6
	v_lshl_add_u32 v6, s37, 9, v11
	scratch_store_b64 off, v[19:20], s38
	ds_store_b64 v6, v[19:20]
	s_cbranch_scc1 .LBB175_47
.LBB175_57:                             ;   Parent Loop BB175_3 Depth=1
                                        ;     Parent Loop BB175_45 Depth=2
                                        ;       Parent Loop BB175_48 Depth=3
                                        ; =>      This Loop Header: Depth=4
                                        ;           Child Loop BB175_59 Depth 5
	s_wait_alu 0xfffe
	s_cmp_lg_u32 s35, 0
	s_cbranch_scc0 .LBB175_61
; %bb.58:                               ;   in Loop: Header=BB175_57 Depth=4
	s_lshl_b32 s37, s35, 3
	s_mov_b32 s38, 0
	scratch_load_b64 v[6:7], off, s37
	s_mov_b32 s39, s36
	s_mov_b32 s40, s35
.LBB175_59:                             ;   Parent Loop BB175_3 Depth=1
                                        ;     Parent Loop BB175_45 Depth=2
                                        ;       Parent Loop BB175_48 Depth=3
                                        ;         Parent Loop BB175_57 Depth=4
                                        ; =>        This Inner Loop Header: Depth=5
	scratch_load_b64 v[17:18], off, s38
	s_wait_alu 0xfffe
	v_mov_b32_e32 v9, s39
	s_add_co_i32 s40, s40, -1
	s_addk_co_i32 s39, 0x200
	s_add_co_i32 s38, s38, 8
	s_wait_alu 0xfffe
	s_cmp_eq_u32 s40, 0
	ds_load_b64 v[19:20], v9
	s_wait_loadcnt_dscnt 0x0
	v_mul_f32_e32 v9, v20, v18
	v_mul_f32_e32 v18, v19, v18
	s_delay_alu instid0(VALU_DEP_2) | instskip(NEXT) | instid1(VALU_DEP_2)
	v_fma_f32 v9, v19, v17, -v9
	v_fmac_f32_e32 v18, v20, v17
	s_delay_alu instid0(VALU_DEP_1)
	v_dual_sub_f32 v6, v6, v9 :: v_dual_sub_f32 v7, v7, v18
	scratch_store_b64 off, v[6:7], s37
	s_cbranch_scc0 .LBB175_59
; %bb.60:                               ;   in Loop: Header=BB175_57 Depth=4
	s_branch .LBB175_56
.LBB175_61:                             ;   in Loop: Header=BB175_57 Depth=4
                                        ; implicit-def: $vgpr6
	s_cbranch_execz .LBB175_56
; %bb.62:                               ;   in Loop: Header=BB175_57 Depth=4
	scratch_load_b64 v[6:7], off, off
	s_branch .LBB175_56
.LBB175_63:                             ;   in Loop: Header=BB175_3 Depth=1
	s_wait_storecnt 0x0
	s_wait_loadcnt_dscnt 0x0
	s_barrier_signal -1
	s_barrier_wait -1
	global_inv scope:SCOPE_SE
	s_and_saveexec_b32 s3, s27
	s_cbranch_execz .LBB175_2
; %bb.64:                               ;   in Loop: Header=BB175_3 Depth=1
	v_add_co_u32 v4, vcc_lo, v4, s6
	s_wait_alu 0xfffd
	v_add_co_ci_u32_e64 v5, null, s7, v5, vcc_lo
	v_mov_b32_e32 v6, v11
	s_delay_alu instid0(VALU_DEP_3) | instskip(SKIP_1) | instid1(VALU_DEP_3)
	v_add_co_u32 v4, vcc_lo, v4, s12
	s_wait_alu 0xfffd
	v_add_co_ci_u32_e64 v5, null, s13, v5, vcc_lo
	s_mov_b32 s14, s23
	v_add_co_u32 v4, vcc_lo, v4, v2
	s_wait_alu 0xfffd
	v_add_co_ci_u32_e64 v5, null, v5, v3, vcc_lo
.LBB175_65:                             ;   Parent Loop BB175_3 Depth=1
                                        ; =>  This Inner Loop Header: Depth=2
	ds_load_b64 v[7:8], v6
	v_add_nc_u32_e32 v6, 0x200, v6
	s_add_co_i32 s14, s14, -1
	s_delay_alu instid0(SALU_CYCLE_1)
	s_cmp_lg_u32 s14, 0
	s_wait_dscnt 0x0
	flat_store_b64 v[4:5], v[7:8]
	v_add_co_u32 v4, vcc_lo, v4, 8
	s_wait_alu 0xfffd
	v_add_co_ci_u32_e64 v5, null, 0, v5, vcc_lo
	s_cbranch_scc1 .LBB175_65
	s_branch .LBB175_2
.LBB175_66:
	s_endpgm
	.section	.rodata,"a",@progbits
	.p2align	6, 0x0
	.amdhsa_kernel _ZL38rocblas_trsm_small_left_device_sharedBILi64ELi32ELb1E19rocblas_complex_numIfES1_PKPKS1_PKPS1_Ev13rocblas_fill_18rocblas_operation_17rocblas_diagonal_iiT3_T4_lilT5_lili
		.amdhsa_group_segment_fixed_size 65536
		.amdhsa_private_segment_fixed_size 272
		.amdhsa_kernarg_size 360
		.amdhsa_user_sgpr_count 2
		.amdhsa_user_sgpr_dispatch_ptr 0
		.amdhsa_user_sgpr_queue_ptr 0
		.amdhsa_user_sgpr_kernarg_segment_ptr 1
		.amdhsa_user_sgpr_dispatch_id 0
		.amdhsa_user_sgpr_private_segment_size 0
		.amdhsa_wavefront_size32 1
		.amdhsa_uses_dynamic_stack 0
		.amdhsa_enable_private_segment 1
		.amdhsa_system_sgpr_workgroup_id_x 1
		.amdhsa_system_sgpr_workgroup_id_y 0
		.amdhsa_system_sgpr_workgroup_id_z 1
		.amdhsa_system_sgpr_workgroup_info 0
		.amdhsa_system_vgpr_workitem_id 0
		.amdhsa_next_free_vgpr 241
		.amdhsa_next_free_sgpr 43
		.amdhsa_reserve_vcc 1
		.amdhsa_float_round_mode_32 0
		.amdhsa_float_round_mode_16_64 0
		.amdhsa_float_denorm_mode_32 3
		.amdhsa_float_denorm_mode_16_64 3
		.amdhsa_fp16_overflow 0
		.amdhsa_workgroup_processor_mode 1
		.amdhsa_memory_ordered 1
		.amdhsa_forward_progress 1
		.amdhsa_inst_pref_size 24
		.amdhsa_round_robin_scheduling 0
		.amdhsa_exception_fp_ieee_invalid_op 0
		.amdhsa_exception_fp_denorm_src 0
		.amdhsa_exception_fp_ieee_div_zero 0
		.amdhsa_exception_fp_ieee_overflow 0
		.amdhsa_exception_fp_ieee_underflow 0
		.amdhsa_exception_fp_ieee_inexact 0
		.amdhsa_exception_int_div_zero 0
	.end_amdhsa_kernel
	.section	.text._ZL38rocblas_trsm_small_left_device_sharedBILi64ELi32ELb1E19rocblas_complex_numIfES1_PKPKS1_PKPS1_Ev13rocblas_fill_18rocblas_operation_17rocblas_diagonal_iiT3_T4_lilT5_lili,"axG",@progbits,_ZL38rocblas_trsm_small_left_device_sharedBILi64ELi32ELb1E19rocblas_complex_numIfES1_PKPKS1_PKPS1_Ev13rocblas_fill_18rocblas_operation_17rocblas_diagonal_iiT3_T4_lilT5_lili,comdat
.Lfunc_end175:
	.size	_ZL38rocblas_trsm_small_left_device_sharedBILi64ELi32ELb1E19rocblas_complex_numIfES1_PKPKS1_PKPS1_Ev13rocblas_fill_18rocblas_operation_17rocblas_diagonal_iiT3_T4_lilT5_lili, .Lfunc_end175-_ZL38rocblas_trsm_small_left_device_sharedBILi64ELi32ELb1E19rocblas_complex_numIfES1_PKPKS1_PKPS1_Ev13rocblas_fill_18rocblas_operation_17rocblas_diagonal_iiT3_T4_lilT5_lili
                                        ; -- End function
	.set _ZL38rocblas_trsm_small_left_device_sharedBILi64ELi32ELb1E19rocblas_complex_numIfES1_PKPKS1_PKPS1_Ev13rocblas_fill_18rocblas_operation_17rocblas_diagonal_iiT3_T4_lilT5_lili.num_vgpr, 21
	.set _ZL38rocblas_trsm_small_left_device_sharedBILi64ELi32ELb1E19rocblas_complex_numIfES1_PKPKS1_PKPS1_Ev13rocblas_fill_18rocblas_operation_17rocblas_diagonal_iiT3_T4_lilT5_lili.num_agpr, 0
	.set _ZL38rocblas_trsm_small_left_device_sharedBILi64ELi32ELb1E19rocblas_complex_numIfES1_PKPKS1_PKPS1_Ev13rocblas_fill_18rocblas_operation_17rocblas_diagonal_iiT3_T4_lilT5_lili.numbered_sgpr, 43
	.set _ZL38rocblas_trsm_small_left_device_sharedBILi64ELi32ELb1E19rocblas_complex_numIfES1_PKPKS1_PKPS1_Ev13rocblas_fill_18rocblas_operation_17rocblas_diagonal_iiT3_T4_lilT5_lili.num_named_barrier, 0
	.set _ZL38rocblas_trsm_small_left_device_sharedBILi64ELi32ELb1E19rocblas_complex_numIfES1_PKPKS1_PKPS1_Ev13rocblas_fill_18rocblas_operation_17rocblas_diagonal_iiT3_T4_lilT5_lili.private_seg_size, 272
	.set _ZL38rocblas_trsm_small_left_device_sharedBILi64ELi32ELb1E19rocblas_complex_numIfES1_PKPKS1_PKPS1_Ev13rocblas_fill_18rocblas_operation_17rocblas_diagonal_iiT3_T4_lilT5_lili.uses_vcc, 1
	.set _ZL38rocblas_trsm_small_left_device_sharedBILi64ELi32ELb1E19rocblas_complex_numIfES1_PKPKS1_PKPS1_Ev13rocblas_fill_18rocblas_operation_17rocblas_diagonal_iiT3_T4_lilT5_lili.uses_flat_scratch, 0
	.set _ZL38rocblas_trsm_small_left_device_sharedBILi64ELi32ELb1E19rocblas_complex_numIfES1_PKPKS1_PKPS1_Ev13rocblas_fill_18rocblas_operation_17rocblas_diagonal_iiT3_T4_lilT5_lili.has_dyn_sized_stack, 0
	.set _ZL38rocblas_trsm_small_left_device_sharedBILi64ELi32ELb1E19rocblas_complex_numIfES1_PKPKS1_PKPS1_Ev13rocblas_fill_18rocblas_operation_17rocblas_diagonal_iiT3_T4_lilT5_lili.has_recursion, 0
	.set _ZL38rocblas_trsm_small_left_device_sharedBILi64ELi32ELb1E19rocblas_complex_numIfES1_PKPKS1_PKPS1_Ev13rocblas_fill_18rocblas_operation_17rocblas_diagonal_iiT3_T4_lilT5_lili.has_indirect_call, 0
	.section	.AMDGPU.csdata,"",@progbits
; Kernel info:
; codeLenInByte = 3024
; TotalNumSgprs: 45
; NumVgprs: 21
; ScratchSize: 272
; MemoryBound: 0
; FloatMode: 240
; IeeeMode: 1
; LDSByteSize: 65536 bytes/workgroup (compile time only)
; SGPRBlocks: 0
; VGPRBlocks: 30
; NumSGPRsForWavesPerEU: 45
; NumVGPRsForWavesPerEU: 241
; Occupancy: 1
; WaveLimiterHint : 0
; COMPUTE_PGM_RSRC2:SCRATCH_EN: 1
; COMPUTE_PGM_RSRC2:USER_SGPR: 2
; COMPUTE_PGM_RSRC2:TRAP_HANDLER: 0
; COMPUTE_PGM_RSRC2:TGID_X_EN: 1
; COMPUTE_PGM_RSRC2:TGID_Y_EN: 0
; COMPUTE_PGM_RSRC2:TGID_Z_EN: 1
; COMPUTE_PGM_RSRC2:TIDIG_COMP_CNT: 0
	.section	.text._ZL30rocblas_trsm_small_left_deviceILi64ELi32ELb1E19rocblas_complex_numIfES1_PKPKS1_PKPS1_Ev13rocblas_fill_18rocblas_operation_17rocblas_diagonal_iiT3_T4_lilT5_lili,"axG",@progbits,_ZL30rocblas_trsm_small_left_deviceILi64ELi32ELb1E19rocblas_complex_numIfES1_PKPKS1_PKPS1_Ev13rocblas_fill_18rocblas_operation_17rocblas_diagonal_iiT3_T4_lilT5_lili,comdat
	.globl	_ZL30rocblas_trsm_small_left_deviceILi64ELi32ELb1E19rocblas_complex_numIfES1_PKPKS1_PKPS1_Ev13rocblas_fill_18rocblas_operation_17rocblas_diagonal_iiT3_T4_lilT5_lili ; -- Begin function _ZL30rocblas_trsm_small_left_deviceILi64ELi32ELb1E19rocblas_complex_numIfES1_PKPKS1_PKPS1_Ev13rocblas_fill_18rocblas_operation_17rocblas_diagonal_iiT3_T4_lilT5_lili
	.p2align	8
	.type	_ZL30rocblas_trsm_small_left_deviceILi64ELi32ELb1E19rocblas_complex_numIfES1_PKPKS1_PKPS1_Ev13rocblas_fill_18rocblas_operation_17rocblas_diagonal_iiT3_T4_lilT5_lili,@function
_ZL30rocblas_trsm_small_left_deviceILi64ELi32ELb1E19rocblas_complex_numIfES1_PKPKS1_PKPS1_Ev13rocblas_fill_18rocblas_operation_17rocblas_diagonal_iiT3_T4_lilT5_lili: ; @_ZL30rocblas_trsm_small_left_deviceILi64ELi32ELb1E19rocblas_complex_numIfES1_PKPKS1_PKPS1_Ev13rocblas_fill_18rocblas_operation_17rocblas_diagonal_iiT3_T4_lilT5_lili
; %bb.0:
	s_load_b32 s24, s[0:1], 0x60
	s_lshr_b32 s2, ttmp7, 16
	s_wait_kmcnt 0x0
	s_cmp_ge_u32 s2, s24
	s_cbranch_scc1 .LBB176_63
; %bb.1:
	s_clause 0x5
	s_load_b32 s18, s[0:1], 0x30
	s_load_b128 s[12:15], s[0:1], 0x4
	s_load_b32 s3, s[0:1], 0x68
	s_load_b128 s[4:7], s[0:1], 0x20
	s_load_b128 s[8:11], s[0:1], 0x40
	s_load_b32 s20, s[0:1], 0x50
	v_dual_mov_b32 v1, 0 :: v_dual_lshlrev_b32 v10, 3, v0
	v_lshlrev_b32_e32 v2, 9, v0
	s_load_b64 s[16:17], s[0:1], 0x14
	s_mov_b32 s33, 0
                                        ; implicit-def: $sgpr34
                                        ; implicit-def: $sgpr35
	s_delay_alu instid0(VALU_DEP_1)
	v_add_nc_u32_e32 v11, v10, v2
	s_wait_kmcnt 0x0
	s_ashr_i32 s19, s18, 31
	s_cmp_lg_u32 s12, 0x71
	s_cselect_b32 s25, -1, 0
	s_lshl_b32 s0, ttmp9, 6
	s_min_i32 s26, s14, 64
	v_or_b32_e32 v2, s0, v0
	s_add_co_i32 s3, s3, -1
	s_add_co_i32 s27, s26, -1
	s_sub_co_i32 s1, s15, s0
	s_cmp_ge_u32 ttmp9, s3
	v_mad_co_i64_i32 v[2:3], null, s20, v2, 0
	s_wait_alu 0xfffe
	s_cselect_b32 s1, s1, 64
	s_cmp_lg_u32 s13, 0x84
	v_cmp_gt_i32_e64 s0, s26, v0
	s_cselect_b32 s28, -1, 0
	s_cmp_lg_u32 s12, 0x6f
	s_wait_alu 0xfffe
	v_cmp_gt_i32_e64 s1, s1, v0
	v_lshlrev_b64_e32 v[2:3], 3, v[2:3]
	s_cselect_b32 s29, -1, 0
	s_lshl_b64 s[12:13], s[6:7], 3
	s_lshl_b64 s[10:11], s[10:11], 3
	v_add_co_u32 v0, s3, s12, v10
	s_delay_alu instid0(VALU_DEP_2) | instskip(SKIP_1) | instid1(VALU_DEP_3)
	v_add_co_u32 v4, vcc_lo, v2, s10
	v_add_co_ci_u32_e64 v12, null, s13, 0, s3
	v_or_b32_e32 v13, 4, v0
	v_add_co_ci_u32_e64 v14, null, s11, v3, vcc_lo
	s_delay_alu instid0(VALU_DEP_4)
	v_or_b32_e32 v15, 4, v4
	v_mov_b32_e32 v0, 1.0
	s_lshl_b32 s31, s26, 3
	s_or_b32 s30, 0, 4
	s_lshl_b64 s[6:7], s[18:19], 3
	s_add_co_i32 s31, s31, -8
	s_mov_b32 s13, 0
	s_branch .LBB176_4
.LBB176_2:                              ;   in Loop: Header=BB176_4 Depth=1
	s_add_co_i32 s2, s2, 0x10000
	s_wait_alu 0xfffe
	s_cmp_ge_u32 s2, s24
	s_cselect_b32 s12, -1, 0
	s_and_not1_b32 s35, s35, exec_lo
	s_wait_alu 0xfffe
	s_or_not1_b32 s12, s12, exec_lo
.LBB176_3:                              ;   in Loop: Header=BB176_4 Depth=1
	s_wait_alu 0xfffe
	s_or_b32 exec_lo, exec_lo, s3
	s_delay_alu instid0(SALU_CYCLE_1)
	s_and_b32 s3, exec_lo, s12
	s_wait_alu 0xfffe
	s_or_b32 s33, s3, s33
	s_and_not1_b32 s3, s34, exec_lo
	s_and_b32 s12, s35, exec_lo
	s_wait_alu 0xfffe
	s_or_b32 s34, s3, s12
	s_and_not1_b32 exec_lo, exec_lo, s33
	s_cbranch_execz .LBB176_62
.LBB176_4:                              ; =>This Loop Header: Depth=1
                                        ;     Child Loop BB176_7 Depth 2
                                        ;     Child Loop BB176_23 Depth 2
                                        ;       Child Loop BB176_26 Depth 3
                                        ;         Child Loop BB176_27 Depth 4
                                        ;         Child Loop BB176_29 Depth 4
                                        ;           Child Loop BB176_30 Depth 5
                                        ;         Child Loop BB176_34 Depth 4
                                        ;           Child Loop BB176_36 Depth 5
                                        ;     Child Loop BB176_44 Depth 2
                                        ;       Child Loop BB176_47 Depth 3
                                        ;         Child Loop BB176_48 Depth 4
                                        ;         Child Loop BB176_51 Depth 4
                                        ;           Child Loop BB176_52 Depth 5
                                        ;         Child Loop BB176_56 Depth 4
                                        ;           Child Loop BB176_58 Depth 5
	s_wait_alu 0xfffe
	s_mov_b32 s3, s13
	s_wait_alu 0xfffe
	s_lshl_b64 s[14:15], s[2:3], 3
	s_delay_alu instid0(SALU_CYCLE_1)
	s_add_nc_u64 s[18:19], s[8:9], s[14:15]
	global_load_b64 v[4:5], v1, s[18:19]
	s_and_saveexec_b32 s3, s0
	s_cbranch_execz .LBB176_19
; %bb.5:                                ;   in Loop: Header=BB176_4 Depth=1
	s_add_nc_u64 s[14:15], s[4:5], s[14:15]
	v_mov_b32_e32 v16, v10
	global_load_b64 v[6:7], v1, s[14:15]
	s_mov_b32 s12, s26
	s_wait_loadcnt 0x0
	v_add_co_u32 v6, vcc_lo, v6, v13
	s_wait_alu 0xfffd
	v_add_co_ci_u32_e64 v7, null, v7, v12, vcc_lo
	s_branch .LBB176_7
.LBB176_6:                              ;   in Loop: Header=BB176_7 Depth=2
	flat_load_b32 v8, v[6:7] offset:-4
	v_add_co_u32 v6, vcc_lo, v6, s6
	s_wait_alu 0xfffd
	v_add_co_ci_u32_e64 v7, null, s7, v7, vcc_lo
	s_add_co_i32 s12, s12, -1
	s_wait_alu 0xfffe
	s_cmp_eq_u32 s12, 0
	s_wait_loadcnt_dscnt 0x0
	ds_store_b64 v16, v[8:9]
	v_add_nc_u32_e32 v16, 0x200, v16
	s_cbranch_scc1 .LBB176_11
.LBB176_7:                              ;   Parent Loop BB176_4 Depth=1
                                        ; =>  This Inner Loop Header: Depth=2
	s_and_b32 vcc_lo, exec_lo, s25
	s_mov_b32 s14, -1
                                        ; implicit-def: $vgpr9
	s_wait_alu 0xfffe
	s_cbranch_vccz .LBB176_9
; %bb.8:                                ;   in Loop: Header=BB176_7 Depth=2
	flat_load_b32 v9, v[6:7]
	s_mov_b32 s14, 0
.LBB176_9:                              ;   in Loop: Header=BB176_7 Depth=2
	s_delay_alu instid0(SALU_CYCLE_1)
	s_and_not1_b32 vcc_lo, exec_lo, s14
	s_wait_alu 0xfffe
	s_cbranch_vccnz .LBB176_6
; %bb.10:                               ;   in Loop: Header=BB176_7 Depth=2
	flat_load_b32 v8, v[6:7]
	s_wait_loadcnt_dscnt 0x0
	v_xor_b32_e32 v9, 0x80000000, v8
	s_branch .LBB176_6
.LBB176_11:                             ;   in Loop: Header=BB176_4 Depth=1
	s_and_b32 vcc_lo, exec_lo, s28
	s_mov_b32 s12, -1
	s_wait_alu 0xfffe
	s_cbranch_vccz .LBB176_17
; %bb.12:                               ;   in Loop: Header=BB176_4 Depth=1
	ds_load_b64 v[6:7], v11
                                        ; implicit-def: $vgpr8
	s_wait_dscnt 0x0
	v_cmp_ngt_f32_e64 s12, |v6|, |v7|
	s_and_saveexec_b32 s14, s12
	s_delay_alu instid0(SALU_CYCLE_1)
	s_xor_b32 s12, exec_lo, s14
	s_cbranch_execz .LBB176_14
; %bb.13:                               ;   in Loop: Header=BB176_4 Depth=1
	v_div_scale_f32 v8, null, v7, v7, v6
	v_div_scale_f32 v17, vcc_lo, v6, v7, v6
	s_delay_alu instid0(VALU_DEP_2) | instskip(NEXT) | instid1(TRANS32_DEP_1)
	v_rcp_f32_e32 v9, v8
	v_fma_f32 v16, -v8, v9, 1.0
	s_delay_alu instid0(VALU_DEP_1) | instskip(NEXT) | instid1(VALU_DEP_1)
	v_fmac_f32_e32 v9, v16, v9
	v_mul_f32_e32 v16, v17, v9
	s_delay_alu instid0(VALU_DEP_1) | instskip(NEXT) | instid1(VALU_DEP_1)
	v_fma_f32 v18, -v8, v16, v17
	v_fmac_f32_e32 v16, v18, v9
	s_delay_alu instid0(VALU_DEP_1) | instskip(SKIP_1) | instid1(VALU_DEP_1)
	v_fma_f32 v8, -v8, v16, v17
	s_wait_alu 0xfffd
	v_div_fmas_f32 v8, v8, v9, v16
	s_delay_alu instid0(VALU_DEP_1) | instskip(NEXT) | instid1(VALU_DEP_1)
	v_div_fixup_f32 v8, v8, v7, v6
	v_fmac_f32_e32 v7, v6, v8
	s_delay_alu instid0(VALU_DEP_1) | instskip(SKIP_1) | instid1(VALU_DEP_2)
	v_div_scale_f32 v6, null, v7, v7, 1.0
	v_div_scale_f32 v17, vcc_lo, 1.0, v7, 1.0
	v_rcp_f32_e32 v9, v6
	s_delay_alu instid0(TRANS32_DEP_1) | instskip(NEXT) | instid1(VALU_DEP_1)
	v_fma_f32 v16, -v6, v9, 1.0
	v_fmac_f32_e32 v9, v16, v9
	s_delay_alu instid0(VALU_DEP_1) | instskip(NEXT) | instid1(VALU_DEP_1)
	v_mul_f32_e32 v16, v17, v9
	v_fma_f32 v18, -v6, v16, v17
	s_delay_alu instid0(VALU_DEP_1) | instskip(NEXT) | instid1(VALU_DEP_1)
	v_fmac_f32_e32 v16, v18, v9
	v_fma_f32 v6, -v6, v16, v17
	s_wait_alu 0xfffd
	s_delay_alu instid0(VALU_DEP_1) | instskip(SKIP_1) | instid1(VALU_DEP_2)
	v_div_fmas_f32 v6, v6, v9, v16
	v_add_f32_e32 v9, 0, v8
	v_div_fixup_f32 v6, v6, v7, 1.0
	v_fma_f32 v7, v8, 0, -1.0
	s_delay_alu instid0(VALU_DEP_2) | instskip(NEXT) | instid1(VALU_DEP_2)
	v_mul_f32_e32 v8, v9, v6
	v_mul_f32_e32 v9, v7, v6
                                        ; implicit-def: $vgpr6_vgpr7
.LBB176_14:                             ;   in Loop: Header=BB176_4 Depth=1
	s_wait_alu 0xfffe
	s_and_not1_saveexec_b32 s12, s12
	s_cbranch_execz .LBB176_16
; %bb.15:                               ;   in Loop: Header=BB176_4 Depth=1
	v_div_scale_f32 v8, null, v6, v6, v7
	v_div_scale_f32 v17, vcc_lo, v7, v6, v7
	s_delay_alu instid0(VALU_DEP_2) | instskip(NEXT) | instid1(TRANS32_DEP_1)
	v_rcp_f32_e32 v9, v8
	v_fma_f32 v16, -v8, v9, 1.0
	s_delay_alu instid0(VALU_DEP_1) | instskip(NEXT) | instid1(VALU_DEP_1)
	v_fmac_f32_e32 v9, v16, v9
	v_mul_f32_e32 v16, v17, v9
	s_delay_alu instid0(VALU_DEP_1) | instskip(NEXT) | instid1(VALU_DEP_1)
	v_fma_f32 v18, -v8, v16, v17
	v_fmac_f32_e32 v16, v18, v9
	s_delay_alu instid0(VALU_DEP_1) | instskip(SKIP_1) | instid1(VALU_DEP_1)
	v_fma_f32 v8, -v8, v16, v17
	s_wait_alu 0xfffd
	v_div_fmas_f32 v8, v8, v9, v16
	s_delay_alu instid0(VALU_DEP_1) | instskip(NEXT) | instid1(VALU_DEP_1)
	v_div_fixup_f32 v9, v8, v6, v7
	v_fmac_f32_e32 v6, v7, v9
	s_delay_alu instid0(VALU_DEP_1) | instskip(SKIP_1) | instid1(VALU_DEP_2)
	v_div_scale_f32 v7, null, v6, v6, 1.0
	v_div_scale_f32 v17, vcc_lo, 1.0, v6, 1.0
	v_rcp_f32_e32 v8, v7
	s_delay_alu instid0(TRANS32_DEP_1) | instskip(NEXT) | instid1(VALU_DEP_1)
	v_fma_f32 v16, -v7, v8, 1.0
	v_fmac_f32_e32 v8, v16, v8
	s_delay_alu instid0(VALU_DEP_1) | instskip(NEXT) | instid1(VALU_DEP_1)
	v_mul_f32_e32 v16, v17, v8
	v_fma_f32 v18, -v7, v16, v17
	s_delay_alu instid0(VALU_DEP_1) | instskip(NEXT) | instid1(VALU_DEP_1)
	v_fmac_f32_e32 v16, v18, v8
	v_fma_f32 v7, -v7, v16, v17
	s_wait_alu 0xfffd
	s_delay_alu instid0(VALU_DEP_1) | instskip(SKIP_1) | instid1(VALU_DEP_2)
	v_div_fmas_f32 v7, v7, v8, v16
	v_fma_f32 v8, v9, 0, 1.0
	v_div_fixup_f32 v6, v7, v6, 1.0
	s_delay_alu instid0(VALU_DEP_1)
	v_mul_f32_e32 v8, v8, v6
	v_mul_f32_e64 v9, -v9, v6
.LBB176_16:                             ;   in Loop: Header=BB176_4 Depth=1
	s_wait_alu 0xfffe
	s_or_b32 exec_lo, exec_lo, s12
	s_mov_b32 s12, 0
	ds_store_b64 v11, v[8:9]
.LBB176_17:                             ;   in Loop: Header=BB176_4 Depth=1
	s_wait_alu 0xfffe
	s_and_b32 vcc_lo, exec_lo, s12
	s_wait_alu 0xfffe
	s_cbranch_vccz .LBB176_19
; %bb.18:                               ;   in Loop: Header=BB176_4 Depth=1
	ds_store_b64 v11, v[0:1]
.LBB176_19:                             ;   in Loop: Header=BB176_4 Depth=1
	s_wait_alu 0xfffe
	s_or_b32 exec_lo, exec_lo, s3
	s_mov_b32 s12, -1
	s_or_b32 s35, s35, exec_lo
	s_wait_loadcnt_dscnt 0x0
	s_barrier_signal -1
	s_barrier_wait -1
	global_inv scope:SCOPE_SE
	s_and_saveexec_b32 s3, s1
	s_cbranch_execz .LBB176_3
; %bb.20:                               ;   in Loop: Header=BB176_4 Depth=1
	v_add_co_u32 v6, vcc_lo, v4, s10
	s_wait_alu 0xfffd
	v_add_co_ci_u32_e64 v7, null, s11, v5, vcc_lo
	s_delay_alu instid0(VALU_DEP_2) | instskip(SKIP_1) | instid1(VALU_DEP_2)
	v_add_co_u32 v8, vcc_lo, v6, v2
	s_wait_alu 0xfffd
	v_add_co_ci_u32_e64 v9, null, v7, v3, vcc_lo
	s_and_not1_b32 vcc_lo, exec_lo, s29
	s_wait_alu 0xfffe
	s_cbranch_vccnz .LBB176_41
; %bb.21:                               ;   in Loop: Header=BB176_4 Depth=1
	v_add_co_u32 v16, vcc_lo, v4, v15
	s_wait_alu 0xfffd
	v_add_co_ci_u32_e64 v17, null, v5, v14, vcc_lo
	s_mov_b32 s12, 0
	s_mov_b32 s14, s27
	s_branch .LBB176_23
.LBB176_22:                             ;   in Loop: Header=BB176_23 Depth=2
	s_cmp_gt_i32 s14, -1
	s_cselect_b32 s15, -1, 0
	s_add_co_i32 s18, s12, 1
	s_cmp_lt_u32 s12, 2
	s_cselect_b32 s12, -1, 0
	s_wait_alu 0xfffe
	s_and_b32 s12, s15, s12
	s_wait_alu 0xfffe
	s_and_b32 vcc_lo, exec_lo, s12
	s_mov_b32 s12, s18
	s_wait_alu 0xfffe
	s_cbranch_vccz .LBB176_40
.LBB176_23:                             ;   Parent Loop BB176_4 Depth=1
                                        ; =>  This Loop Header: Depth=2
                                        ;       Child Loop BB176_26 Depth 3
                                        ;         Child Loop BB176_27 Depth 4
                                        ;         Child Loop BB176_29 Depth 4
                                        ;           Child Loop BB176_30 Depth 5
                                        ;         Child Loop BB176_34 Depth 4
                                        ;           Child Loop BB176_36 Depth 5
	s_getpc_b64 s[18:19]
	s_wait_alu 0xfffe
	s_sext_i32_i16 s19, s19
	s_add_co_u32 s18, s18, __const._ZL30rocblas_trsm_small_left_deviceILi64ELi32ELb1E19rocblas_complex_numIfES1_PKPKS1_PKPS1_Ev13rocblas_fill_18rocblas_operation_17rocblas_diagonal_iiT3_T4_lilT5_lili.step_sizes@rel32@lo+12
	s_wait_alu 0xfffe
	s_add_co_ci_u32 s19, s19, __const._ZL30rocblas_trsm_small_left_deviceILi64ELi32ELb1E19rocblas_complex_numIfES1_PKPKS1_PKPS1_Ev13rocblas_fill_18rocblas_operation_17rocblas_diagonal_iiT3_T4_lilT5_lili.step_sizes@rel32@hi+24
	s_lshl_b64 s[20:21], s[12:13], 2
	s_wait_alu 0xfffe
	s_add_nc_u64 s[18:19], s[18:19], s[20:21]
	s_load_b32 s22, s[18:19], 0x0
	s_wait_kmcnt 0x0
	s_add_co_i32 s23, s22, -1
	s_wait_alu 0xfffe
	s_cmp_lt_i32 s14, s23
	s_cbranch_scc1 .LBB176_22
; %bb.24:                               ;   in Loop: Header=BB176_23 Depth=2
	s_lshl_b32 s15, s14, 9
	s_lshl_b32 s18, s22, 9
	s_max_i32 s36, s22, 1
	s_add_co_i32 s37, s31, s15
	s_wait_alu 0xfffe
	s_sub_co_i32 s38, 0, s18
	s_mul_i32 s39, s14, 0x208
	s_mul_i32 s40, s22, 0xfffffdf8
	s_branch .LBB176_26
.LBB176_25:                             ;   in Loop: Header=BB176_26 Depth=3
	s_sub_co_i32 s14, s14, s22
	s_add_co_i32 s37, s37, s38
	s_add_co_i32 s39, s39, s40
	s_cmp_lt_i32 s14, s23
	s_cbranch_scc1 .LBB176_22
.LBB176_26:                             ;   Parent Loop BB176_4 Depth=1
                                        ;     Parent Loop BB176_23 Depth=2
                                        ; =>    This Loop Header: Depth=3
                                        ;         Child Loop BB176_27 Depth 4
                                        ;         Child Loop BB176_29 Depth 4
                                        ;           Child Loop BB176_30 Depth 5
                                        ;         Child Loop BB176_34 Depth 4
                                        ;           Child Loop BB176_36 Depth 5
	s_ashr_i32 s15, s14, 31
	s_delay_alu instid0(SALU_CYCLE_1)
	s_lshl_b64 s[18:19], s[14:15], 3
	s_wait_alu 0xfffe
	v_add_co_u32 v6, vcc_lo, v16, s18
	s_wait_alu 0xfffd
	v_add_co_ci_u32_e64 v7, null, s19, v17, vcc_lo
	s_mov_b32 s18, 4
	s_mov_b32 s19, s36
.LBB176_27:                             ;   Parent Loop BB176_4 Depth=1
                                        ;     Parent Loop BB176_23 Depth=2
                                        ;       Parent Loop BB176_26 Depth=3
                                        ; =>      This Inner Loop Header: Depth=4
	flat_load_b64 v[18:19], v[6:7] offset:-4
	v_add_co_u32 v6, vcc_lo, v6, -8
	s_wait_alu 0xfffd
	v_add_co_ci_u32_e64 v7, null, -1, v7, vcc_lo
	s_wait_alu 0xfffe
	s_add_co_i32 s19, s19, -1
	s_mov_b32 s20, s18
	s_add_co_i32 s18, s18, 8
	s_wait_alu 0xfffe
	s_cmp_eq_u32 s19, 0
	s_wait_loadcnt_dscnt 0x0
	v_mul_f32_e32 v20, s16, v19
	s_delay_alu instid0(VALU_DEP_1) | instskip(NEXT) | instid1(VALU_DEP_1)
	v_dual_mul_f32 v21, s17, v19 :: v_dual_fmac_f32 v20, s17, v18
	v_fma_f32 v19, v18, s16, -v21
	scratch_store_b64 off, v[19:20], s20 offset:-4
	s_cbranch_scc0 .LBB176_27
; %bb.28:                               ;   in Loop: Header=BB176_26 Depth=3
	s_cmp_le_i32 s27, s14
	s_mov_b32 s20, s37
	s_mov_b32 s18, s27
	s_cbranch_scc1 .LBB176_32
.LBB176_29:                             ;   Parent Loop BB176_4 Depth=1
                                        ;     Parent Loop BB176_23 Depth=2
                                        ;       Parent Loop BB176_26 Depth=3
                                        ; =>      This Loop Header: Depth=4
                                        ;           Child Loop BB176_30 Depth 5
	s_wait_alu 0xfffe
	s_ashr_i32 s19, s18, 31
	s_mov_b32 s21, s20
	s_wait_alu 0xfffe
	s_lshl_b64 s[42:43], s[18:19], 3
	s_mov_b32 s19, s30
	s_wait_alu 0xfffe
	v_add_co_u32 v6, vcc_lo, v8, s42
	s_wait_alu 0xfffd
	v_add_co_ci_u32_e64 v7, null, s43, v9, vcc_lo
	s_mov_b32 s41, s36
	flat_load_b64 v[6:7], v[6:7]
.LBB176_30:                             ;   Parent Loop BB176_4 Depth=1
                                        ;     Parent Loop BB176_23 Depth=2
                                        ;       Parent Loop BB176_26 Depth=3
                                        ;         Parent Loop BB176_29 Depth=4
                                        ; =>        This Inner Loop Header: Depth=5
	scratch_load_b64 v[18:19], off, s19 offset:-4
	v_mov_b32_e32 v20, s21
	s_wait_alu 0xfffe
	s_add_co_i32 s41, s41, -1
	s_addk_co_i32 s21, 0xfe00
	ds_load_b64 v[20:21], v20
	s_wait_loadcnt_dscnt 0x100
	v_mul_f32_e32 v22, v21, v7
	v_mul_f32_e32 v21, v21, v6
	s_delay_alu instid0(VALU_DEP_1) | instskip(SKIP_1) | instid1(VALU_DEP_1)
	v_fmac_f32_e32 v21, v20, v7
	s_wait_loadcnt 0x0
	v_sub_f32_e32 v19, v19, v21
	v_fma_f32 v22, v20, v6, -v22
	s_delay_alu instid0(VALU_DEP_1)
	v_sub_f32_e32 v18, v18, v22
	scratch_store_b64 off, v[18:19], s19 offset:-4
	s_add_co_i32 s19, s19, 8
	s_wait_alu 0xfffe
	s_cmp_eq_u32 s41, 0
	s_cbranch_scc0 .LBB176_30
; %bb.31:                               ;   in Loop: Header=BB176_29 Depth=4
	s_add_co_i32 s18, s18, -1
	s_add_co_i32 s20, s20, -8
	s_wait_alu 0xfffe
	s_cmp_le_i32 s18, s14
	s_cbranch_scc0 .LBB176_29
.LBB176_32:                             ;   in Loop: Header=BB176_26 Depth=3
	s_mov_b32 s41, 0
	s_mov_b32 s42, s39
	s_branch .LBB176_34
.LBB176_33:                             ;   in Loop: Header=BB176_34 Depth=4
	s_wait_alu 0xfffe
	s_mulk_i32 s20, 0x208
	s_lshl_b64 s[18:19], s[18:19], 3
	s_wait_alu 0xfffe
	v_mov_b32_e32 v18, s20
	s_lshl_b32 s20, s41, 3
	s_add_co_i32 s41, s41, 1
	s_addk_co_i32 s42, 0xfe00
	s_wait_alu 0xfffe
	s_cmp_eq_u32 s41, s36
	ds_load_b64 v[18:19], v18
	s_wait_loadcnt_dscnt 0x0
	v_mul_f32_e32 v20, v19, v7
	v_mul_f32_e32 v21, v18, v7
	s_delay_alu instid0(VALU_DEP_2) | instskip(NEXT) | instid1(VALU_DEP_2)
	v_fma_f32 v20, v18, v6, -v20
	v_fmac_f32_e32 v21, v19, v6
	v_add_co_u32 v6, vcc_lo, v8, s18
	s_wait_alu 0xfffd
	v_add_co_ci_u32_e64 v7, null, s19, v9, vcc_lo
	scratch_store_b64 off, v[20:21], s20
	flat_store_b64 v[6:7], v[20:21]
	s_cbranch_scc1 .LBB176_25
.LBB176_34:                             ;   Parent Loop BB176_4 Depth=1
                                        ;     Parent Loop BB176_23 Depth=2
                                        ;       Parent Loop BB176_26 Depth=3
                                        ; =>      This Loop Header: Depth=4
                                        ;           Child Loop BB176_36 Depth 5
	s_wait_alu 0xfffe
	s_cmp_lg_u32 s41, 0
	s_cbranch_scc0 .LBB176_38
; %bb.35:                               ;   in Loop: Header=BB176_34 Depth=4
	s_lshl_b32 s18, s41, 3
	s_mov_b32 s19, 0
	scratch_load_b64 v[6:7], off, s18
	s_mov_b32 s20, s42
	s_mov_b32 s21, s41
.LBB176_36:                             ;   Parent Loop BB176_4 Depth=1
                                        ;     Parent Loop BB176_23 Depth=2
                                        ;       Parent Loop BB176_26 Depth=3
                                        ;         Parent Loop BB176_34 Depth=4
                                        ; =>        This Inner Loop Header: Depth=5
	scratch_load_b64 v[18:19], off, s19
	s_wait_alu 0xfffe
	v_mov_b32_e32 v20, s20
	s_add_co_i32 s21, s21, -1
	s_add_co_i32 s20, s20, -8
	s_add_co_i32 s19, s19, 8
	s_wait_alu 0xfffe
	s_cmp_eq_u32 s21, 0
	ds_load_b64 v[20:21], v20
	s_wait_loadcnt_dscnt 0x0
	v_mul_f32_e32 v22, v21, v19
	v_mul_f32_e32 v19, v20, v19
	s_delay_alu instid0(VALU_DEP_2) | instskip(NEXT) | instid1(VALU_DEP_1)
	v_fma_f32 v20, v20, v18, -v22
	v_dual_sub_f32 v6, v6, v20 :: v_dual_fmac_f32 v19, v21, v18
	s_delay_alu instid0(VALU_DEP_1)
	v_sub_f32_e32 v7, v7, v19
	scratch_store_b64 off, v[6:7], s18
	s_cbranch_scc0 .LBB176_36
; %bb.37:                               ;   in Loop: Header=BB176_34 Depth=4
	s_sub_co_i32 s20, s14, s41
	s_wait_alu 0xfffe
	s_ashr_i32 s21, s20, 31
	s_wait_alu 0xfffe
	s_mov_b64 s[18:19], s[20:21]
	s_branch .LBB176_33
.LBB176_38:                             ;   in Loop: Header=BB176_34 Depth=4
                                        ; implicit-def: $vgpr6
                                        ; implicit-def: $sgpr20
                                        ; implicit-def: $sgpr18_sgpr19
	s_cbranch_execz .LBB176_33
; %bb.39:                               ;   in Loop: Header=BB176_34 Depth=4
	scratch_load_b64 v[6:7], off, off
	s_mov_b64 s[18:19], s[14:15]
	s_mov_b32 s20, s14
	s_branch .LBB176_33
.LBB176_40:                             ;   in Loop: Header=BB176_4 Depth=1
	s_mov_b32 s12, 0
.LBB176_41:                             ;   in Loop: Header=BB176_4 Depth=1
	s_wait_alu 0xfffe
	s_and_b32 vcc_lo, exec_lo, s12
	s_wait_alu 0xfffe
	s_cbranch_vccz .LBB176_2
; %bb.42:                               ;   in Loop: Header=BB176_4 Depth=1
	v_add_co_u32 v16, vcc_lo, v4, v15
	s_wait_alu 0xfffd
	v_add_co_ci_u32_e64 v17, null, v5, v14, vcc_lo
	s_mov_b32 s14, 0
	s_mov_b32 s18, 0
	s_branch .LBB176_44
.LBB176_43:                             ;   in Loop: Header=BB176_44 Depth=2
	s_cmp_lt_i32 s14, s26
	s_cselect_b32 s12, -1, 0
	s_add_co_i32 s15, s18, 1
	s_cmp_lt_u32 s18, 2
	s_cselect_b32 s18, -1, 0
	s_wait_alu 0xfffe
	s_and_b32 s12, s12, s18
	s_mov_b32 s18, s15
	s_wait_alu 0xfffe
	s_and_not1_b32 vcc_lo, exec_lo, s12
	s_wait_alu 0xfffe
	s_cbranch_vccnz .LBB176_2
.LBB176_44:                             ;   Parent Loop BB176_4 Depth=1
                                        ; =>  This Loop Header: Depth=2
                                        ;       Child Loop BB176_47 Depth 3
                                        ;         Child Loop BB176_48 Depth 4
                                        ;         Child Loop BB176_51 Depth 4
                                        ;           Child Loop BB176_52 Depth 5
                                        ;         Child Loop BB176_56 Depth 4
                                        ;           Child Loop BB176_58 Depth 5
	s_mov_b32 s19, s13
	s_getpc_b64 s[20:21]
	s_wait_alu 0xfffe
	s_sext_i32_i16 s21, s21
	s_add_co_u32 s20, s20, __const._ZL30rocblas_trsm_small_left_deviceILi64ELi32ELb1E19rocblas_complex_numIfES1_PKPKS1_PKPS1_Ev13rocblas_fill_18rocblas_operation_17rocblas_diagonal_iiT3_T4_lilT5_lili.step_sizes@rel32@lo+12
	s_wait_alu 0xfffe
	s_add_co_ci_u32 s21, s21, __const._ZL30rocblas_trsm_small_left_deviceILi64ELi32ELb1E19rocblas_complex_numIfES1_PKPKS1_PKPS1_Ev13rocblas_fill_18rocblas_operation_17rocblas_diagonal_iiT3_T4_lilT5_lili.step_sizes@rel32@hi+24
	s_lshl_b64 s[22:23], s[18:19], 2
	s_wait_alu 0xfffe
	s_add_nc_u64 s[20:21], s[20:21], s[22:23]
	s_load_b32 s20, s[20:21], 0x0
	s_wait_kmcnt 0x0
	s_add_co_i32 s19, s20, -1
	s_wait_alu 0xfffe
	s_add_co_i32 s12, s19, s14
	s_wait_alu 0xfffe
	s_cmp_ge_i32 s12, s26
	s_cbranch_scc1 .LBB176_43
; %bb.45:                               ;   in Loop: Header=BB176_44 Depth=2
	s_ashr_i32 s15, s14, 31
	s_ashr_i32 s21, s20, 31
	s_lshl_b64 s[22:23], s[14:15], 3
	s_max_i32 s36, s20, 1
	s_wait_alu 0xfffe
	v_add_co_u32 v4, vcc_lo, v16, s22
	s_wait_alu 0xfffd
	v_add_co_ci_u32_e64 v5, null, s23, v17, vcc_lo
	s_lshl_b64 s[22:23], s[20:21], 3
	s_lshl_b32 s15, s14, 3
	s_lshl_b32 s21, s20, 3
	s_mul_i32 s37, s14, 0x208
	s_mul_i32 s38, s20, 0x208
	s_branch .LBB176_47
.LBB176_46:                             ;   in Loop: Header=BB176_47 Depth=3
	v_add_co_u32 v4, vcc_lo, v4, s22
	s_add_co_i32 s14, s14, s20
	s_wait_alu 0xfffd
	v_add_co_ci_u32_e64 v5, null, s23, v5, vcc_lo
	s_add_co_i32 s12, s19, s14
	s_add_co_i32 s15, s15, s21
	;; [unrolled: 1-line block ×3, first 2 shown]
	s_wait_alu 0xfffe
	s_cmp_ge_i32 s12, s26
	s_cbranch_scc1 .LBB176_43
.LBB176_47:                             ;   Parent Loop BB176_4 Depth=1
                                        ;     Parent Loop BB176_44 Depth=2
                                        ; =>    This Loop Header: Depth=3
                                        ;         Child Loop BB176_48 Depth 4
                                        ;         Child Loop BB176_51 Depth 4
                                        ;           Child Loop BB176_52 Depth 5
                                        ;         Child Loop BB176_56 Depth 4
                                        ;           Child Loop BB176_58 Depth 5
	v_dual_mov_b32 v7, v5 :: v_dual_mov_b32 v6, v4
	s_mov_b32 s12, 4
	s_mov_b32 s39, s36
.LBB176_48:                             ;   Parent Loop BB176_4 Depth=1
                                        ;     Parent Loop BB176_44 Depth=2
                                        ;       Parent Loop BB176_47 Depth=3
                                        ; =>      This Inner Loop Header: Depth=4
	flat_load_b64 v[18:19], v[6:7] offset:-4
	v_add_co_u32 v6, vcc_lo, v6, 8
	s_wait_alu 0xfffd
	v_add_co_ci_u32_e64 v7, null, 0, v7, vcc_lo
	s_add_co_i32 s39, s39, -1
	s_wait_alu 0xfffe
	s_mov_b32 s40, s12
	s_add_co_i32 s12, s12, 8
	s_cmp_eq_u32 s39, 0
	s_wait_loadcnt_dscnt 0x0
	v_mul_f32_e32 v20, s16, v19
	s_delay_alu instid0(VALU_DEP_1) | instskip(NEXT) | instid1(VALU_DEP_1)
	v_dual_mul_f32 v21, s17, v19 :: v_dual_fmac_f32 v20, s17, v18
	v_fma_f32 v19, v18, s16, -v21
	scratch_store_b64 off, v[19:20], s40 offset:-4
	s_cbranch_scc0 .LBB176_48
; %bb.49:                               ;   in Loop: Header=BB176_47 Depth=3
	s_cmp_lt_i32 s14, 1
	s_cbranch_scc1 .LBB176_54
; %bb.50:                               ;   in Loop: Header=BB176_47 Depth=3
	s_mov_b32 s12, 0
	s_mov_b32 s39, s15
.LBB176_51:                             ;   Parent Loop BB176_4 Depth=1
                                        ;     Parent Loop BB176_44 Depth=2
                                        ;       Parent Loop BB176_47 Depth=3
                                        ; =>      This Loop Header: Depth=4
                                        ;           Child Loop BB176_52 Depth 5
	s_wait_alu 0xfffe
	s_lshl_b64 s[40:41], s[12:13], 3
	s_mov_b32 s42, s36
	s_wait_alu 0xfffe
	v_add_co_u32 v6, vcc_lo, v8, s40
	s_wait_alu 0xfffd
	v_add_co_ci_u32_e64 v7, null, s41, v9, vcc_lo
	s_mov_b32 s40, s30
	s_mov_b32 s41, s39
	flat_load_b64 v[6:7], v[6:7]
.LBB176_52:                             ;   Parent Loop BB176_4 Depth=1
                                        ;     Parent Loop BB176_44 Depth=2
                                        ;       Parent Loop BB176_47 Depth=3
                                        ;         Parent Loop BB176_51 Depth=4
                                        ; =>        This Inner Loop Header: Depth=5
	scratch_load_b64 v[18:19], off, s40 offset:-4
	s_wait_alu 0xfffe
	v_mov_b32_e32 v20, s41
	s_add_co_i32 s42, s42, -1
	s_add_co_i32 s41, s41, 8
	ds_load_b64 v[20:21], v20
	s_wait_loadcnt_dscnt 0x100
	v_mul_f32_e32 v22, v21, v7
	v_mul_f32_e32 v21, v21, v6
	s_delay_alu instid0(VALU_DEP_1) | instskip(SKIP_1) | instid1(VALU_DEP_1)
	v_fmac_f32_e32 v21, v20, v7
	s_wait_loadcnt 0x0
	v_sub_f32_e32 v19, v19, v21
	v_fma_f32 v22, v20, v6, -v22
	s_delay_alu instid0(VALU_DEP_1)
	v_sub_f32_e32 v18, v18, v22
	scratch_store_b64 off, v[18:19], s40 offset:-4
	s_add_co_i32 s40, s40, 8
	s_wait_alu 0xfffe
	s_cmp_eq_u32 s42, 0
	s_cbranch_scc0 .LBB176_52
; %bb.53:                               ;   in Loop: Header=BB176_51 Depth=4
	s_add_co_i32 s12, s12, 1
	s_addk_co_i32 s39, 0x200
	s_wait_alu 0xfffe
	s_cmp_eq_u32 s12, s14
	s_cbranch_scc0 .LBB176_51
.LBB176_54:                             ;   in Loop: Header=BB176_47 Depth=3
	s_mov_b32 s12, 0
	s_mov_b32 s39, s37
	s_branch .LBB176_56
.LBB176_55:                             ;   in Loop: Header=BB176_56 Depth=4
	s_add_co_i32 s40, s12, s14
	s_lshl_b32 s42, s12, 3
	s_wait_alu 0xfffe
	s_mul_i32 s41, s40, 0x208
	s_add_co_i32 s12, s12, 1
	s_wait_alu 0xfffe
	v_mov_b32_e32 v18, s41
	s_ashr_i32 s41, s40, 31
	s_add_co_i32 s39, s39, 8
	s_wait_alu 0xfffe
	s_lshl_b64 s[40:41], s[40:41], 3
	s_cmp_eq_u32 s12, s36
	ds_load_b64 v[18:19], v18
	s_wait_loadcnt_dscnt 0x0
	v_mul_f32_e32 v20, v19, v7
	v_mul_f32_e32 v21, v18, v7
	s_delay_alu instid0(VALU_DEP_2) | instskip(NEXT) | instid1(VALU_DEP_2)
	v_fma_f32 v20, v18, v6, -v20
	v_fmac_f32_e32 v21, v19, v6
	s_wait_alu 0xfffe
	v_add_co_u32 v6, vcc_lo, v8, s40
	s_wait_alu 0xfffd
	v_add_co_ci_u32_e64 v7, null, s41, v9, vcc_lo
	scratch_store_b64 off, v[20:21], s42
	flat_store_b64 v[6:7], v[20:21]
	s_cbranch_scc1 .LBB176_46
.LBB176_56:                             ;   Parent Loop BB176_4 Depth=1
                                        ;     Parent Loop BB176_44 Depth=2
                                        ;       Parent Loop BB176_47 Depth=3
                                        ; =>      This Loop Header: Depth=4
                                        ;           Child Loop BB176_58 Depth 5
	s_wait_alu 0xfffe
	s_cmp_lg_u32 s12, 0
	s_cbranch_scc0 .LBB176_60
; %bb.57:                               ;   in Loop: Header=BB176_56 Depth=4
	s_lshl_b32 s40, s12, 3
	s_mov_b32 s41, 0
	scratch_load_b64 v[6:7], off, s40
	s_mov_b32 s42, s39
	s_mov_b32 s43, s12
.LBB176_58:                             ;   Parent Loop BB176_4 Depth=1
                                        ;     Parent Loop BB176_44 Depth=2
                                        ;       Parent Loop BB176_47 Depth=3
                                        ;         Parent Loop BB176_56 Depth=4
                                        ; =>        This Inner Loop Header: Depth=5
	scratch_load_b64 v[18:19], off, s41
	s_wait_alu 0xfffe
	v_mov_b32_e32 v20, s42
	s_add_co_i32 s43, s43, -1
	s_addk_co_i32 s42, 0x200
	s_add_co_i32 s41, s41, 8
	s_wait_alu 0xfffe
	s_cmp_eq_u32 s43, 0
	ds_load_b64 v[20:21], v20
	s_wait_loadcnt_dscnt 0x0
	v_mul_f32_e32 v22, v21, v19
	v_mul_f32_e32 v19, v20, v19
	s_delay_alu instid0(VALU_DEP_2) | instskip(NEXT) | instid1(VALU_DEP_1)
	v_fma_f32 v20, v20, v18, -v22
	v_dual_sub_f32 v6, v6, v20 :: v_dual_fmac_f32 v19, v21, v18
	s_delay_alu instid0(VALU_DEP_1)
	v_sub_f32_e32 v7, v7, v19
	scratch_store_b64 off, v[6:7], s40
	s_cbranch_scc0 .LBB176_58
; %bb.59:                               ;   in Loop: Header=BB176_56 Depth=4
	s_branch .LBB176_55
.LBB176_60:                             ;   in Loop: Header=BB176_56 Depth=4
                                        ; implicit-def: $vgpr6
	s_cbranch_execz .LBB176_55
; %bb.61:                               ;   in Loop: Header=BB176_56 Depth=4
	scratch_load_b64 v[6:7], off, off
	s_branch .LBB176_55
.LBB176_62:
	s_or_b32 exec_lo, exec_lo, s33
	s_and_saveexec_b32 s0, s34
	s_wait_alu 0xfffe
	s_xor_b32 s0, exec_lo, s0
.LBB176_63:
	s_endpgm
	.section	.rodata,"a",@progbits
	.p2align	6, 0x0
	.amdhsa_kernel _ZL30rocblas_trsm_small_left_deviceILi64ELi32ELb1E19rocblas_complex_numIfES1_PKPKS1_PKPS1_Ev13rocblas_fill_18rocblas_operation_17rocblas_diagonal_iiT3_T4_lilT5_lili
		.amdhsa_group_segment_fixed_size 32768
		.amdhsa_private_segment_fixed_size 272
		.amdhsa_kernarg_size 360
		.amdhsa_user_sgpr_count 2
		.amdhsa_user_sgpr_dispatch_ptr 0
		.amdhsa_user_sgpr_queue_ptr 0
		.amdhsa_user_sgpr_kernarg_segment_ptr 1
		.amdhsa_user_sgpr_dispatch_id 0
		.amdhsa_user_sgpr_private_segment_size 0
		.amdhsa_wavefront_size32 1
		.amdhsa_uses_dynamic_stack 0
		.amdhsa_enable_private_segment 1
		.amdhsa_system_sgpr_workgroup_id_x 1
		.amdhsa_system_sgpr_workgroup_id_y 0
		.amdhsa_system_sgpr_workgroup_id_z 1
		.amdhsa_system_sgpr_workgroup_info 0
		.amdhsa_system_vgpr_workitem_id 0
		.amdhsa_next_free_vgpr 241
		.amdhsa_next_free_sgpr 44
		.amdhsa_reserve_vcc 1
		.amdhsa_float_round_mode_32 0
		.amdhsa_float_round_mode_16_64 0
		.amdhsa_float_denorm_mode_32 3
		.amdhsa_float_denorm_mode_16_64 3
		.amdhsa_fp16_overflow 0
		.amdhsa_workgroup_processor_mode 1
		.amdhsa_memory_ordered 1
		.amdhsa_forward_progress 1
		.amdhsa_inst_pref_size 25
		.amdhsa_round_robin_scheduling 0
		.amdhsa_exception_fp_ieee_invalid_op 0
		.amdhsa_exception_fp_denorm_src 0
		.amdhsa_exception_fp_ieee_div_zero 0
		.amdhsa_exception_fp_ieee_overflow 0
		.amdhsa_exception_fp_ieee_underflow 0
		.amdhsa_exception_fp_ieee_inexact 0
		.amdhsa_exception_int_div_zero 0
	.end_amdhsa_kernel
	.section	.text._ZL30rocblas_trsm_small_left_deviceILi64ELi32ELb1E19rocblas_complex_numIfES1_PKPKS1_PKPS1_Ev13rocblas_fill_18rocblas_operation_17rocblas_diagonal_iiT3_T4_lilT5_lili,"axG",@progbits,_ZL30rocblas_trsm_small_left_deviceILi64ELi32ELb1E19rocblas_complex_numIfES1_PKPKS1_PKPS1_Ev13rocblas_fill_18rocblas_operation_17rocblas_diagonal_iiT3_T4_lilT5_lili,comdat
.Lfunc_end176:
	.size	_ZL30rocblas_trsm_small_left_deviceILi64ELi32ELb1E19rocblas_complex_numIfES1_PKPKS1_PKPS1_Ev13rocblas_fill_18rocblas_operation_17rocblas_diagonal_iiT3_T4_lilT5_lili, .Lfunc_end176-_ZL30rocblas_trsm_small_left_deviceILi64ELi32ELb1E19rocblas_complex_numIfES1_PKPKS1_PKPS1_Ev13rocblas_fill_18rocblas_operation_17rocblas_diagonal_iiT3_T4_lilT5_lili
                                        ; -- End function
	.set _ZL30rocblas_trsm_small_left_deviceILi64ELi32ELb1E19rocblas_complex_numIfES1_PKPKS1_PKPS1_Ev13rocblas_fill_18rocblas_operation_17rocblas_diagonal_iiT3_T4_lilT5_lili.num_vgpr, 23
	.set _ZL30rocblas_trsm_small_left_deviceILi64ELi32ELb1E19rocblas_complex_numIfES1_PKPKS1_PKPS1_Ev13rocblas_fill_18rocblas_operation_17rocblas_diagonal_iiT3_T4_lilT5_lili.num_agpr, 0
	.set _ZL30rocblas_trsm_small_left_deviceILi64ELi32ELb1E19rocblas_complex_numIfES1_PKPKS1_PKPS1_Ev13rocblas_fill_18rocblas_operation_17rocblas_diagonal_iiT3_T4_lilT5_lili.numbered_sgpr, 44
	.set _ZL30rocblas_trsm_small_left_deviceILi64ELi32ELb1E19rocblas_complex_numIfES1_PKPKS1_PKPS1_Ev13rocblas_fill_18rocblas_operation_17rocblas_diagonal_iiT3_T4_lilT5_lili.num_named_barrier, 0
	.set _ZL30rocblas_trsm_small_left_deviceILi64ELi32ELb1E19rocblas_complex_numIfES1_PKPKS1_PKPS1_Ev13rocblas_fill_18rocblas_operation_17rocblas_diagonal_iiT3_T4_lilT5_lili.private_seg_size, 272
	.set _ZL30rocblas_trsm_small_left_deviceILi64ELi32ELb1E19rocblas_complex_numIfES1_PKPKS1_PKPS1_Ev13rocblas_fill_18rocblas_operation_17rocblas_diagonal_iiT3_T4_lilT5_lili.uses_vcc, 1
	.set _ZL30rocblas_trsm_small_left_deviceILi64ELi32ELb1E19rocblas_complex_numIfES1_PKPKS1_PKPS1_Ev13rocblas_fill_18rocblas_operation_17rocblas_diagonal_iiT3_T4_lilT5_lili.uses_flat_scratch, 0
	.set _ZL30rocblas_trsm_small_left_deviceILi64ELi32ELb1E19rocblas_complex_numIfES1_PKPKS1_PKPS1_Ev13rocblas_fill_18rocblas_operation_17rocblas_diagonal_iiT3_T4_lilT5_lili.has_dyn_sized_stack, 0
	.set _ZL30rocblas_trsm_small_left_deviceILi64ELi32ELb1E19rocblas_complex_numIfES1_PKPKS1_PKPS1_Ev13rocblas_fill_18rocblas_operation_17rocblas_diagonal_iiT3_T4_lilT5_lili.has_recursion, 0
	.set _ZL30rocblas_trsm_small_left_deviceILi64ELi32ELb1E19rocblas_complex_numIfES1_PKPKS1_PKPS1_Ev13rocblas_fill_18rocblas_operation_17rocblas_diagonal_iiT3_T4_lilT5_lili.has_indirect_call, 0
	.section	.AMDGPU.csdata,"",@progbits
; Kernel info:
; codeLenInByte = 3132
; TotalNumSgprs: 46
; NumVgprs: 23
; ScratchSize: 272
; MemoryBound: 0
; FloatMode: 240
; IeeeMode: 1
; LDSByteSize: 32768 bytes/workgroup (compile time only)
; SGPRBlocks: 0
; VGPRBlocks: 30
; NumSGPRsForWavesPerEU: 46
; NumVGPRsForWavesPerEU: 241
; Occupancy: 2
; WaveLimiterHint : 1
; COMPUTE_PGM_RSRC2:SCRATCH_EN: 1
; COMPUTE_PGM_RSRC2:USER_SGPR: 2
; COMPUTE_PGM_RSRC2:TRAP_HANDLER: 0
; COMPUTE_PGM_RSRC2:TGID_X_EN: 1
; COMPUTE_PGM_RSRC2:TGID_Y_EN: 0
; COMPUTE_PGM_RSRC2:TGID_Z_EN: 1
; COMPUTE_PGM_RSRC2:TIDIG_COMP_CNT: 0
	.section	.text._ZL31rocblas_trsm_small_right_deviceI19rocblas_complex_numIfES1_PKPKS1_PKPS1_Li64EEv13rocblas_fill_18rocblas_operation_17rocblas_diagonal_iiT0_T1_lilT2_lili,"axG",@progbits,_ZL31rocblas_trsm_small_right_deviceI19rocblas_complex_numIfES1_PKPKS1_PKPS1_Li64EEv13rocblas_fill_18rocblas_operation_17rocblas_diagonal_iiT0_T1_lilT2_lili,comdat
	.globl	_ZL31rocblas_trsm_small_right_deviceI19rocblas_complex_numIfES1_PKPKS1_PKPS1_Li64EEv13rocblas_fill_18rocblas_operation_17rocblas_diagonal_iiT0_T1_lilT2_lili ; -- Begin function _ZL31rocblas_trsm_small_right_deviceI19rocblas_complex_numIfES1_PKPKS1_PKPS1_Li64EEv13rocblas_fill_18rocblas_operation_17rocblas_diagonal_iiT0_T1_lilT2_lili
	.p2align	8
	.type	_ZL31rocblas_trsm_small_right_deviceI19rocblas_complex_numIfES1_PKPKS1_PKPS1_Li64EEv13rocblas_fill_18rocblas_operation_17rocblas_diagonal_iiT0_T1_lilT2_lili,@function
_ZL31rocblas_trsm_small_right_deviceI19rocblas_complex_numIfES1_PKPKS1_PKPS1_Li64EEv13rocblas_fill_18rocblas_operation_17rocblas_diagonal_iiT0_T1_lilT2_lili: ; @_ZL31rocblas_trsm_small_right_deviceI19rocblas_complex_numIfES1_PKPKS1_PKPS1_Li64EEv13rocblas_fill_18rocblas_operation_17rocblas_diagonal_iiT0_T1_lilT2_lili
; %bb.0:
	s_load_b32 s19, s[0:1], 0x60
	s_lshr_b32 s2, ttmp7, 16
	s_wait_kmcnt 0x0
	s_cmp_ge_u32 s2, s19
	s_cbranch_scc1 .LBB177_150
; %bb.1:
	s_clause 0x6
	s_load_b32 s22, s[0:1], 0x30
	s_load_b32 s24, s[0:1], 0x50
	s_load_b128 s[12:15], s[0:1], 0x0
	s_load_b96 s[16:18], s[0:1], 0x10
	s_load_b32 s3, s[0:1], 0x68
	s_load_b128 s[4:7], s[0:1], 0x20
	s_load_b128 s[8:11], s[0:1], 0x40
	s_mov_b32 s20, ttmp9
	v_dual_mov_b32 v5, 0 :: v_dual_lshlrev_b32 v16, 3, v0
	v_dual_mov_b32 v4, 1.0 :: v_dual_lshlrev_b32 v1, 9, v0
	v_lshlrev_b32_e32 v25, 3, v0
	s_delay_alu instid0(VALU_DEP_3) | instskip(NEXT) | instid1(VALU_DEP_3)
	v_or_b32_e32 v17, 0x8000, v16
	v_add_nc_u32_e32 v24, v16, v1
	s_wait_kmcnt 0x0
	s_ashr_i32 s23, s22, 31
	s_ashr_i32 s25, s24, 31
	s_cmp_lg_u32 s12, 0x7a
	s_cselect_b32 s29, -1, 0
	s_cmp_lg_u32 s13, 0x71
	s_cselect_b32 s1, -1, 0
	s_min_i32 s26, s16, 64
	s_lshl_b32 s0, ttmp9, 6
	s_add_co_i32 s3, s3, -1
	s_add_co_i32 s27, s26, -1
	s_sub_co_i32 s0, s15, s0
	s_cmp_ge_u32 ttmp9, s3
	s_mov_b32 s3, 0
	s_cselect_b32 s0, s0, 64
	s_ashr_i32 s21, ttmp9, 31
	v_cmp_gt_i32_e32 vcc_lo, s0, v0
	s_lshl_b64 s[20:21], s[20:21], 9
	s_cmp_eq_u32 s14, 0x84
	s_cselect_b32 s28, -1, 0
	s_cmp_gt_i32 s16, 0
	s_cselect_b32 s14, -1, 0
	s_cmp_lg_u32 s13, 0x6f
	s_cselect_b32 s13, -1, 0
	s_cmp_lg_u32 s12, 0x79
	s_cselect_b32 s0, -1, 0
	s_or_b32 s29, s29, s13
	s_wait_alu 0xfffe
	s_or_b32 s30, s0, s13
	s_cmp_gt_i32 s16, 3
	v_cndmask_b32_e64 v18, 0, 1, s0
	s_cselect_b32 s31, -1, 0
	s_lshl_b64 s[12:13], s[6:7], 3
	s_lshl_b64 s[10:11], s[10:11], 3
	v_add_co_u32 v2, s12, s12, v16
	s_lshl_b64 s[6:7], s[22:23], 3
	s_wait_alu 0xf1ff
	v_add_co_ci_u32_e64 v19, null, s13, 0, s12
	s_add_nc_u64 s[12:13], s[20:21], s[10:11]
	s_lshl_b32 s23, s26, 9
	v_or_b32_e32 v20, 4, v2
	s_wait_alu 0xfffe
	v_add_co_u32 v2, s12, s12, v16
	v_or_b32_e32 v3, s23, v16
	v_cmp_gt_i32_e64 s0, s26, v0
	s_wait_alu 0xf1ff
	v_add_co_ci_u32_e64 v21, null, s13, 0, s12
	v_or_b32_e32 v22, 4, v2
	v_add_nc_u32_e32 v23, 0x7e00, v3
	s_and_b32 s33, vcc_lo, s14
	s_mul_i32 s14, s26, 0x208
	s_lshl_b64 s[12:13], s[24:25], 3
	s_lshl_b32 s25, s26, 3
	s_add_co_i32 s22, s14, 0xfffffde0
	s_addk_co_i32 s23, 0xfe00
	s_add_co_i32 s24, s14, 0xfffff7f8
	s_add_co_i32 s25, s25, -8
	s_branch .LBB177_3
.LBB177_2:                              ;   in Loop: Header=BB177_3 Depth=1
	s_wait_alu 0xfffe
	s_or_b32 exec_lo, exec_lo, s14
	s_add_co_i32 s2, s2, 0x10000
	s_delay_alu instid0(SALU_CYCLE_1)
	s_cmp_lt_u32 s2, s19
	s_cbranch_scc0 .LBB177_150
.LBB177_3:                              ; =>This Loop Header: Depth=1
                                        ;     Child Loop BB177_6 Depth 2
                                        ;     Child Loop BB177_14 Depth 2
	;; [unrolled: 1-line block ×3, first 2 shown]
                                        ;       Child Loop BB177_21 Depth 3
                                        ;     Child Loop BB177_43 Depth 2
                                        ;       Child Loop BB177_44 Depth 3
                                        ;     Child Loop BB177_52 Depth 2
	;; [unrolled: 2-line block ×8, first 2 shown]
	s_lshl_b64 s[14:15], s[2:3], 3
	s_wait_alu 0xfffe
	s_add_nc_u64 s[34:35], s[8:9], s[14:15]
	global_load_b64 v[6:7], v5, s[34:35]
	s_and_saveexec_b32 s34, s0
	s_cbranch_execz .LBB177_12
; %bb.4:                                ;   in Loop: Header=BB177_3 Depth=1
	s_add_nc_u64 s[14:15], s[4:5], s[14:15]
	v_mov_b32_e32 v8, v16
	global_load_b64 v[0:1], v5, s[14:15]
	s_mov_b32 s14, s26
	s_wait_loadcnt 0x0
	v_add_co_u32 v0, vcc_lo, v0, v20
	s_wait_alu 0xfffd
	v_add_co_ci_u32_e64 v1, null, v1, v19, vcc_lo
	s_branch .LBB177_6
.LBB177_5:                              ;   in Loop: Header=BB177_6 Depth=2
	flat_load_b32 v2, v[0:1] offset:-4
	v_add_co_u32 v0, vcc_lo, v0, s6
	s_wait_alu 0xfffd
	v_add_co_ci_u32_e64 v1, null, s7, v1, vcc_lo
	s_add_co_i32 s14, s14, -1
	s_wait_alu 0xfffe
	s_cmp_eq_u32 s14, 0
	s_wait_loadcnt_dscnt 0x0
	ds_store_b64 v8, v[2:3]
	v_add_nc_u32_e32 v8, 0x200, v8
	s_cbranch_scc1 .LBB177_10
.LBB177_6:                              ;   Parent Loop BB177_3 Depth=1
                                        ; =>  This Inner Loop Header: Depth=2
	s_and_b32 vcc_lo, exec_lo, s1
	s_mov_b32 s15, -1
                                        ; implicit-def: $vgpr3
	s_wait_alu 0xfffe
	s_cbranch_vccz .LBB177_8
; %bb.7:                                ;   in Loop: Header=BB177_6 Depth=2
	flat_load_b32 v3, v[0:1]
	s_mov_b32 s15, 0
.LBB177_8:                              ;   in Loop: Header=BB177_6 Depth=2
	s_wait_alu 0xfffe
	s_and_not1_b32 vcc_lo, exec_lo, s15
	s_wait_alu 0xfffe
	s_cbranch_vccnz .LBB177_5
; %bb.9:                                ;   in Loop: Header=BB177_6 Depth=2
	flat_load_b32 v2, v[0:1]
	s_wait_loadcnt_dscnt 0x0
	v_xor_b32_e32 v3, 0x80000000, v2
	s_branch .LBB177_5
.LBB177_10:                             ;   in Loop: Header=BB177_3 Depth=1
	s_and_b32 vcc_lo, exec_lo, s28
	s_wait_alu 0xfffe
	s_cbranch_vccz .LBB177_12
; %bb.11:                               ;   in Loop: Header=BB177_3 Depth=1
	ds_store_b64 v24, v[4:5]
.LBB177_12:                             ;   in Loop: Header=BB177_3 Depth=1
	s_wait_alu 0xfffe
	s_or_b32 exec_lo, exec_lo, s34
	s_and_saveexec_b32 s14, s33
	s_cbranch_execz .LBB177_15
; %bb.13:                               ;   in Loop: Header=BB177_3 Depth=1
	s_wait_loadcnt 0x0
	v_add_co_u32 v0, vcc_lo, v6, v22
	s_wait_alu 0xfffd
	v_add_co_ci_u32_e64 v1, null, v7, v21, vcc_lo
	v_mov_b32_e32 v2, v17
	s_mov_b32 s15, s16
.LBB177_14:                             ;   Parent Loop BB177_3 Depth=1
                                        ; =>  This Inner Loop Header: Depth=2
	flat_load_b64 v[8:9], v[0:1] offset:-4
	s_wait_alu 0xfffe
	v_add_co_u32 v0, vcc_lo, v0, s12
	s_wait_alu 0xfffd
	v_add_co_ci_u32_e64 v1, null, s13, v1, vcc_lo
	s_add_co_i32 s15, s15, -1
	s_wait_alu 0xfffe
	s_cmp_lg_u32 s15, 0
	s_wait_loadcnt_dscnt 0x0
	v_mul_f32_e32 v10, s17, v9
	s_delay_alu instid0(VALU_DEP_1) | instskip(NEXT) | instid1(VALU_DEP_1)
	v_dual_mul_f32 v3, s18, v9 :: v_dual_fmac_f32 v10, s18, v8
	v_fma_f32 v9, s17, v8, -v3
	ds_store_b64 v2, v[9:10]
	v_add_nc_u32_e32 v2, 0x200, v2
	s_cbranch_scc1 .LBB177_14
.LBB177_15:                             ;   in Loop: Header=BB177_3 Depth=1
	s_wait_alu 0xfffe
	s_or_b32 exec_lo, exec_lo, s14
	s_delay_alu instid0(SALU_CYCLE_1)
	s_and_b32 vcc_lo, exec_lo, s30
	s_mov_b32 s14, -1
	s_wait_loadcnt_dscnt 0x0
	s_barrier_signal -1
	s_barrier_wait -1
	global_inv scope:SCOPE_SE
	s_wait_alu 0xfffe
	s_cbranch_vccz .LBB177_115
; %bb.16:                               ;   in Loop: Header=BB177_3 Depth=1
	s_and_b32 vcc_lo, exec_lo, s29
	s_wait_alu 0xfffe
	s_cbranch_vccz .LBB177_82
; %bb.17:                               ;   in Loop: Header=BB177_3 Depth=1
	v_cmp_ne_u32_e32 vcc_lo, 1, v18
	s_cbranch_vccnz .LBB177_50
; %bb.18:                               ;   in Loop: Header=BB177_3 Depth=1
	s_and_not1_b32 vcc_lo, exec_lo, s31
	s_mov_b32 s34, 0
	s_wait_alu 0xfffe
	s_cbranch_vccnz .LBB177_40
; %bb.19:                               ;   in Loop: Header=BB177_3 Depth=1
	s_mov_b32 s14, 0
	s_mov_b32 s15, 0
.LBB177_20:                             ;   Parent Loop BB177_3 Depth=1
                                        ; =>  This Loop Header: Depth=2
                                        ;       Child Loop BB177_21 Depth 3
	s_wait_alu 0xfffe
	s_lshl_b32 s36, s15, 9
	s_or_b32 s37, s15, 1
	s_wait_alu 0xfffe
	v_dual_mov_b32 v2, v17 :: v_dual_add_nc_u32 v29, s36, v17
	s_or_b32 s34, s15, 2
	v_lshl_add_u32 v28, s37, 9, v17
	s_or_b32 s35, s36, 0x600
	s_wait_alu 0xfffe
	v_lshl_add_u32 v27, s34, 9, v17
	v_add_nc_u32_e32 v26, s35, v17
	ds_load_b64 v[0:1], v29
	ds_load_b64 v[14:15], v28
	;; [unrolled: 1-line block ×4, first 2 shown]
	s_cmp_eq_u32 s15, 0
	s_mov_b32 s35, s14
	s_mov_b32 s38, s15
	s_cbranch_scc1 .LBB177_22
.LBB177_21:                             ;   Parent Loop BB177_3 Depth=1
                                        ;     Parent Loop BB177_20 Depth=2
                                        ; =>    This Inner Loop Header: Depth=3
	s_wait_alu 0xfffe
	v_mov_b32_e32 v3, s35
	s_add_co_i32 s38, s38, -1
	s_addk_co_i32 s35, 0x200
	s_wait_alu 0xfffe
	s_cmp_eq_u32 s38, 0
	ds_load_b64 v[12:13], v2
	ds_load_b128 v[30:33], v3
	ds_load_b128 v[34:37], v3 offset:16
	s_wait_dscnt 0x1
	v_dual_mul_f32 v3, v31, v13 :: v_dual_add_nc_u32 v2, 0x200, v2
	v_mul_f32_e32 v38, v30, v13
	s_wait_dscnt 0x0
	v_mul_f32_e32 v40, v35, v13
	v_mul_f32_e32 v39, v33, v13
	;; [unrolled: 1-line block ×5, first 2 shown]
	v_fma_f32 v3, v30, v12, -v3
	v_mul_f32_e32 v35, v35, v12
	v_fmac_f32_e32 v38, v31, v12
	v_fma_f32 v31, v34, v12, -v40
	v_fma_f32 v30, v32, v12, -v39
	v_fmac_f32_e32 v33, v32, v13
	v_fmac_f32_e32 v37, v36, v13
	v_sub_f32_e32 v0, v0, v3
	v_sub_f32_e32 v10, v10, v31
	v_fma_f32 v12, v36, v12, -v41
	v_fmac_f32_e32 v35, v34, v13
	v_sub_f32_e32 v1, v1, v38
	v_dual_sub_f32 v14, v14, v30 :: v_dual_sub_f32 v15, v15, v33
	s_delay_alu instid0(VALU_DEP_3)
	v_dual_sub_f32 v8, v8, v12 :: v_dual_sub_f32 v11, v11, v35
	v_sub_f32_e32 v9, v9, v37
	s_cbranch_scc0 .LBB177_21
.LBB177_22:                             ;   in Loop: Header=BB177_20 Depth=2
	s_lshl_b32 s35, s15, 3
	s_mov_b32 s38, -1
	s_wait_alu 0xfffe
	s_add_co_i32 s36, s35, s36
	s_wait_alu 0xfffe
	v_mov_b32_e32 v2, s36
	ds_load_b64 v[2:3], v2
	s_wait_dscnt 0x0
	v_and_b32_e32 v12, 0x7fffffff, v2
	v_and_b32_e32 v13, 0x7fffffff, v3
	s_delay_alu instid0(VALU_DEP_1)
	v_cmp_ngt_f32_e32 vcc_lo, v12, v13
                                        ; implicit-def: $vgpr13
	s_cbranch_vccz .LBB177_24
; %bb.23:                               ;   in Loop: Header=BB177_20 Depth=2
	v_div_scale_f32 v12, null, v3, v3, v2
	v_div_scale_f32 v31, vcc_lo, v2, v3, v2
	s_mov_b32 s38, 0
	v_rcp_f32_e32 v13, v12
	v_xor_b32_e32 v12, 0x80000000, v12
	s_delay_alu instid0(TRANS32_DEP_1) | instid1(VALU_DEP_1)
	v_fma_f32 v30, v12, v13, 1.0
	s_delay_alu instid0(VALU_DEP_1) | instskip(NEXT) | instid1(VALU_DEP_1)
	v_fmac_f32_e32 v13, v30, v13
	v_mul_f32_e32 v30, v31, v13
	s_delay_alu instid0(VALU_DEP_1) | instskip(NEXT) | instid1(VALU_DEP_1)
	v_fma_f32 v32, v12, v30, v31
	v_fmac_f32_e32 v30, v32, v13
	s_delay_alu instid0(VALU_DEP_1) | instskip(SKIP_1) | instid1(VALU_DEP_1)
	v_fmac_f32_e32 v31, v12, v30
	s_wait_alu 0xfffd
	v_div_fmas_f32 v12, v31, v13, v30
	s_delay_alu instid0(VALU_DEP_1) | instskip(NEXT) | instid1(VALU_DEP_1)
	v_div_fixup_f32 v12, v12, v3, v2
	v_fma_f32 v13, v2, v12, v3
	s_delay_alu instid0(VALU_DEP_1) | instskip(SKIP_1) | instid1(VALU_DEP_2)
	v_div_scale_f32 v30, null, v13, v13, 1.0
	v_div_scale_f32 v33, vcc_lo, 1.0, v13, 1.0
	v_rcp_f32_e32 v31, v30
	v_xor_b32_e32 v30, 0x80000000, v30
	s_delay_alu instid0(TRANS32_DEP_1) | instid1(VALU_DEP_1)
	v_fma_f32 v32, v30, v31, 1.0
	s_delay_alu instid0(VALU_DEP_1) | instskip(NEXT) | instid1(VALU_DEP_1)
	v_fmac_f32_e32 v31, v32, v31
	v_mul_f32_e32 v32, v33, v31
	s_delay_alu instid0(VALU_DEP_1) | instskip(NEXT) | instid1(VALU_DEP_1)
	v_fma_f32 v34, v30, v32, v33
	v_fmac_f32_e32 v32, v34, v31
	s_delay_alu instid0(VALU_DEP_1) | instskip(SKIP_1) | instid1(VALU_DEP_1)
	v_fmac_f32_e32 v33, v30, v32
	s_wait_alu 0xfffd
	v_div_fmas_f32 v30, v33, v31, v32
	v_fma_f32 v31, v0, v12, v1
	s_delay_alu instid0(VALU_DEP_2) | instskip(SKIP_1) | instid1(VALU_DEP_2)
	v_div_fixup_f32 v13, v30, v13, 1.0
	v_fma_f32 v30, v1, v12, -v0
	v_mul_f32_e32 v12, v31, v13
	s_delay_alu instid0(VALU_DEP_2)
	v_mul_f32_e32 v13, v30, v13
.LBB177_24:                             ;   in Loop: Header=BB177_20 Depth=2
	s_wait_alu 0xfffe
	s_and_not1_b32 vcc_lo, exec_lo, s38
	s_wait_alu 0xfffe
	s_cbranch_vccnz .LBB177_26
; %bb.25:                               ;   in Loop: Header=BB177_20 Depth=2
	v_div_scale_f32 v12, null, v2, v2, v3
	v_div_scale_f32 v31, vcc_lo, v3, v2, v3
	s_delay_alu instid0(VALU_DEP_2)
	v_rcp_f32_e32 v13, v12
	v_xor_b32_e32 v12, 0x80000000, v12
	s_delay_alu instid0(TRANS32_DEP_1) | instid1(VALU_DEP_1)
	v_fma_f32 v30, v12, v13, 1.0
	s_delay_alu instid0(VALU_DEP_1) | instskip(NEXT) | instid1(VALU_DEP_1)
	v_fmac_f32_e32 v13, v30, v13
	v_mul_f32_e32 v30, v31, v13
	s_delay_alu instid0(VALU_DEP_1) | instskip(NEXT) | instid1(VALU_DEP_1)
	v_fma_f32 v32, v12, v30, v31
	v_fmac_f32_e32 v30, v32, v13
	s_delay_alu instid0(VALU_DEP_1) | instskip(SKIP_1) | instid1(VALU_DEP_1)
	v_fmac_f32_e32 v31, v12, v30
	s_wait_alu 0xfffd
	v_div_fmas_f32 v12, v31, v13, v30
	s_delay_alu instid0(VALU_DEP_1) | instskip(NEXT) | instid1(VALU_DEP_1)
	v_div_fixup_f32 v12, v12, v2, v3
	v_fmac_f32_e32 v2, v3, v12
	s_delay_alu instid0(VALU_DEP_1) | instskip(SKIP_1) | instid1(VALU_DEP_2)
	v_div_scale_f32 v3, null, v2, v2, 1.0
	v_div_scale_f32 v31, vcc_lo, 1.0, v2, 1.0
	v_rcp_f32_e32 v13, v3
	v_xor_b32_e32 v3, 0x80000000, v3
	s_delay_alu instid0(TRANS32_DEP_1) | instid1(VALU_DEP_1)
	v_fma_f32 v30, v3, v13, 1.0
	s_delay_alu instid0(VALU_DEP_1) | instskip(NEXT) | instid1(VALU_DEP_1)
	v_fmac_f32_e32 v13, v30, v13
	v_mul_f32_e32 v30, v31, v13
	s_delay_alu instid0(VALU_DEP_1) | instskip(NEXT) | instid1(VALU_DEP_1)
	v_fma_f32 v32, v3, v30, v31
	v_fmac_f32_e32 v30, v32, v13
	s_delay_alu instid0(VALU_DEP_1) | instskip(SKIP_1) | instid1(VALU_DEP_1)
	v_fmac_f32_e32 v31, v3, v30
	s_wait_alu 0xfffd
	v_div_fmas_f32 v3, v31, v13, v30
	v_fma_f32 v13, v1, v12, v0
	v_fma_f32 v0, -v0, v12, v1
	s_delay_alu instid0(VALU_DEP_3) | instskip(NEXT) | instid1(VALU_DEP_1)
	v_div_fixup_f32 v2, v3, v2, 1.0
	v_mul_f32_e32 v12, v13, v2
	s_delay_alu instid0(VALU_DEP_3)
	v_mul_f32_e32 v13, v0, v2
.LBB177_26:                             ;   in Loop: Header=BB177_20 Depth=2
	v_mov_b32_e32 v0, s36
	s_mov_b32 s38, -1
	ds_store_b64 v29, v[12:13]
	ds_load_2addr_b64 v[0:3], v0 offset0:1 offset1:65
	s_wait_dscnt 0x0
	v_dual_mul_f32 v30, v13, v1 :: v_dual_and_b32 v31, 0x7fffffff, v2
	v_dual_mul_f32 v1, v12, v1 :: v_dual_and_b32 v32, 0x7fffffff, v3
	s_delay_alu instid0(VALU_DEP_2) | instskip(NEXT) | instid1(VALU_DEP_2)
	v_fma_f32 v30, v12, v0, -v30
	v_fmac_f32_e32 v1, v13, v0
	s_delay_alu instid0(VALU_DEP_3) | instskip(NEXT) | instid1(VALU_DEP_2)
	v_cmp_ngt_f32_e32 vcc_lo, v31, v32
	v_dual_sub_f32 v0, v14, v30 :: v_dual_sub_f32 v1, v15, v1
                                        ; implicit-def: $vgpr15
	s_cbranch_vccz .LBB177_28
; %bb.27:                               ;   in Loop: Header=BB177_20 Depth=2
	v_div_scale_f32 v14, null, v3, v3, v2
	v_div_scale_f32 v30, vcc_lo, v2, v3, v2
	s_mov_b32 s38, 0
	v_rcp_f32_e32 v15, v14
	v_xor_b32_e32 v14, 0x80000000, v14
	s_delay_alu instid0(TRANS32_DEP_1) | instid1(VALU_DEP_1)
	v_fma_f32 v29, v14, v15, 1.0
	s_delay_alu instid0(VALU_DEP_1) | instskip(NEXT) | instid1(VALU_DEP_1)
	v_fmac_f32_e32 v15, v29, v15
	v_mul_f32_e32 v29, v30, v15
	s_delay_alu instid0(VALU_DEP_1) | instskip(NEXT) | instid1(VALU_DEP_1)
	v_fma_f32 v31, v14, v29, v30
	v_fmac_f32_e32 v29, v31, v15
	s_delay_alu instid0(VALU_DEP_1) | instskip(SKIP_1) | instid1(VALU_DEP_1)
	v_fmac_f32_e32 v30, v14, v29
	s_wait_alu 0xfffd
	v_div_fmas_f32 v14, v30, v15, v29
	s_delay_alu instid0(VALU_DEP_1) | instskip(NEXT) | instid1(VALU_DEP_1)
	v_div_fixup_f32 v14, v14, v3, v2
	v_fma_f32 v15, v2, v14, v3
	s_delay_alu instid0(VALU_DEP_1) | instskip(SKIP_1) | instid1(VALU_DEP_2)
	v_div_scale_f32 v29, null, v15, v15, 1.0
	v_div_scale_f32 v32, vcc_lo, 1.0, v15, 1.0
	v_rcp_f32_e32 v30, v29
	v_xor_b32_e32 v29, 0x80000000, v29
	s_delay_alu instid0(TRANS32_DEP_1) | instid1(VALU_DEP_1)
	v_fma_f32 v31, v29, v30, 1.0
	s_delay_alu instid0(VALU_DEP_1) | instskip(NEXT) | instid1(VALU_DEP_1)
	v_fmac_f32_e32 v30, v31, v30
	v_mul_f32_e32 v31, v32, v30
	s_delay_alu instid0(VALU_DEP_1) | instskip(NEXT) | instid1(VALU_DEP_1)
	v_fma_f32 v33, v29, v31, v32
	v_fmac_f32_e32 v31, v33, v30
	s_delay_alu instid0(VALU_DEP_1) | instskip(SKIP_1) | instid1(VALU_DEP_1)
	v_fmac_f32_e32 v32, v29, v31
	s_wait_alu 0xfffd
	v_div_fmas_f32 v29, v32, v30, v31
	v_fma_f32 v30, v14, v0, v1
	s_delay_alu instid0(VALU_DEP_2) | instskip(SKIP_1) | instid1(VALU_DEP_2)
	v_div_fixup_f32 v15, v29, v15, 1.0
	v_fma_f32 v29, v14, v1, -v0
	v_mul_f32_e32 v14, v30, v15
	s_delay_alu instid0(VALU_DEP_2)
	v_mul_f32_e32 v15, v29, v15
.LBB177_28:                             ;   in Loop: Header=BB177_20 Depth=2
	s_wait_alu 0xfffe
	s_and_not1_b32 vcc_lo, exec_lo, s38
	s_wait_alu 0xfffe
	s_cbranch_vccnz .LBB177_30
; %bb.29:                               ;   in Loop: Header=BB177_20 Depth=2
	v_div_scale_f32 v14, null, v2, v2, v3
	v_div_scale_f32 v30, vcc_lo, v3, v2, v3
	s_delay_alu instid0(VALU_DEP_2)
	v_rcp_f32_e32 v15, v14
	v_xor_b32_e32 v14, 0x80000000, v14
	s_delay_alu instid0(TRANS32_DEP_1) | instid1(VALU_DEP_1)
	v_fma_f32 v29, v14, v15, 1.0
	s_delay_alu instid0(VALU_DEP_1) | instskip(NEXT) | instid1(VALU_DEP_1)
	v_fmac_f32_e32 v15, v29, v15
	v_mul_f32_e32 v29, v30, v15
	s_delay_alu instid0(VALU_DEP_1) | instskip(NEXT) | instid1(VALU_DEP_1)
	v_fma_f32 v31, v14, v29, v30
	v_fmac_f32_e32 v29, v31, v15
	s_delay_alu instid0(VALU_DEP_1) | instskip(SKIP_1) | instid1(VALU_DEP_1)
	v_fmac_f32_e32 v30, v14, v29
	s_wait_alu 0xfffd
	v_div_fmas_f32 v14, v30, v15, v29
	s_delay_alu instid0(VALU_DEP_1) | instskip(NEXT) | instid1(VALU_DEP_1)
	v_div_fixup_f32 v14, v14, v2, v3
	v_fmac_f32_e32 v2, v3, v14
	s_delay_alu instid0(VALU_DEP_1) | instskip(SKIP_1) | instid1(VALU_DEP_2)
	v_div_scale_f32 v3, null, v2, v2, 1.0
	v_div_scale_f32 v30, vcc_lo, 1.0, v2, 1.0
	v_rcp_f32_e32 v15, v3
	v_xor_b32_e32 v3, 0x80000000, v3
	s_delay_alu instid0(TRANS32_DEP_1) | instid1(VALU_DEP_1)
	v_fma_f32 v29, v3, v15, 1.0
	s_delay_alu instid0(VALU_DEP_1) | instskip(NEXT) | instid1(VALU_DEP_1)
	v_fmac_f32_e32 v15, v29, v15
	v_mul_f32_e32 v29, v30, v15
	s_delay_alu instid0(VALU_DEP_1) | instskip(NEXT) | instid1(VALU_DEP_1)
	v_fma_f32 v31, v3, v29, v30
	v_fmac_f32_e32 v29, v31, v15
	s_delay_alu instid0(VALU_DEP_1) | instskip(SKIP_1) | instid1(VALU_DEP_1)
	v_fmac_f32_e32 v30, v3, v29
	s_wait_alu 0xfffd
	v_div_fmas_f32 v3, v30, v15, v29
	v_fma_f32 v15, v14, v1, v0
	v_fma_f32 v0, -v14, v0, v1
	s_delay_alu instid0(VALU_DEP_3) | instskip(NEXT) | instid1(VALU_DEP_1)
	v_div_fixup_f32 v2, v3, v2, 1.0
	v_mul_f32_e32 v14, v15, v2
	s_delay_alu instid0(VALU_DEP_3)
	v_mul_f32_e32 v15, v0, v2
.LBB177_30:                             ;   in Loop: Header=BB177_20 Depth=2
	s_add_co_i32 s38, s36, 0x208
	s_lshl_b32 s37, s37, 3
	s_mov_b32 s39, -1
	s_wait_alu 0xfffe
	s_sub_co_i32 s37, s38, s37
	ds_store_b64 v28, v[14:15]
	s_wait_alu 0xfffe
	s_add_co_i32 s37, s37, s35
	s_wait_alu 0xfffe
	v_dual_mov_b32 v0, s36 :: v_dual_mov_b32 v29, s37
	ds_load_2addr_b64 v[0:3], v0 offset0:2 offset1:130
	ds_load_b64 v[29:30], v29 offset:16
	s_wait_dscnt 0x1
	v_dual_mul_f32 v31, v13, v1 :: v_dual_and_b32 v32, 0x7fffffff, v2
	v_mul_f32_e32 v1, v12, v1
	s_delay_alu instid0(VALU_DEP_2) | instskip(SKIP_1) | instid1(VALU_DEP_2)
	v_fma_f32 v31, v12, v0, -v31
	s_wait_dscnt 0x0
	v_dual_fmac_f32 v1, v13, v0 :: v_dual_mul_f32 v0, v15, v30
	v_dual_mul_f32 v30, v14, v30 :: v_dual_and_b32 v33, 0x7fffffff, v3
	s_delay_alu instid0(VALU_DEP_2) | instskip(NEXT) | instid1(VALU_DEP_3)
	v_dual_sub_f32 v10, v10, v31 :: v_dual_sub_f32 v1, v11, v1
	v_fma_f32 v0, v14, v29, -v0
	s_delay_alu instid0(VALU_DEP_3) | instskip(NEXT) | instid1(VALU_DEP_4)
	v_fmac_f32_e32 v30, v15, v29
	v_cmp_ngt_f32_e32 vcc_lo, v32, v33
	s_delay_alu instid0(VALU_DEP_2)
	v_dual_sub_f32 v0, v10, v0 :: v_dual_sub_f32 v1, v1, v30
                                        ; implicit-def: $vgpr11
	s_cbranch_vccz .LBB177_32
; %bb.31:                               ;   in Loop: Header=BB177_20 Depth=2
	v_div_scale_f32 v10, null, v3, v3, v2
	v_div_scale_f32 v29, vcc_lo, v2, v3, v2
	s_mov_b32 s39, 0
	v_rcp_f32_e32 v11, v10
	v_xor_b32_e32 v10, 0x80000000, v10
	s_delay_alu instid0(TRANS32_DEP_1) | instid1(VALU_DEP_1)
	v_fma_f32 v28, v10, v11, 1.0
	s_delay_alu instid0(VALU_DEP_1) | instskip(NEXT) | instid1(VALU_DEP_1)
	v_fmac_f32_e32 v11, v28, v11
	v_mul_f32_e32 v28, v29, v11
	s_delay_alu instid0(VALU_DEP_1) | instskip(NEXT) | instid1(VALU_DEP_1)
	v_fma_f32 v30, v10, v28, v29
	v_fmac_f32_e32 v28, v30, v11
	s_delay_alu instid0(VALU_DEP_1) | instskip(SKIP_1) | instid1(VALU_DEP_1)
	v_fmac_f32_e32 v29, v10, v28
	s_wait_alu 0xfffd
	v_div_fmas_f32 v10, v29, v11, v28
	s_delay_alu instid0(VALU_DEP_1) | instskip(NEXT) | instid1(VALU_DEP_1)
	v_div_fixup_f32 v10, v10, v3, v2
	v_fma_f32 v11, v2, v10, v3
	s_delay_alu instid0(VALU_DEP_1) | instskip(SKIP_1) | instid1(VALU_DEP_2)
	v_div_scale_f32 v28, null, v11, v11, 1.0
	v_div_scale_f32 v31, vcc_lo, 1.0, v11, 1.0
	v_rcp_f32_e32 v29, v28
	v_xor_b32_e32 v28, 0x80000000, v28
	s_delay_alu instid0(TRANS32_DEP_1) | instid1(VALU_DEP_1)
	v_fma_f32 v30, v28, v29, 1.0
	s_delay_alu instid0(VALU_DEP_1) | instskip(NEXT) | instid1(VALU_DEP_1)
	v_fmac_f32_e32 v29, v30, v29
	v_mul_f32_e32 v30, v31, v29
	s_delay_alu instid0(VALU_DEP_1) | instskip(NEXT) | instid1(VALU_DEP_1)
	v_fma_f32 v32, v28, v30, v31
	v_fmac_f32_e32 v30, v32, v29
	s_delay_alu instid0(VALU_DEP_1) | instskip(SKIP_1) | instid1(VALU_DEP_1)
	v_fmac_f32_e32 v31, v28, v30
	s_wait_alu 0xfffd
	v_div_fmas_f32 v28, v31, v29, v30
	v_fma_f32 v29, v10, v0, v1
	s_delay_alu instid0(VALU_DEP_2) | instskip(SKIP_1) | instid1(VALU_DEP_2)
	v_div_fixup_f32 v11, v28, v11, 1.0
	v_fma_f32 v28, v10, v1, -v0
	v_mul_f32_e32 v10, v29, v11
	s_delay_alu instid0(VALU_DEP_2)
	v_mul_f32_e32 v11, v28, v11
.LBB177_32:                             ;   in Loop: Header=BB177_20 Depth=2
	s_wait_alu 0xfffe
	s_and_not1_b32 vcc_lo, exec_lo, s39
	s_wait_alu 0xfffe
	s_cbranch_vccnz .LBB177_34
; %bb.33:                               ;   in Loop: Header=BB177_20 Depth=2
	v_div_scale_f32 v10, null, v2, v2, v3
	v_div_scale_f32 v29, vcc_lo, v3, v2, v3
	s_delay_alu instid0(VALU_DEP_2)
	v_rcp_f32_e32 v11, v10
	v_xor_b32_e32 v10, 0x80000000, v10
	s_delay_alu instid0(TRANS32_DEP_1) | instid1(VALU_DEP_1)
	v_fma_f32 v28, v10, v11, 1.0
	s_delay_alu instid0(VALU_DEP_1) | instskip(NEXT) | instid1(VALU_DEP_1)
	v_fmac_f32_e32 v11, v28, v11
	v_mul_f32_e32 v28, v29, v11
	s_delay_alu instid0(VALU_DEP_1) | instskip(NEXT) | instid1(VALU_DEP_1)
	v_fma_f32 v30, v10, v28, v29
	v_fmac_f32_e32 v28, v30, v11
	s_delay_alu instid0(VALU_DEP_1) | instskip(SKIP_1) | instid1(VALU_DEP_1)
	v_fmac_f32_e32 v29, v10, v28
	s_wait_alu 0xfffd
	v_div_fmas_f32 v10, v29, v11, v28
	s_delay_alu instid0(VALU_DEP_1) | instskip(NEXT) | instid1(VALU_DEP_1)
	v_div_fixup_f32 v10, v10, v2, v3
	v_fmac_f32_e32 v2, v3, v10
	s_delay_alu instid0(VALU_DEP_1) | instskip(SKIP_1) | instid1(VALU_DEP_2)
	v_div_scale_f32 v3, null, v2, v2, 1.0
	v_div_scale_f32 v29, vcc_lo, 1.0, v2, 1.0
	v_rcp_f32_e32 v11, v3
	v_xor_b32_e32 v3, 0x80000000, v3
	s_delay_alu instid0(TRANS32_DEP_1) | instid1(VALU_DEP_1)
	v_fma_f32 v28, v3, v11, 1.0
	s_delay_alu instid0(VALU_DEP_1) | instskip(NEXT) | instid1(VALU_DEP_1)
	v_fmac_f32_e32 v11, v28, v11
	v_mul_f32_e32 v28, v29, v11
	s_delay_alu instid0(VALU_DEP_1) | instskip(NEXT) | instid1(VALU_DEP_1)
	v_fma_f32 v30, v3, v28, v29
	v_fmac_f32_e32 v28, v30, v11
	s_delay_alu instid0(VALU_DEP_1) | instskip(SKIP_1) | instid1(VALU_DEP_1)
	v_fmac_f32_e32 v29, v3, v28
	s_wait_alu 0xfffd
	v_div_fmas_f32 v3, v29, v11, v28
	v_fma_f32 v11, v10, v1, v0
	v_fma_f32 v0, -v10, v0, v1
	s_delay_alu instid0(VALU_DEP_3) | instskip(NEXT) | instid1(VALU_DEP_1)
	v_div_fixup_f32 v2, v3, v2, 1.0
	v_mul_f32_e32 v10, v11, v2
	s_delay_alu instid0(VALU_DEP_3)
	v_mul_f32_e32 v11, v0, v2
.LBB177_34:                             ;   in Loop: Header=BB177_20 Depth=2
	v_mov_b32_e32 v0, s36
	v_mov_b32_e32 v28, s37
	s_lshl_b32 s34, s34, 3
	ds_store_b64 v27, v[10:11]
	s_wait_alu 0xfffe
	s_sub_co_i32 s34, s38, s34
	ds_load_2addr_b64 v[0:3], v0 offset0:3 offset1:195
	ds_load_b64 v[28:29], v28 offset:24
	s_wait_alu 0xfffe
	s_add_co_i32 s34, s34, s35
	s_wait_alu 0xfffe
	v_mov_b32_e32 v30, s34
	s_mov_b32 s34, -1
	ds_load_b64 v[30:31], v30 offset:544
	s_wait_dscnt 0x1
	v_mul_f32_e32 v33, v15, v29
	v_mul_f32_e32 v29, v14, v29
	;; [unrolled: 1-line block ×3, first 2 shown]
	v_dual_mul_f32 v1, v12, v1 :: v_dual_and_b32 v34, 0x7fffffff, v2
	s_delay_alu instid0(VALU_DEP_3) | instskip(NEXT) | instid1(VALU_DEP_3)
	v_fmac_f32_e32 v29, v15, v28
	v_fma_f32 v12, v12, v0, -v32
	s_delay_alu instid0(VALU_DEP_3)
	v_fmac_f32_e32 v1, v13, v0
	v_fma_f32 v0, v14, v28, -v33
	s_wait_dscnt 0x0
	v_mul_f32_e32 v13, v11, v31
	v_mul_f32_e32 v14, v10, v31
	v_dual_sub_f32 v8, v8, v12 :: v_dual_sub_f32 v1, v9, v1
	v_and_b32_e32 v9, 0x7fffffff, v3
	s_delay_alu instid0(VALU_DEP_4) | instskip(NEXT) | instid1(VALU_DEP_4)
	v_fma_f32 v12, v10, v30, -v13
	v_fmac_f32_e32 v14, v11, v30
	s_delay_alu instid0(VALU_DEP_4) | instskip(NEXT) | instid1(VALU_DEP_4)
	v_dual_sub_f32 v0, v8, v0 :: v_dual_sub_f32 v1, v1, v29
	v_cmp_ngt_f32_e32 vcc_lo, v34, v9
	s_delay_alu instid0(VALU_DEP_2)
	v_dual_sub_f32 v8, v0, v12 :: v_dual_sub_f32 v9, v1, v14
                                        ; implicit-def: $vgpr1
	s_cbranch_vccz .LBB177_36
; %bb.35:                               ;   in Loop: Header=BB177_20 Depth=2
	v_div_scale_f32 v0, null, v3, v3, v2
	v_div_scale_f32 v11, vcc_lo, v2, v3, v2
	s_mov_b32 s34, 0
	v_rcp_f32_e32 v1, v0
	v_xor_b32_e32 v0, 0x80000000, v0
	s_delay_alu instid0(TRANS32_DEP_1) | instid1(VALU_DEP_1)
	v_fma_f32 v10, v0, v1, 1.0
	s_delay_alu instid0(VALU_DEP_1) | instskip(NEXT) | instid1(VALU_DEP_1)
	v_fmac_f32_e32 v1, v10, v1
	v_mul_f32_e32 v10, v11, v1
	s_delay_alu instid0(VALU_DEP_1) | instskip(NEXT) | instid1(VALU_DEP_1)
	v_fma_f32 v12, v0, v10, v11
	v_fmac_f32_e32 v10, v12, v1
	s_delay_alu instid0(VALU_DEP_1) | instskip(SKIP_1) | instid1(VALU_DEP_1)
	v_fmac_f32_e32 v11, v0, v10
	s_wait_alu 0xfffd
	v_div_fmas_f32 v0, v11, v1, v10
	s_delay_alu instid0(VALU_DEP_1) | instskip(NEXT) | instid1(VALU_DEP_1)
	v_div_fixup_f32 v0, v0, v3, v2
	v_fma_f32 v1, v2, v0, v3
	s_delay_alu instid0(VALU_DEP_1) | instskip(SKIP_1) | instid1(VALU_DEP_2)
	v_div_scale_f32 v10, null, v1, v1, 1.0
	v_div_scale_f32 v13, vcc_lo, 1.0, v1, 1.0
	v_rcp_f32_e32 v11, v10
	v_xor_b32_e32 v10, 0x80000000, v10
	s_delay_alu instid0(TRANS32_DEP_1) | instid1(VALU_DEP_1)
	v_fma_f32 v12, v10, v11, 1.0
	s_delay_alu instid0(VALU_DEP_1) | instskip(NEXT) | instid1(VALU_DEP_1)
	v_fmac_f32_e32 v11, v12, v11
	v_mul_f32_e32 v12, v13, v11
	s_delay_alu instid0(VALU_DEP_1) | instskip(NEXT) | instid1(VALU_DEP_1)
	v_fma_f32 v14, v10, v12, v13
	v_fmac_f32_e32 v12, v14, v11
	s_delay_alu instid0(VALU_DEP_1) | instskip(SKIP_1) | instid1(VALU_DEP_1)
	v_fmac_f32_e32 v13, v10, v12
	s_wait_alu 0xfffd
	v_div_fmas_f32 v10, v13, v11, v12
	v_fma_f32 v11, v0, v8, v9
	s_delay_alu instid0(VALU_DEP_2) | instskip(SKIP_1) | instid1(VALU_DEP_2)
	v_div_fixup_f32 v1, v10, v1, 1.0
	v_fma_f32 v10, v0, v9, -v8
	v_mul_f32_e32 v0, v11, v1
	s_delay_alu instid0(VALU_DEP_2)
	v_mul_f32_e32 v1, v10, v1
.LBB177_36:                             ;   in Loop: Header=BB177_20 Depth=2
	s_wait_alu 0xfffe
	s_and_not1_b32 vcc_lo, exec_lo, s34
	s_wait_alu 0xfffe
	s_cbranch_vccnz .LBB177_38
; %bb.37:                               ;   in Loop: Header=BB177_20 Depth=2
	v_div_scale_f32 v0, null, v2, v2, v3
	v_div_scale_f32 v11, vcc_lo, v3, v2, v3
	s_delay_alu instid0(VALU_DEP_2)
	v_rcp_f32_e32 v1, v0
	v_xor_b32_e32 v0, 0x80000000, v0
	s_delay_alu instid0(TRANS32_DEP_1) | instid1(VALU_DEP_1)
	v_fma_f32 v10, v0, v1, 1.0
	s_delay_alu instid0(VALU_DEP_1) | instskip(NEXT) | instid1(VALU_DEP_1)
	v_fmac_f32_e32 v1, v10, v1
	v_mul_f32_e32 v10, v11, v1
	s_delay_alu instid0(VALU_DEP_1) | instskip(NEXT) | instid1(VALU_DEP_1)
	v_fma_f32 v12, v0, v10, v11
	v_fmac_f32_e32 v10, v12, v1
	s_delay_alu instid0(VALU_DEP_1) | instskip(SKIP_1) | instid1(VALU_DEP_1)
	v_fmac_f32_e32 v11, v0, v10
	s_wait_alu 0xfffd
	v_div_fmas_f32 v0, v11, v1, v10
	s_delay_alu instid0(VALU_DEP_1) | instskip(NEXT) | instid1(VALU_DEP_1)
	v_div_fixup_f32 v0, v0, v2, v3
	v_fmac_f32_e32 v2, v3, v0
	s_delay_alu instid0(VALU_DEP_1) | instskip(SKIP_1) | instid1(VALU_DEP_2)
	v_div_scale_f32 v1, null, v2, v2, 1.0
	v_div_scale_f32 v11, vcc_lo, 1.0, v2, 1.0
	v_rcp_f32_e32 v3, v1
	v_xor_b32_e32 v1, 0x80000000, v1
	s_delay_alu instid0(TRANS32_DEP_1) | instid1(VALU_DEP_1)
	v_fma_f32 v10, v1, v3, 1.0
	s_delay_alu instid0(VALU_DEP_1) | instskip(NEXT) | instid1(VALU_DEP_1)
	v_fmac_f32_e32 v3, v10, v3
	v_mul_f32_e32 v10, v11, v3
	s_delay_alu instid0(VALU_DEP_1) | instskip(NEXT) | instid1(VALU_DEP_1)
	v_fma_f32 v12, v1, v10, v11
	v_fmac_f32_e32 v10, v12, v3
	s_delay_alu instid0(VALU_DEP_1) | instskip(SKIP_1) | instid1(VALU_DEP_1)
	v_fmac_f32_e32 v11, v1, v10
	s_wait_alu 0xfffd
	v_div_fmas_f32 v1, v11, v3, v10
	v_fma_f32 v3, v0, v9, v8
	s_delay_alu instid0(VALU_DEP_2) | instskip(SKIP_1) | instid1(VALU_DEP_2)
	v_div_fixup_f32 v1, v1, v2, 1.0
	v_fma_f32 v2, -v0, v8, v9
	v_mul_f32_e32 v0, v3, v1
	s_delay_alu instid0(VALU_DEP_2)
	v_mul_f32_e32 v1, v2, v1
.LBB177_38:                             ;   in Loop: Header=BB177_20 Depth=2
	s_add_co_i32 s34, s15, 4
	s_add_co_i32 s15, s15, 7
	;; [unrolled: 1-line block ×3, first 2 shown]
	s_wait_alu 0xfffe
	s_cmp_ge_i32 s15, s26
	ds_store_b64 v26, v[0:1]
	s_cbranch_scc1 .LBB177_40
; %bb.39:                               ;   in Loop: Header=BB177_20 Depth=2
	s_mov_b32 s15, s34
	s_branch .LBB177_20
.LBB177_40:                             ;   in Loop: Header=BB177_3 Depth=1
	s_wait_alu 0xfffe
	s_cmp_ge_i32 s34, s26
	s_cbranch_scc1 .LBB177_49
; %bb.41:                               ;   in Loop: Header=BB177_3 Depth=1
	s_lshl_b32 s14, s34, 3
	s_branch .LBB177_43
.LBB177_42:                             ;   in Loop: Header=BB177_43 Depth=2
	s_add_co_i32 s34, s34, 1
	s_add_co_i32 s14, s14, 8
	s_wait_alu 0xfffe
	s_cmp_ge_i32 s34, s26
	ds_store_b64 v10, v[8:9]
	s_cbranch_scc1 .LBB177_49
.LBB177_43:                             ;   Parent Loop BB177_3 Depth=1
                                        ; =>  This Loop Header: Depth=2
                                        ;       Child Loop BB177_44 Depth 3
	s_lshl_b32 s15, s34, 9
	v_mov_b32_e32 v2, v17
	s_wait_alu 0xfffe
	v_add_nc_u32_e32 v10, s15, v17
	s_cmp_eq_u32 s34, 0
	s_mov_b32 s35, s14
	s_mov_b32 s36, s34
	ds_load_b64 v[0:1], v10
	s_cbranch_scc1 .LBB177_45
.LBB177_44:                             ;   Parent Loop BB177_3 Depth=1
                                        ;     Parent Loop BB177_43 Depth=2
                                        ; =>    This Inner Loop Header: Depth=3
	s_wait_alu 0xfffe
	v_mov_b32_e32 v3, s35
	s_add_co_i32 s36, s36, -1
	s_addk_co_i32 s35, 0x200
	s_wait_alu 0xfffe
	s_cmp_eq_u32 s36, 0
	ds_load_b64 v[8:9], v2
	ds_load_b64 v[11:12], v3
	s_wait_dscnt 0x0
	v_dual_mul_f32 v3, v12, v9 :: v_dual_add_nc_u32 v2, 0x200, v2
	s_delay_alu instid0(VALU_DEP_1) | instskip(NEXT) | instid1(VALU_DEP_1)
	v_fma_f32 v3, v11, v8, -v3
	v_dual_mul_f32 v9, v11, v9 :: v_dual_sub_f32 v0, v0, v3
	s_delay_alu instid0(VALU_DEP_1) | instskip(NEXT) | instid1(VALU_DEP_1)
	v_fmac_f32_e32 v9, v12, v8
	v_sub_f32_e32 v1, v1, v9
	s_cbranch_scc0 .LBB177_44
.LBB177_45:                             ;   in Loop: Header=BB177_43 Depth=2
	s_lshl_b32 s35, s34, 3
	s_wait_alu 0xfffe
	s_add_co_i32 s15, s35, s15
	s_wait_alu 0xfffe
	v_mov_b32_e32 v2, s15
	s_mov_b32 s15, -1
	ds_load_b64 v[2:3], v2
	s_wait_dscnt 0x0
	v_and_b32_e32 v8, 0x7fffffff, v2
	v_and_b32_e32 v9, 0x7fffffff, v3
	s_delay_alu instid0(VALU_DEP_1)
	v_cmp_ngt_f32_e32 vcc_lo, v8, v9
                                        ; implicit-def: $vgpr8
	s_cbranch_vccz .LBB177_47
; %bb.46:                               ;   in Loop: Header=BB177_43 Depth=2
	v_div_scale_f32 v8, null, v3, v3, v2
	v_div_scale_f32 v12, vcc_lo, v2, v3, v2
	s_mov_b32 s15, 0
	v_rcp_f32_e32 v9, v8
	v_xor_b32_e32 v8, 0x80000000, v8
	s_delay_alu instid0(TRANS32_DEP_1) | instid1(VALU_DEP_1)
	v_fma_f32 v11, v8, v9, 1.0
	s_delay_alu instid0(VALU_DEP_1) | instskip(NEXT) | instid1(VALU_DEP_1)
	v_fmac_f32_e32 v9, v11, v9
	v_mul_f32_e32 v11, v12, v9
	s_delay_alu instid0(VALU_DEP_1) | instskip(NEXT) | instid1(VALU_DEP_1)
	v_fma_f32 v13, v8, v11, v12
	v_fmac_f32_e32 v11, v13, v9
	s_delay_alu instid0(VALU_DEP_1) | instskip(SKIP_1) | instid1(VALU_DEP_1)
	v_fmac_f32_e32 v12, v8, v11
	s_wait_alu 0xfffd
	v_div_fmas_f32 v8, v12, v9, v11
	s_delay_alu instid0(VALU_DEP_1) | instskip(NEXT) | instid1(VALU_DEP_1)
	v_div_fixup_f32 v8, v8, v3, v2
	v_fma_f32 v9, v2, v8, v3
	s_delay_alu instid0(VALU_DEP_1) | instskip(SKIP_1) | instid1(VALU_DEP_2)
	v_div_scale_f32 v11, null, v9, v9, 1.0
	v_div_scale_f32 v14, vcc_lo, 1.0, v9, 1.0
	v_rcp_f32_e32 v12, v11
	v_xor_b32_e32 v11, 0x80000000, v11
	s_delay_alu instid0(TRANS32_DEP_1) | instid1(VALU_DEP_1)
	v_fma_f32 v13, v11, v12, 1.0
	s_delay_alu instid0(VALU_DEP_1) | instskip(NEXT) | instid1(VALU_DEP_1)
	v_fmac_f32_e32 v12, v13, v12
	v_mul_f32_e32 v13, v14, v12
	s_delay_alu instid0(VALU_DEP_1) | instskip(NEXT) | instid1(VALU_DEP_1)
	v_fma_f32 v15, v11, v13, v14
	v_fmac_f32_e32 v13, v15, v12
	s_delay_alu instid0(VALU_DEP_1) | instskip(SKIP_1) | instid1(VALU_DEP_1)
	v_fmac_f32_e32 v14, v11, v13
	s_wait_alu 0xfffd
	v_div_fmas_f32 v11, v14, v12, v13
	v_fma_f32 v12, v0, v8, v1
	s_delay_alu instid0(VALU_DEP_2) | instskip(SKIP_1) | instid1(VALU_DEP_2)
	v_div_fixup_f32 v9, v11, v9, 1.0
	v_fma_f32 v11, v1, v8, -v0
	v_mul_f32_e32 v8, v12, v9
	s_delay_alu instid0(VALU_DEP_2)
	v_mul_f32_e32 v9, v11, v9
.LBB177_47:                             ;   in Loop: Header=BB177_43 Depth=2
	s_wait_alu 0xfffe
	s_and_not1_b32 vcc_lo, exec_lo, s15
	s_wait_alu 0xfffe
	s_cbranch_vccnz .LBB177_42
; %bb.48:                               ;   in Loop: Header=BB177_43 Depth=2
	v_div_scale_f32 v8, null, v2, v2, v3
	v_div_scale_f32 v12, vcc_lo, v3, v2, v3
	s_delay_alu instid0(VALU_DEP_2)
	v_rcp_f32_e32 v9, v8
	v_xor_b32_e32 v8, 0x80000000, v8
	s_delay_alu instid0(TRANS32_DEP_1) | instid1(VALU_DEP_1)
	v_fma_f32 v11, v8, v9, 1.0
	s_delay_alu instid0(VALU_DEP_1) | instskip(NEXT) | instid1(VALU_DEP_1)
	v_fmac_f32_e32 v9, v11, v9
	v_mul_f32_e32 v11, v12, v9
	s_delay_alu instid0(VALU_DEP_1) | instskip(NEXT) | instid1(VALU_DEP_1)
	v_fma_f32 v13, v8, v11, v12
	v_fmac_f32_e32 v11, v13, v9
	s_delay_alu instid0(VALU_DEP_1) | instskip(SKIP_1) | instid1(VALU_DEP_1)
	v_fmac_f32_e32 v12, v8, v11
	s_wait_alu 0xfffd
	v_div_fmas_f32 v8, v12, v9, v11
	s_delay_alu instid0(VALU_DEP_1) | instskip(NEXT) | instid1(VALU_DEP_1)
	v_div_fixup_f32 v8, v8, v2, v3
	v_fmac_f32_e32 v2, v3, v8
	s_delay_alu instid0(VALU_DEP_1) | instskip(SKIP_1) | instid1(VALU_DEP_2)
	v_div_scale_f32 v3, null, v2, v2, 1.0
	v_div_scale_f32 v12, vcc_lo, 1.0, v2, 1.0
	v_rcp_f32_e32 v9, v3
	v_xor_b32_e32 v3, 0x80000000, v3
	s_delay_alu instid0(TRANS32_DEP_1) | instid1(VALU_DEP_1)
	v_fma_f32 v11, v3, v9, 1.0
	s_delay_alu instid0(VALU_DEP_1) | instskip(NEXT) | instid1(VALU_DEP_1)
	v_fmac_f32_e32 v9, v11, v9
	v_mul_f32_e32 v11, v12, v9
	s_delay_alu instid0(VALU_DEP_1) | instskip(NEXT) | instid1(VALU_DEP_1)
	v_fma_f32 v13, v3, v11, v12
	v_fmac_f32_e32 v11, v13, v9
	s_delay_alu instid0(VALU_DEP_1) | instskip(SKIP_1) | instid1(VALU_DEP_1)
	v_fmac_f32_e32 v12, v3, v11
	s_wait_alu 0xfffd
	v_div_fmas_f32 v3, v12, v9, v11
	v_fma_f32 v9, v1, v8, v0
	v_fma_f32 v0, -v0, v8, v1
	s_delay_alu instid0(VALU_DEP_3) | instskip(NEXT) | instid1(VALU_DEP_1)
	v_div_fixup_f32 v2, v3, v2, 1.0
	v_mul_f32_e32 v8, v9, v2
	s_delay_alu instid0(VALU_DEP_3)
	v_mul_f32_e32 v9, v0, v2
	s_branch .LBB177_42
.LBB177_49:                             ;   in Loop: Header=BB177_3 Depth=1
	s_mov_b32 s14, 0
.LBB177_50:                             ;   in Loop: Header=BB177_3 Depth=1
	s_wait_alu 0xfffe
	s_and_b32 vcc_lo, exec_lo, s14
	s_wait_alu 0xfffe
	s_cbranch_vccz .LBB177_81
; %bb.51:                               ;   in Loop: Header=BB177_3 Depth=1
	s_mov_b32 s34, s27
	s_and_not1_b32 vcc_lo, exec_lo, s31
	s_mov_b32 s14, s22
	s_mov_b32 s15, s27
	s_wait_alu 0xfffe
	s_cbranch_vccnz .LBB177_72
.LBB177_52:                             ;   Parent Loop BB177_3 Depth=1
                                        ; =>  This Loop Header: Depth=2
                                        ;       Child Loop BB177_53 Depth 3
	s_wait_alu 0xfffe
	s_add_co_i32 s36, s15, -1
	s_add_co_i32 s34, s15, -3
	v_lshl_add_u32 v29, s15, 9, v17
	s_add_co_i32 s37, s15, -2
	s_wait_alu 0xfffe
	v_lshl_add_u32 v28, s36, 9, v17
	s_lshl_b32 s35, s34, 9
	v_lshl_add_u32 v27, s37, 9, v17
	s_wait_alu 0xfffe
	v_add_nc_u32_e32 v26, s35, v17
	ds_load_b64 v[12:13], v29
	ds_load_b64 v[10:11], v28
	;; [unrolled: 1-line block ×4, first 2 shown]
	v_mov_b32_e32 v8, v23
	s_cmp_le_i32 s27, s15
	s_mov_b32 s35, s14
	s_mov_b32 s38, s27
	s_cbranch_scc1 .LBB177_54
.LBB177_53:                             ;   Parent Loop BB177_3 Depth=1
                                        ;     Parent Loop BB177_52 Depth=2
                                        ; =>    This Inner Loop Header: Depth=3
	s_wait_alu 0xfffe
	v_mov_b32_e32 v9, s35
	s_add_co_i32 s38, s38, -1
	s_addk_co_i32 s35, 0xfe00
	s_wait_alu 0xfffe
	s_cmp_le_i32 s38, s15
	ds_load_b64 v[14:15], v8
	ds_load_2addr_b64 v[30:33], v9 offset0:2 offset1:3
	ds_load_2addr_b64 v[34:37], v9 offset1:1
	s_wait_dscnt 0x1
	v_dual_mul_f32 v9, v33, v15 :: v_dual_add_nc_u32 v8, 0xfffffe00, v8
	v_mul_f32_e32 v38, v32, v15
	v_mul_f32_e32 v39, v31, v15
	s_wait_dscnt 0x0
	v_dual_mul_f32 v31, v31, v14 :: v_dual_mul_f32 v40, v37, v15
	v_mul_f32_e32 v41, v35, v15
	v_mul_f32_e32 v35, v35, v14
	v_fma_f32 v9, v32, v14, -v9
	v_mul_f32_e32 v37, v37, v14
	v_fmac_f32_e32 v38, v33, v14
	v_fma_f32 v32, v30, v14, -v39
	v_fmac_f32_e32 v31, v30, v15
	v_fma_f32 v30, v36, v14, -v40
	v_dual_fmac_f32 v35, v34, v15 :: v_dual_sub_f32 v12, v12, v9
	v_fmac_f32_e32 v37, v36, v15
	v_sub_f32_e32 v13, v13, v38
	s_delay_alu instid0(VALU_DEP_4) | instskip(SKIP_1) | instid1(VALU_DEP_4)
	v_sub_f32_e32 v2, v2, v30
	v_fma_f32 v14, v34, v14, -v41
	v_dual_sub_f32 v10, v10, v32 :: v_dual_sub_f32 v3, v3, v37
	s_delay_alu instid0(VALU_DEP_2)
	v_dual_sub_f32 v1, v1, v35 :: v_dual_sub_f32 v0, v0, v14
	v_sub_f32_e32 v11, v11, v31
	s_cbranch_scc0 .LBB177_53
.LBB177_54:                             ;   in Loop: Header=BB177_52 Depth=2
	s_lshl_b32 s38, s15, 3
	s_lshl_b32 s35, s15, 9
	s_mov_b32 s39, -1
	s_wait_alu 0xfffe
	s_add_co_i32 s35, s38, s35
	s_wait_alu 0xfffe
	v_mov_b32_e32 v8, s35
	ds_load_b64 v[14:15], v8
	s_wait_dscnt 0x0
	v_and_b32_e32 v8, 0x7fffffff, v14
	v_and_b32_e32 v9, 0x7fffffff, v15
	s_delay_alu instid0(VALU_DEP_1)
	v_cmp_ngt_f32_e32 vcc_lo, v8, v9
                                        ; implicit-def: $vgpr9
	s_cbranch_vccz .LBB177_56
; %bb.55:                               ;   in Loop: Header=BB177_52 Depth=2
	v_div_scale_f32 v8, null, v15, v15, v14
	v_div_scale_f32 v31, vcc_lo, v14, v15, v14
	s_mov_b32 s39, 0
	v_rcp_f32_e32 v9, v8
	v_xor_b32_e32 v8, 0x80000000, v8
	s_delay_alu instid0(TRANS32_DEP_1) | instid1(VALU_DEP_1)
	v_fma_f32 v30, v8, v9, 1.0
	s_delay_alu instid0(VALU_DEP_1) | instskip(NEXT) | instid1(VALU_DEP_1)
	v_fmac_f32_e32 v9, v30, v9
	v_mul_f32_e32 v30, v31, v9
	s_delay_alu instid0(VALU_DEP_1) | instskip(NEXT) | instid1(VALU_DEP_1)
	v_fma_f32 v32, v8, v30, v31
	v_fmac_f32_e32 v30, v32, v9
	s_delay_alu instid0(VALU_DEP_1) | instskip(SKIP_1) | instid1(VALU_DEP_1)
	v_fmac_f32_e32 v31, v8, v30
	s_wait_alu 0xfffd
	v_div_fmas_f32 v8, v31, v9, v30
	s_delay_alu instid0(VALU_DEP_1) | instskip(NEXT) | instid1(VALU_DEP_1)
	v_div_fixup_f32 v8, v8, v15, v14
	v_fma_f32 v9, v14, v8, v15
	s_delay_alu instid0(VALU_DEP_1) | instskip(SKIP_1) | instid1(VALU_DEP_2)
	v_div_scale_f32 v30, null, v9, v9, 1.0
	v_div_scale_f32 v33, vcc_lo, 1.0, v9, 1.0
	v_rcp_f32_e32 v31, v30
	v_xor_b32_e32 v30, 0x80000000, v30
	s_delay_alu instid0(TRANS32_DEP_1) | instid1(VALU_DEP_1)
	v_fma_f32 v32, v30, v31, 1.0
	s_delay_alu instid0(VALU_DEP_1) | instskip(NEXT) | instid1(VALU_DEP_1)
	v_fmac_f32_e32 v31, v32, v31
	v_mul_f32_e32 v32, v33, v31
	s_delay_alu instid0(VALU_DEP_1) | instskip(NEXT) | instid1(VALU_DEP_1)
	v_fma_f32 v34, v30, v32, v33
	v_fmac_f32_e32 v32, v34, v31
	s_delay_alu instid0(VALU_DEP_1) | instskip(SKIP_1) | instid1(VALU_DEP_1)
	v_fmac_f32_e32 v33, v30, v32
	s_wait_alu 0xfffd
	v_div_fmas_f32 v30, v33, v31, v32
	v_fma_f32 v31, v12, v8, v13
	s_delay_alu instid0(VALU_DEP_2) | instskip(SKIP_1) | instid1(VALU_DEP_2)
	v_div_fixup_f32 v9, v30, v9, 1.0
	v_fma_f32 v30, v13, v8, -v12
	v_mul_f32_e32 v8, v31, v9
	s_delay_alu instid0(VALU_DEP_2)
	v_mul_f32_e32 v9, v30, v9
.LBB177_56:                             ;   in Loop: Header=BB177_52 Depth=2
	s_wait_alu 0xfffe
	s_and_not1_b32 vcc_lo, exec_lo, s39
	s_wait_alu 0xfffe
	s_cbranch_vccnz .LBB177_58
; %bb.57:                               ;   in Loop: Header=BB177_52 Depth=2
	v_div_scale_f32 v8, null, v14, v14, v15
	v_div_scale_f32 v31, vcc_lo, v15, v14, v15
	s_delay_alu instid0(VALU_DEP_2)
	v_rcp_f32_e32 v9, v8
	v_xor_b32_e32 v8, 0x80000000, v8
	s_delay_alu instid0(TRANS32_DEP_1) | instid1(VALU_DEP_1)
	v_fma_f32 v30, v8, v9, 1.0
	s_delay_alu instid0(VALU_DEP_1) | instskip(NEXT) | instid1(VALU_DEP_1)
	v_fmac_f32_e32 v9, v30, v9
	v_mul_f32_e32 v30, v31, v9
	s_delay_alu instid0(VALU_DEP_1) | instskip(NEXT) | instid1(VALU_DEP_1)
	v_fma_f32 v32, v8, v30, v31
	v_fmac_f32_e32 v30, v32, v9
	s_delay_alu instid0(VALU_DEP_1) | instskip(SKIP_1) | instid1(VALU_DEP_1)
	v_fmac_f32_e32 v31, v8, v30
	s_wait_alu 0xfffd
	v_div_fmas_f32 v8, v31, v9, v30
	s_delay_alu instid0(VALU_DEP_1) | instskip(NEXT) | instid1(VALU_DEP_1)
	v_div_fixup_f32 v8, v8, v14, v15
	v_fmac_f32_e32 v14, v15, v8
	s_delay_alu instid0(VALU_DEP_1) | instskip(SKIP_1) | instid1(VALU_DEP_2)
	v_div_scale_f32 v9, null, v14, v14, 1.0
	v_div_scale_f32 v31, vcc_lo, 1.0, v14, 1.0
	v_rcp_f32_e32 v15, v9
	v_xor_b32_e32 v9, 0x80000000, v9
	s_delay_alu instid0(TRANS32_DEP_1) | instid1(VALU_DEP_1)
	v_fma_f32 v30, v9, v15, 1.0
	s_delay_alu instid0(VALU_DEP_1) | instskip(NEXT) | instid1(VALU_DEP_1)
	v_fmac_f32_e32 v15, v30, v15
	v_mul_f32_e32 v30, v31, v15
	s_delay_alu instid0(VALU_DEP_1) | instskip(NEXT) | instid1(VALU_DEP_1)
	v_fma_f32 v32, v9, v30, v31
	v_fmac_f32_e32 v30, v32, v15
	s_delay_alu instid0(VALU_DEP_1) | instskip(SKIP_1) | instid1(VALU_DEP_1)
	v_fmac_f32_e32 v31, v9, v30
	s_wait_alu 0xfffd
	v_div_fmas_f32 v9, v31, v15, v30
	v_fma_f32 v15, v13, v8, v12
	v_fma_f32 v12, -v12, v8, v13
	s_delay_alu instid0(VALU_DEP_3) | instskip(NEXT) | instid1(VALU_DEP_1)
	v_div_fixup_f32 v9, v9, v14, 1.0
	v_mul_f32_e32 v8, v15, v9
	s_delay_alu instid0(VALU_DEP_3)
	v_mul_f32_e32 v9, v12, v9
.LBB177_58:                             ;   in Loop: Header=BB177_52 Depth=2
	s_lshl_b32 s39, s36, 9
	s_add_co_i32 s40, s35, -8
	s_wait_alu 0xfffe
	s_add_co_i32 s39, s38, s39
	s_wait_alu 0xfffe
	s_add_co_i32 s39, s39, -8
	s_wait_alu 0xfffe
	v_dual_mov_b32 v12, s40 :: v_dual_mov_b32 v13, s39
	s_mov_b32 s40, -1
	ds_load_b64 v[14:15], v12
	ds_load_b64 v[12:13], v13
	ds_store_b64 v29, v[8:9]
	s_wait_dscnt 0x1
	v_dual_mul_f32 v30, v9, v15 :: v_dual_and_b32 v31, 0x7fffffff, v12
	v_dual_mul_f32 v15, v8, v15 :: v_dual_and_b32 v32, 0x7fffffff, v13
	s_delay_alu instid0(VALU_DEP_2) | instskip(NEXT) | instid1(VALU_DEP_2)
	v_fma_f32 v30, v8, v14, -v30
	v_fmac_f32_e32 v15, v9, v14
	s_delay_alu instid0(VALU_DEP_3) | instskip(NEXT) | instid1(VALU_DEP_2)
	v_cmp_ngt_f32_e32 vcc_lo, v31, v32
	v_dual_sub_f32 v14, v10, v30 :: v_dual_sub_f32 v15, v11, v15
                                        ; implicit-def: $vgpr11
	s_cbranch_vccz .LBB177_60
; %bb.59:                               ;   in Loop: Header=BB177_52 Depth=2
	v_div_scale_f32 v10, null, v13, v13, v12
	v_div_scale_f32 v30, vcc_lo, v12, v13, v12
	s_mov_b32 s40, 0
	v_rcp_f32_e32 v11, v10
	v_xor_b32_e32 v10, 0x80000000, v10
	s_delay_alu instid0(TRANS32_DEP_1) | instid1(VALU_DEP_1)
	v_fma_f32 v29, v10, v11, 1.0
	s_delay_alu instid0(VALU_DEP_1) | instskip(NEXT) | instid1(VALU_DEP_1)
	v_fmac_f32_e32 v11, v29, v11
	v_mul_f32_e32 v29, v30, v11
	s_delay_alu instid0(VALU_DEP_1) | instskip(NEXT) | instid1(VALU_DEP_1)
	v_fma_f32 v31, v10, v29, v30
	v_fmac_f32_e32 v29, v31, v11
	s_delay_alu instid0(VALU_DEP_1) | instskip(SKIP_1) | instid1(VALU_DEP_1)
	v_fmac_f32_e32 v30, v10, v29
	s_wait_alu 0xfffd
	v_div_fmas_f32 v10, v30, v11, v29
	s_delay_alu instid0(VALU_DEP_1) | instskip(NEXT) | instid1(VALU_DEP_1)
	v_div_fixup_f32 v10, v10, v13, v12
	v_fma_f32 v11, v12, v10, v13
	s_delay_alu instid0(VALU_DEP_1) | instskip(SKIP_1) | instid1(VALU_DEP_2)
	v_div_scale_f32 v29, null, v11, v11, 1.0
	v_div_scale_f32 v32, vcc_lo, 1.0, v11, 1.0
	v_rcp_f32_e32 v30, v29
	v_xor_b32_e32 v29, 0x80000000, v29
	s_delay_alu instid0(TRANS32_DEP_1) | instid1(VALU_DEP_1)
	v_fma_f32 v31, v29, v30, 1.0
	s_delay_alu instid0(VALU_DEP_1) | instskip(NEXT) | instid1(VALU_DEP_1)
	v_fmac_f32_e32 v30, v31, v30
	v_mul_f32_e32 v31, v32, v30
	s_delay_alu instid0(VALU_DEP_1) | instskip(NEXT) | instid1(VALU_DEP_1)
	v_fma_f32 v33, v29, v31, v32
	v_fmac_f32_e32 v31, v33, v30
	s_delay_alu instid0(VALU_DEP_1) | instskip(SKIP_1) | instid1(VALU_DEP_1)
	v_fmac_f32_e32 v32, v29, v31
	s_wait_alu 0xfffd
	v_div_fmas_f32 v29, v32, v30, v31
	v_fma_f32 v30, v10, v14, v15
	s_delay_alu instid0(VALU_DEP_2) | instskip(SKIP_1) | instid1(VALU_DEP_2)
	v_div_fixup_f32 v11, v29, v11, 1.0
	v_fma_f32 v29, v10, v15, -v14
	v_mul_f32_e32 v10, v30, v11
	s_delay_alu instid0(VALU_DEP_2)
	v_mul_f32_e32 v11, v29, v11
.LBB177_60:                             ;   in Loop: Header=BB177_52 Depth=2
	s_wait_alu 0xfffe
	s_and_not1_b32 vcc_lo, exec_lo, s40
	s_wait_alu 0xfffe
	s_cbranch_vccnz .LBB177_62
; %bb.61:                               ;   in Loop: Header=BB177_52 Depth=2
	v_div_scale_f32 v10, null, v12, v12, v13
	v_div_scale_f32 v30, vcc_lo, v13, v12, v13
	s_delay_alu instid0(VALU_DEP_2)
	v_rcp_f32_e32 v11, v10
	v_xor_b32_e32 v10, 0x80000000, v10
	s_delay_alu instid0(TRANS32_DEP_1) | instid1(VALU_DEP_1)
	v_fma_f32 v29, v10, v11, 1.0
	s_delay_alu instid0(VALU_DEP_1) | instskip(NEXT) | instid1(VALU_DEP_1)
	v_fmac_f32_e32 v11, v29, v11
	v_mul_f32_e32 v29, v30, v11
	s_delay_alu instid0(VALU_DEP_1) | instskip(NEXT) | instid1(VALU_DEP_1)
	v_fma_f32 v31, v10, v29, v30
	v_fmac_f32_e32 v29, v31, v11
	s_delay_alu instid0(VALU_DEP_1) | instskip(SKIP_1) | instid1(VALU_DEP_1)
	v_fmac_f32_e32 v30, v10, v29
	s_wait_alu 0xfffd
	v_div_fmas_f32 v10, v30, v11, v29
	s_delay_alu instid0(VALU_DEP_1) | instskip(NEXT) | instid1(VALU_DEP_1)
	v_div_fixup_f32 v10, v10, v12, v13
	v_fmac_f32_e32 v12, v13, v10
	s_delay_alu instid0(VALU_DEP_1) | instskip(SKIP_1) | instid1(VALU_DEP_2)
	v_div_scale_f32 v11, null, v12, v12, 1.0
	v_div_scale_f32 v30, vcc_lo, 1.0, v12, 1.0
	v_rcp_f32_e32 v13, v11
	v_xor_b32_e32 v11, 0x80000000, v11
	s_delay_alu instid0(TRANS32_DEP_1) | instid1(VALU_DEP_1)
	v_fma_f32 v29, v11, v13, 1.0
	s_delay_alu instid0(VALU_DEP_1) | instskip(NEXT) | instid1(VALU_DEP_1)
	v_fmac_f32_e32 v13, v29, v13
	v_mul_f32_e32 v29, v30, v13
	s_delay_alu instid0(VALU_DEP_1) | instskip(NEXT) | instid1(VALU_DEP_1)
	v_fma_f32 v31, v11, v29, v30
	v_fmac_f32_e32 v29, v31, v13
	s_delay_alu instid0(VALU_DEP_1) | instskip(SKIP_1) | instid1(VALU_DEP_1)
	v_fmac_f32_e32 v30, v11, v29
	s_wait_alu 0xfffd
	v_div_fmas_f32 v11, v30, v13, v29
	v_fma_f32 v13, v10, v15, v14
	s_delay_alu instid0(VALU_DEP_2) | instskip(SKIP_1) | instid1(VALU_DEP_2)
	v_div_fixup_f32 v11, v11, v12, 1.0
	v_fma_f32 v12, -v10, v14, v15
	v_mul_f32_e32 v10, v13, v11
	s_delay_alu instid0(VALU_DEP_2)
	v_mul_f32_e32 v11, v12, v11
.LBB177_62:                             ;   in Loop: Header=BB177_52 Depth=2
	s_lshl_b32 s40, s37, 9
	s_lshl_b32 s36, s36, 3
	s_wait_alu 0xfffe
	s_add_co_i32 s40, s38, s40
	s_sub_co_i32 s38, s39, s36
	s_lshl_b32 s37, s37, 3
	s_add_co_i32 s36, s35, -16
	s_wait_alu 0xfffe
	s_add_co_i32 s39, s38, s37
	s_wait_alu 0xfffe
	v_dual_mov_b32 v12, s36 :: v_dual_mov_b32 v13, s39
	s_add_co_i32 s36, s40, -16
	s_mov_b32 s39, -1
	s_wait_alu 0xfffe
	v_mov_b32_e32 v31, s36
	ds_load_b64 v[14:15], v12
	ds_load_b64 v[29:30], v13
	;; [unrolled: 1-line block ×3, first 2 shown]
	ds_store_b64 v28, v[10:11]
	s_wait_dscnt 0x3
	v_mul_f32_e32 v31, v9, v15
	s_wait_dscnt 0x2
	v_dual_mul_f32 v15, v8, v15 :: v_dual_mul_f32 v32, v11, v30
	s_wait_dscnt 0x1
	v_dual_mul_f32 v30, v10, v30 :: v_dual_and_b32 v33, 0x7fffffff, v12
	v_fma_f32 v31, v8, v14, -v31
	s_delay_alu instid0(VALU_DEP_3) | instskip(SKIP_1) | instid1(VALU_DEP_4)
	v_dual_fmac_f32 v15, v9, v14 :: v_dual_and_b32 v14, 0x7fffffff, v13
	v_fma_f32 v32, v10, v29, -v32
	v_fmac_f32_e32 v30, v11, v29
	s_delay_alu instid0(VALU_DEP_4) | instskip(NEXT) | instid1(VALU_DEP_4)
	v_sub_f32_e32 v2, v2, v31
	v_sub_f32_e32 v3, v3, v15
	v_cmp_ngt_f32_e32 vcc_lo, v33, v14
                                        ; implicit-def: $vgpr15
	s_delay_alu instid0(VALU_DEP_2)
	v_dual_sub_f32 v2, v2, v32 :: v_dual_sub_f32 v3, v3, v30
	s_cbranch_vccz .LBB177_64
; %bb.63:                               ;   in Loop: Header=BB177_52 Depth=2
	v_div_scale_f32 v14, null, v13, v13, v12
	v_div_scale_f32 v29, vcc_lo, v12, v13, v12
	s_mov_b32 s39, 0
	v_rcp_f32_e32 v15, v14
	v_xor_b32_e32 v14, 0x80000000, v14
	s_delay_alu instid0(TRANS32_DEP_1) | instid1(VALU_DEP_1)
	v_fma_f32 v28, v14, v15, 1.0
	s_delay_alu instid0(VALU_DEP_1) | instskip(NEXT) | instid1(VALU_DEP_1)
	v_fmac_f32_e32 v15, v28, v15
	v_mul_f32_e32 v28, v29, v15
	s_delay_alu instid0(VALU_DEP_1) | instskip(NEXT) | instid1(VALU_DEP_1)
	v_fma_f32 v30, v14, v28, v29
	v_fmac_f32_e32 v28, v30, v15
	s_delay_alu instid0(VALU_DEP_1) | instskip(SKIP_1) | instid1(VALU_DEP_1)
	v_fmac_f32_e32 v29, v14, v28
	s_wait_alu 0xfffd
	v_div_fmas_f32 v14, v29, v15, v28
	s_delay_alu instid0(VALU_DEP_1) | instskip(NEXT) | instid1(VALU_DEP_1)
	v_div_fixup_f32 v14, v14, v13, v12
	v_fma_f32 v15, v12, v14, v13
	s_delay_alu instid0(VALU_DEP_1) | instskip(SKIP_1) | instid1(VALU_DEP_2)
	v_div_scale_f32 v28, null, v15, v15, 1.0
	v_div_scale_f32 v31, vcc_lo, 1.0, v15, 1.0
	v_rcp_f32_e32 v29, v28
	v_xor_b32_e32 v28, 0x80000000, v28
	s_delay_alu instid0(TRANS32_DEP_1) | instid1(VALU_DEP_1)
	v_fma_f32 v30, v28, v29, 1.0
	s_delay_alu instid0(VALU_DEP_1) | instskip(NEXT) | instid1(VALU_DEP_1)
	v_fmac_f32_e32 v29, v30, v29
	v_mul_f32_e32 v30, v31, v29
	s_delay_alu instid0(VALU_DEP_1) | instskip(NEXT) | instid1(VALU_DEP_1)
	v_fma_f32 v32, v28, v30, v31
	v_fmac_f32_e32 v30, v32, v29
	s_delay_alu instid0(VALU_DEP_1) | instskip(SKIP_1) | instid1(VALU_DEP_1)
	v_fmac_f32_e32 v31, v28, v30
	s_wait_alu 0xfffd
	v_div_fmas_f32 v28, v31, v29, v30
	v_fma_f32 v29, v14, v2, v3
	s_delay_alu instid0(VALU_DEP_2) | instskip(SKIP_1) | instid1(VALU_DEP_2)
	v_div_fixup_f32 v15, v28, v15, 1.0
	v_fma_f32 v28, v14, v3, -v2
	v_mul_f32_e32 v14, v29, v15
	s_delay_alu instid0(VALU_DEP_2)
	v_mul_f32_e32 v15, v28, v15
.LBB177_64:                             ;   in Loop: Header=BB177_52 Depth=2
	s_wait_alu 0xfffe
	s_and_not1_b32 vcc_lo, exec_lo, s39
	s_wait_alu 0xfffe
	s_cbranch_vccnz .LBB177_66
; %bb.65:                               ;   in Loop: Header=BB177_52 Depth=2
	v_div_scale_f32 v14, null, v12, v12, v13
	v_div_scale_f32 v29, vcc_lo, v13, v12, v13
	s_delay_alu instid0(VALU_DEP_2)
	v_rcp_f32_e32 v15, v14
	v_xor_b32_e32 v14, 0x80000000, v14
	s_delay_alu instid0(TRANS32_DEP_1) | instid1(VALU_DEP_1)
	v_fma_f32 v28, v14, v15, 1.0
	s_delay_alu instid0(VALU_DEP_1) | instskip(NEXT) | instid1(VALU_DEP_1)
	v_fmac_f32_e32 v15, v28, v15
	v_mul_f32_e32 v28, v29, v15
	s_delay_alu instid0(VALU_DEP_1) | instskip(NEXT) | instid1(VALU_DEP_1)
	v_fma_f32 v30, v14, v28, v29
	v_fmac_f32_e32 v28, v30, v15
	s_delay_alu instid0(VALU_DEP_1) | instskip(SKIP_1) | instid1(VALU_DEP_1)
	v_fmac_f32_e32 v29, v14, v28
	s_wait_alu 0xfffd
	v_div_fmas_f32 v14, v29, v15, v28
	s_delay_alu instid0(VALU_DEP_1) | instskip(NEXT) | instid1(VALU_DEP_1)
	v_div_fixup_f32 v14, v14, v12, v13
	v_fmac_f32_e32 v12, v13, v14
	s_delay_alu instid0(VALU_DEP_1) | instskip(SKIP_1) | instid1(VALU_DEP_2)
	v_div_scale_f32 v13, null, v12, v12, 1.0
	v_div_scale_f32 v29, vcc_lo, 1.0, v12, 1.0
	v_rcp_f32_e32 v15, v13
	v_xor_b32_e32 v13, 0x80000000, v13
	s_delay_alu instid0(TRANS32_DEP_1) | instid1(VALU_DEP_1)
	v_fma_f32 v28, v13, v15, 1.0
	s_delay_alu instid0(VALU_DEP_1) | instskip(NEXT) | instid1(VALU_DEP_1)
	v_fmac_f32_e32 v15, v28, v15
	v_mul_f32_e32 v28, v29, v15
	s_delay_alu instid0(VALU_DEP_1) | instskip(NEXT) | instid1(VALU_DEP_1)
	v_fma_f32 v30, v13, v28, v29
	v_fmac_f32_e32 v28, v30, v15
	s_delay_alu instid0(VALU_DEP_1) | instskip(SKIP_1) | instid1(VALU_DEP_1)
	v_fmac_f32_e32 v29, v13, v28
	s_wait_alu 0xfffd
	v_div_fmas_f32 v13, v29, v15, v28
	v_fma_f32 v15, v14, v3, v2
	v_fma_f32 v2, -v14, v2, v3
	s_delay_alu instid0(VALU_DEP_3) | instskip(NEXT) | instid1(VALU_DEP_1)
	v_div_fixup_f32 v12, v13, v12, 1.0
	v_mul_f32_e32 v14, v15, v12
	s_delay_alu instid0(VALU_DEP_3)
	v_mul_f32_e32 v15, v2, v12
.LBB177_66:                             ;   in Loop: Header=BB177_52 Depth=2
	s_sub_co_i32 s35, s35, 24
	s_lshl_b32 s34, s34, 3
	s_wait_alu 0xfffe
	v_mov_b32_e32 v2, s35
	s_add_co_i32 s35, s38, s34
	s_sub_co_i32 s37, s36, s37
	s_wait_alu 0xfffe
	v_mov_b32_e32 v3, s35
	s_add_co_i32 s34, s37, s34
	ds_load_b64 v[12:13], v2
	ds_load_b64 v[28:29], v3
	s_wait_alu 0xfffe
	v_mov_b32_e32 v30, s34
	s_add_co_i32 s34, s36, 0xfffffdf8
	s_wait_alu 0xfffe
	v_mov_b32_e32 v2, s34
	s_mov_b32 s34, -1
	s_wait_dscnt 0x1
	v_mul_f32_e32 v32, v9, v13
	v_mul_f32_e32 v13, v8, v13
	s_wait_dscnt 0x0
	v_mul_f32_e32 v33, v11, v29
	ds_load_b64 v[30:31], v30
	ds_load_b64 v[2:3], v2
	v_mul_f32_e32 v29, v10, v29
	v_fmac_f32_e32 v13, v9, v12
	ds_store_b64 v27, v[14:15]
	v_fma_f32 v10, v10, v28, -v33
	s_wait_dscnt 0x2
	v_mul_f32_e32 v34, v15, v31
	v_mul_f32_e32 v31, v14, v31
	v_fma_f32 v8, v8, v12, -v32
	s_wait_dscnt 0x1
	v_and_b32_e32 v9, 0x7fffffff, v2
	s_delay_alu instid0(VALU_DEP_2) | instskip(SKIP_2) | instid1(VALU_DEP_3)
	v_dual_fmac_f32 v31, v15, v30 :: v_dual_sub_f32 v0, v0, v8
	v_dual_fmac_f32 v29, v11, v28 :: v_dual_and_b32 v8, 0x7fffffff, v3
	v_fma_f32 v11, v14, v30, -v34
	v_dual_sub_f32 v0, v0, v10 :: v_dual_sub_f32 v1, v1, v13
	s_delay_alu instid0(VALU_DEP_3) | instskip(NEXT) | instid1(VALU_DEP_2)
	v_cmp_ngt_f32_e32 vcc_lo, v9, v8
	v_dual_sub_f32 v8, v0, v11 :: v_dual_sub_f32 v1, v1, v29
	s_delay_alu instid0(VALU_DEP_1)
	v_sub_f32_e32 v9, v1, v31
                                        ; implicit-def: $vgpr1
	s_cbranch_vccz .LBB177_68
; %bb.67:                               ;   in Loop: Header=BB177_52 Depth=2
	v_div_scale_f32 v0, null, v3, v3, v2
	v_div_scale_f32 v11, vcc_lo, v2, v3, v2
	s_mov_b32 s34, 0
	v_rcp_f32_e32 v1, v0
	v_xor_b32_e32 v0, 0x80000000, v0
	s_delay_alu instid0(TRANS32_DEP_1) | instid1(VALU_DEP_1)
	v_fma_f32 v10, v0, v1, 1.0
	s_delay_alu instid0(VALU_DEP_1) | instskip(NEXT) | instid1(VALU_DEP_1)
	v_fmac_f32_e32 v1, v10, v1
	v_mul_f32_e32 v10, v11, v1
	s_delay_alu instid0(VALU_DEP_1) | instskip(NEXT) | instid1(VALU_DEP_1)
	v_fma_f32 v12, v0, v10, v11
	v_fmac_f32_e32 v10, v12, v1
	s_delay_alu instid0(VALU_DEP_1) | instskip(SKIP_1) | instid1(VALU_DEP_1)
	v_fmac_f32_e32 v11, v0, v10
	s_wait_alu 0xfffd
	v_div_fmas_f32 v0, v11, v1, v10
	s_delay_alu instid0(VALU_DEP_1) | instskip(NEXT) | instid1(VALU_DEP_1)
	v_div_fixup_f32 v0, v0, v3, v2
	v_fma_f32 v1, v2, v0, v3
	s_delay_alu instid0(VALU_DEP_1) | instskip(SKIP_1) | instid1(VALU_DEP_2)
	v_div_scale_f32 v10, null, v1, v1, 1.0
	v_div_scale_f32 v13, vcc_lo, 1.0, v1, 1.0
	v_rcp_f32_e32 v11, v10
	v_xor_b32_e32 v10, 0x80000000, v10
	s_delay_alu instid0(TRANS32_DEP_1) | instid1(VALU_DEP_1)
	v_fma_f32 v12, v10, v11, 1.0
	s_delay_alu instid0(VALU_DEP_1) | instskip(NEXT) | instid1(VALU_DEP_1)
	v_fmac_f32_e32 v11, v12, v11
	v_mul_f32_e32 v12, v13, v11
	s_delay_alu instid0(VALU_DEP_1) | instskip(NEXT) | instid1(VALU_DEP_1)
	v_fma_f32 v14, v10, v12, v13
	v_fmac_f32_e32 v12, v14, v11
	s_delay_alu instid0(VALU_DEP_1) | instskip(SKIP_1) | instid1(VALU_DEP_1)
	v_fmac_f32_e32 v13, v10, v12
	s_wait_alu 0xfffd
	v_div_fmas_f32 v10, v13, v11, v12
	v_fma_f32 v11, v0, v8, v9
	s_delay_alu instid0(VALU_DEP_2) | instskip(SKIP_1) | instid1(VALU_DEP_2)
	v_div_fixup_f32 v1, v10, v1, 1.0
	v_fma_f32 v10, v0, v9, -v8
	v_mul_f32_e32 v0, v11, v1
	s_delay_alu instid0(VALU_DEP_2)
	v_mul_f32_e32 v1, v10, v1
.LBB177_68:                             ;   in Loop: Header=BB177_52 Depth=2
	s_wait_alu 0xfffe
	s_and_not1_b32 vcc_lo, exec_lo, s34
	s_wait_alu 0xfffe
	s_cbranch_vccnz .LBB177_70
; %bb.69:                               ;   in Loop: Header=BB177_52 Depth=2
	v_div_scale_f32 v0, null, v2, v2, v3
	v_div_scale_f32 v11, vcc_lo, v3, v2, v3
	s_delay_alu instid0(VALU_DEP_2)
	v_rcp_f32_e32 v1, v0
	v_xor_b32_e32 v0, 0x80000000, v0
	s_delay_alu instid0(TRANS32_DEP_1) | instid1(VALU_DEP_1)
	v_fma_f32 v10, v0, v1, 1.0
	s_delay_alu instid0(VALU_DEP_1) | instskip(NEXT) | instid1(VALU_DEP_1)
	v_fmac_f32_e32 v1, v10, v1
	v_mul_f32_e32 v10, v11, v1
	s_delay_alu instid0(VALU_DEP_1) | instskip(NEXT) | instid1(VALU_DEP_1)
	v_fma_f32 v12, v0, v10, v11
	v_fmac_f32_e32 v10, v12, v1
	s_delay_alu instid0(VALU_DEP_1) | instskip(SKIP_1) | instid1(VALU_DEP_1)
	v_fmac_f32_e32 v11, v0, v10
	s_wait_alu 0xfffd
	v_div_fmas_f32 v0, v11, v1, v10
	s_delay_alu instid0(VALU_DEP_1) | instskip(NEXT) | instid1(VALU_DEP_1)
	v_div_fixup_f32 v0, v0, v2, v3
	v_fmac_f32_e32 v2, v3, v0
	s_delay_alu instid0(VALU_DEP_1) | instskip(SKIP_1) | instid1(VALU_DEP_2)
	v_div_scale_f32 v1, null, v2, v2, 1.0
	v_div_scale_f32 v11, vcc_lo, 1.0, v2, 1.0
	v_rcp_f32_e32 v3, v1
	v_xor_b32_e32 v1, 0x80000000, v1
	s_delay_alu instid0(TRANS32_DEP_1) | instid1(VALU_DEP_1)
	v_fma_f32 v10, v1, v3, 1.0
	s_delay_alu instid0(VALU_DEP_1) | instskip(NEXT) | instid1(VALU_DEP_1)
	v_fmac_f32_e32 v3, v10, v3
	v_mul_f32_e32 v10, v11, v3
	s_delay_alu instid0(VALU_DEP_1) | instskip(NEXT) | instid1(VALU_DEP_1)
	v_fma_f32 v12, v1, v10, v11
	v_fmac_f32_e32 v10, v12, v3
	s_delay_alu instid0(VALU_DEP_1) | instskip(SKIP_1) | instid1(VALU_DEP_1)
	v_fmac_f32_e32 v11, v1, v10
	s_wait_alu 0xfffd
	v_div_fmas_f32 v1, v11, v3, v10
	v_fma_f32 v3, v0, v9, v8
	s_delay_alu instid0(VALU_DEP_2) | instskip(SKIP_1) | instid1(VALU_DEP_2)
	v_div_fixup_f32 v1, v1, v2, 1.0
	v_fma_f32 v2, -v0, v8, v9
	v_mul_f32_e32 v0, v3, v1
	s_delay_alu instid0(VALU_DEP_2)
	v_mul_f32_e32 v1, v2, v1
.LBB177_70:                             ;   in Loop: Header=BB177_52 Depth=2
	s_add_co_i32 s34, s15, -4
	s_sub_co_i32 s14, s14, 32
	s_cmp_lt_i32 s15, 7
	ds_store_b64 v26, v[0:1]
	s_cbranch_scc1 .LBB177_72
; %bb.71:                               ;   in Loop: Header=BB177_52 Depth=2
	s_wait_alu 0xfffe
	s_mov_b32 s15, s34
	s_branch .LBB177_52
.LBB177_72:                             ;   in Loop: Header=BB177_3 Depth=1
	s_wait_alu 0xfffe
	s_cmp_lt_i32 s34, 0
	s_cbranch_scc1 .LBB177_81
; %bb.73:                               ;   in Loop: Header=BB177_3 Depth=1
	s_lshl_b32 s14, s34, 3
	s_wait_alu 0xfffe
	s_add_co_i32 s14, s23, s14
	s_branch .LBB177_75
.LBB177_74:                             ;   in Loop: Header=BB177_75 Depth=2
	s_add_co_i32 s15, s34, -1
	s_add_co_i32 s14, s14, -8
	s_cmp_lt_i32 s34, 1
	s_wait_alu 0xfffe
	s_mov_b32 s34, s15
	ds_store_b64 v10, v[8:9]
	s_cbranch_scc1 .LBB177_81
.LBB177_75:                             ;   Parent Loop BB177_3 Depth=1
                                        ; =>  This Loop Header: Depth=2
                                        ;       Child Loop BB177_76 Depth 3
	s_wait_alu 0xfffe
	s_lshl_b32 s15, s34, 9
	v_mov_b32_e32 v2, v23
	s_wait_alu 0xfffe
	v_add_nc_u32_e32 v10, s15, v17
	s_cmp_le_i32 s27, s34
	s_mov_b32 s35, s14
	s_mov_b32 s36, s27
	ds_load_b64 v[0:1], v10
	s_cbranch_scc1 .LBB177_77
.LBB177_76:                             ;   Parent Loop BB177_3 Depth=1
                                        ;     Parent Loop BB177_75 Depth=2
                                        ; =>    This Inner Loop Header: Depth=3
	s_wait_alu 0xfffe
	v_mov_b32_e32 v3, s35
	s_add_co_i32 s36, s36, -1
	s_addk_co_i32 s35, 0xfe00
	s_wait_alu 0xfffe
	s_cmp_le_i32 s36, s34
	ds_load_b64 v[8:9], v2
	ds_load_b64 v[11:12], v3
	s_wait_dscnt 0x0
	v_dual_mul_f32 v3, v12, v9 :: v_dual_add_nc_u32 v2, 0xfffffe00, v2
	s_delay_alu instid0(VALU_DEP_1) | instskip(NEXT) | instid1(VALU_DEP_1)
	v_fma_f32 v3, v11, v8, -v3
	v_dual_mul_f32 v9, v11, v9 :: v_dual_sub_f32 v0, v0, v3
	s_delay_alu instid0(VALU_DEP_1) | instskip(NEXT) | instid1(VALU_DEP_1)
	v_fmac_f32_e32 v9, v12, v8
	v_sub_f32_e32 v1, v1, v9
	s_cbranch_scc0 .LBB177_76
.LBB177_77:                             ;   in Loop: Header=BB177_75 Depth=2
	s_lshl_b32 s35, s34, 3
	s_wait_alu 0xfffe
	s_add_co_i32 s15, s35, s15
	s_wait_alu 0xfffe
	v_mov_b32_e32 v2, s15
	s_mov_b32 s15, -1
	ds_load_b64 v[2:3], v2
	s_wait_dscnt 0x0
	v_and_b32_e32 v8, 0x7fffffff, v2
	v_and_b32_e32 v9, 0x7fffffff, v3
	s_delay_alu instid0(VALU_DEP_1)
	v_cmp_ngt_f32_e32 vcc_lo, v8, v9
                                        ; implicit-def: $vgpr8
	s_cbranch_vccz .LBB177_79
; %bb.78:                               ;   in Loop: Header=BB177_75 Depth=2
	v_div_scale_f32 v8, null, v3, v3, v2
	v_div_scale_f32 v12, vcc_lo, v2, v3, v2
	s_mov_b32 s15, 0
	v_rcp_f32_e32 v9, v8
	v_xor_b32_e32 v8, 0x80000000, v8
	s_delay_alu instid0(TRANS32_DEP_1) | instid1(VALU_DEP_1)
	v_fma_f32 v11, v8, v9, 1.0
	s_delay_alu instid0(VALU_DEP_1) | instskip(NEXT) | instid1(VALU_DEP_1)
	v_fmac_f32_e32 v9, v11, v9
	v_mul_f32_e32 v11, v12, v9
	s_delay_alu instid0(VALU_DEP_1) | instskip(NEXT) | instid1(VALU_DEP_1)
	v_fma_f32 v13, v8, v11, v12
	v_fmac_f32_e32 v11, v13, v9
	s_delay_alu instid0(VALU_DEP_1) | instskip(SKIP_1) | instid1(VALU_DEP_1)
	v_fmac_f32_e32 v12, v8, v11
	s_wait_alu 0xfffd
	v_div_fmas_f32 v8, v12, v9, v11
	s_delay_alu instid0(VALU_DEP_1) | instskip(NEXT) | instid1(VALU_DEP_1)
	v_div_fixup_f32 v8, v8, v3, v2
	v_fma_f32 v9, v2, v8, v3
	s_delay_alu instid0(VALU_DEP_1) | instskip(SKIP_1) | instid1(VALU_DEP_2)
	v_div_scale_f32 v11, null, v9, v9, 1.0
	v_div_scale_f32 v14, vcc_lo, 1.0, v9, 1.0
	v_rcp_f32_e32 v12, v11
	v_xor_b32_e32 v11, 0x80000000, v11
	s_delay_alu instid0(TRANS32_DEP_1) | instid1(VALU_DEP_1)
	v_fma_f32 v13, v11, v12, 1.0
	s_delay_alu instid0(VALU_DEP_1) | instskip(NEXT) | instid1(VALU_DEP_1)
	v_fmac_f32_e32 v12, v13, v12
	v_mul_f32_e32 v13, v14, v12
	s_delay_alu instid0(VALU_DEP_1) | instskip(NEXT) | instid1(VALU_DEP_1)
	v_fma_f32 v15, v11, v13, v14
	v_fmac_f32_e32 v13, v15, v12
	s_delay_alu instid0(VALU_DEP_1) | instskip(SKIP_1) | instid1(VALU_DEP_1)
	v_fmac_f32_e32 v14, v11, v13
	s_wait_alu 0xfffd
	v_div_fmas_f32 v11, v14, v12, v13
	v_fma_f32 v12, v0, v8, v1
	s_delay_alu instid0(VALU_DEP_2) | instskip(SKIP_1) | instid1(VALU_DEP_2)
	v_div_fixup_f32 v9, v11, v9, 1.0
	v_fma_f32 v11, v1, v8, -v0
	v_mul_f32_e32 v8, v12, v9
	s_delay_alu instid0(VALU_DEP_2)
	v_mul_f32_e32 v9, v11, v9
.LBB177_79:                             ;   in Loop: Header=BB177_75 Depth=2
	s_wait_alu 0xfffe
	s_and_not1_b32 vcc_lo, exec_lo, s15
	s_wait_alu 0xfffe
	s_cbranch_vccnz .LBB177_74
; %bb.80:                               ;   in Loop: Header=BB177_75 Depth=2
	v_div_scale_f32 v8, null, v2, v2, v3
	v_div_scale_f32 v12, vcc_lo, v3, v2, v3
	s_delay_alu instid0(VALU_DEP_2)
	v_rcp_f32_e32 v9, v8
	v_xor_b32_e32 v8, 0x80000000, v8
	s_delay_alu instid0(TRANS32_DEP_1) | instid1(VALU_DEP_1)
	v_fma_f32 v11, v8, v9, 1.0
	s_delay_alu instid0(VALU_DEP_1) | instskip(NEXT) | instid1(VALU_DEP_1)
	v_fmac_f32_e32 v9, v11, v9
	v_mul_f32_e32 v11, v12, v9
	s_delay_alu instid0(VALU_DEP_1) | instskip(NEXT) | instid1(VALU_DEP_1)
	v_fma_f32 v13, v8, v11, v12
	v_fmac_f32_e32 v11, v13, v9
	s_delay_alu instid0(VALU_DEP_1) | instskip(SKIP_1) | instid1(VALU_DEP_1)
	v_fmac_f32_e32 v12, v8, v11
	s_wait_alu 0xfffd
	v_div_fmas_f32 v8, v12, v9, v11
	s_delay_alu instid0(VALU_DEP_1) | instskip(NEXT) | instid1(VALU_DEP_1)
	v_div_fixup_f32 v8, v8, v2, v3
	v_fmac_f32_e32 v2, v3, v8
	s_delay_alu instid0(VALU_DEP_1) | instskip(SKIP_1) | instid1(VALU_DEP_2)
	v_div_scale_f32 v3, null, v2, v2, 1.0
	v_div_scale_f32 v12, vcc_lo, 1.0, v2, 1.0
	v_rcp_f32_e32 v9, v3
	v_xor_b32_e32 v3, 0x80000000, v3
	s_delay_alu instid0(TRANS32_DEP_1) | instid1(VALU_DEP_1)
	v_fma_f32 v11, v3, v9, 1.0
	s_delay_alu instid0(VALU_DEP_1) | instskip(NEXT) | instid1(VALU_DEP_1)
	v_fmac_f32_e32 v9, v11, v9
	v_mul_f32_e32 v11, v12, v9
	s_delay_alu instid0(VALU_DEP_1) | instskip(NEXT) | instid1(VALU_DEP_1)
	v_fma_f32 v13, v3, v11, v12
	v_fmac_f32_e32 v11, v13, v9
	s_delay_alu instid0(VALU_DEP_1) | instskip(SKIP_1) | instid1(VALU_DEP_1)
	v_fmac_f32_e32 v12, v3, v11
	s_wait_alu 0xfffd
	v_div_fmas_f32 v3, v12, v9, v11
	v_fma_f32 v9, v1, v8, v0
	v_fma_f32 v0, -v0, v8, v1
	s_delay_alu instid0(VALU_DEP_3) | instskip(NEXT) | instid1(VALU_DEP_1)
	v_div_fixup_f32 v2, v3, v2, 1.0
	v_mul_f32_e32 v8, v9, v2
	s_delay_alu instid0(VALU_DEP_3)
	v_mul_f32_e32 v9, v0, v2
	s_branch .LBB177_74
.LBB177_81:                             ;   in Loop: Header=BB177_3 Depth=1
	s_mov_b32 s14, 0
.LBB177_82:                             ;   in Loop: Header=BB177_3 Depth=1
	s_wait_alu 0xfffe
	s_and_not1_b32 vcc_lo, exec_lo, s14
	s_wait_alu 0xfffe
	s_cbranch_vccnz .LBB177_114
; %bb.83:                               ;   in Loop: Header=BB177_3 Depth=1
	s_mov_b32 s34, s27
	s_and_not1_b32 vcc_lo, exec_lo, s31
	s_mov_b32 s14, s24
	s_mov_b32 s15, s27
	s_wait_alu 0xfffe
	s_cbranch_vccnz .LBB177_105
.LBB177_84:                             ;   Parent Loop BB177_3 Depth=1
                                        ; =>  This Loop Header: Depth=2
                                        ;       Child Loop BB177_85 Depth 3
	s_wait_alu 0xfffe
	s_add_co_i32 s37, s15, -1
	v_lshl_add_u32 v29, s15, 9, v17
	s_add_co_i32 s36, s15, -2
	s_wait_alu 0xfffe
	v_lshl_add_u32 v28, s37, 9, v17
	s_add_co_i32 s34, s15, -3
	v_lshl_add_u32 v27, s36, 9, v17
	s_wait_alu 0xfffe
	v_lshl_add_u32 v26, s34, 9, v17
	ds_load_b64 v[0:1], v29
	ds_load_b64 v[14:15], v28
	;; [unrolled: 1-line block ×4, first 2 shown]
	v_mov_b32_e32 v2, v23
	s_cmp_le_i32 s27, s15
	s_mov_b32 s35, s14
	s_mov_b32 s38, s27
	s_cbranch_scc1 .LBB177_86
.LBB177_85:                             ;   Parent Loop BB177_3 Depth=1
                                        ;     Parent Loop BB177_84 Depth=2
                                        ; =>    This Inner Loop Header: Depth=3
	s_wait_alu 0xfffe
	v_mov_b32_e32 v3, s35
	s_add_co_i32 s38, s38, -1
	s_add_co_i32 s35, s35, -8
	s_wait_alu 0xfffe
	s_cmp_le_i32 s38, s15
	ds_load_b64 v[12:13], v2
	ds_load_2addr_stride64_b64 v[30:33], v3 offset0:2 offset1:3
	ds_load_2addr_stride64_b64 v[34:37], v3 offset1:1
	s_wait_dscnt 0x1
	v_dual_mul_f32 v3, v33, v13 :: v_dual_add_nc_u32 v2, 0xfffffe00, v2
	v_mul_f32_e32 v38, v32, v13
	v_mul_f32_e32 v39, v31, v13
	s_wait_dscnt 0x0
	v_dual_mul_f32 v31, v31, v12 :: v_dual_mul_f32 v40, v37, v13
	v_mul_f32_e32 v41, v35, v13
	v_mul_f32_e32 v35, v35, v12
	v_fma_f32 v3, v32, v12, -v3
	v_mul_f32_e32 v37, v37, v12
	v_fmac_f32_e32 v38, v33, v12
	v_fma_f32 v32, v30, v12, -v39
	v_fmac_f32_e32 v31, v30, v13
	v_fma_f32 v30, v36, v12, -v40
	v_dual_fmac_f32 v35, v34, v13 :: v_dual_sub_f32 v0, v0, v3
	v_fmac_f32_e32 v37, v36, v13
	v_sub_f32_e32 v1, v1, v38
	s_delay_alu instid0(VALU_DEP_4) | instskip(SKIP_1) | instid1(VALU_DEP_4)
	v_sub_f32_e32 v10, v10, v30
	v_fma_f32 v12, v34, v12, -v41
	v_dual_sub_f32 v14, v14, v32 :: v_dual_sub_f32 v11, v11, v37
	s_delay_alu instid0(VALU_DEP_2)
	v_dual_sub_f32 v9, v9, v35 :: v_dual_sub_f32 v8, v8, v12
	v_sub_f32_e32 v15, v15, v31
	s_cbranch_scc0 .LBB177_85
.LBB177_86:                             ;   in Loop: Header=BB177_84 Depth=2
	s_lshl_b32 s39, s37, 6
	s_lshl_b32 s38, s36, 6
	;; [unrolled: 1-line block ×3, first 2 shown]
; %bb.87:                               ;   in Loop: Header=BB177_84 Depth=2
	s_mul_i32 s40, s15, 0x208
	s_wait_alu 0xfffe
	v_mov_b32_e32 v2, s40
	s_mov_b32 s40, -1
	ds_load_b64 v[2:3], v2
	s_wait_dscnt 0x0
	v_and_b32_e32 v12, 0x7fffffff, v2
	v_and_b32_e32 v13, 0x7fffffff, v3
	s_delay_alu instid0(VALU_DEP_1)
	v_cmp_ngt_f32_e32 vcc_lo, v12, v13
                                        ; implicit-def: $vgpr13
	s_cbranch_vccz .LBB177_89
; %bb.88:                               ;   in Loop: Header=BB177_84 Depth=2
	v_div_scale_f32 v12, null, v3, v3, v2
	v_div_scale_f32 v31, vcc_lo, v2, v3, v2
	s_mov_b32 s40, 0
	v_rcp_f32_e32 v13, v12
	v_xor_b32_e32 v12, 0x80000000, v12
	s_delay_alu instid0(TRANS32_DEP_1) | instid1(VALU_DEP_1)
	v_fma_f32 v30, v12, v13, 1.0
	s_delay_alu instid0(VALU_DEP_1) | instskip(NEXT) | instid1(VALU_DEP_1)
	v_fmac_f32_e32 v13, v30, v13
	v_mul_f32_e32 v30, v31, v13
	s_delay_alu instid0(VALU_DEP_1) | instskip(NEXT) | instid1(VALU_DEP_1)
	v_fma_f32 v32, v12, v30, v31
	v_fmac_f32_e32 v30, v32, v13
	s_delay_alu instid0(VALU_DEP_1) | instskip(SKIP_1) | instid1(VALU_DEP_1)
	v_fmac_f32_e32 v31, v12, v30
	s_wait_alu 0xfffd
	v_div_fmas_f32 v12, v31, v13, v30
	s_delay_alu instid0(VALU_DEP_1) | instskip(NEXT) | instid1(VALU_DEP_1)
	v_div_fixup_f32 v12, v12, v3, v2
	v_fma_f32 v13, v2, v12, v3
	s_delay_alu instid0(VALU_DEP_1) | instskip(SKIP_1) | instid1(VALU_DEP_2)
	v_div_scale_f32 v30, null, v13, v13, 1.0
	v_div_scale_f32 v33, vcc_lo, 1.0, v13, 1.0
	v_rcp_f32_e32 v31, v30
	v_xor_b32_e32 v30, 0x80000000, v30
	s_delay_alu instid0(TRANS32_DEP_1) | instid1(VALU_DEP_1)
	v_fma_f32 v32, v30, v31, 1.0
	s_delay_alu instid0(VALU_DEP_1) | instskip(NEXT) | instid1(VALU_DEP_1)
	v_fmac_f32_e32 v31, v32, v31
	v_mul_f32_e32 v32, v33, v31
	s_delay_alu instid0(VALU_DEP_1) | instskip(NEXT) | instid1(VALU_DEP_1)
	v_fma_f32 v34, v30, v32, v33
	v_fmac_f32_e32 v32, v34, v31
	s_delay_alu instid0(VALU_DEP_1) | instskip(SKIP_1) | instid1(VALU_DEP_1)
	v_fmac_f32_e32 v33, v30, v32
	s_wait_alu 0xfffd
	v_div_fmas_f32 v30, v33, v31, v32
	v_fma_f32 v31, v0, v12, v1
	s_delay_alu instid0(VALU_DEP_2) | instskip(SKIP_1) | instid1(VALU_DEP_2)
	v_div_fixup_f32 v13, v30, v13, 1.0
	v_fma_f32 v30, v1, v12, -v0
	v_mul_f32_e32 v12, v31, v13
	s_delay_alu instid0(VALU_DEP_2)
	v_mul_f32_e32 v13, v30, v13
.LBB177_89:                             ;   in Loop: Header=BB177_84 Depth=2
	s_wait_alu 0xfffe
	s_and_not1_b32 vcc_lo, exec_lo, s40
	s_wait_alu 0xfffe
	s_cbranch_vccnz .LBB177_91
; %bb.90:                               ;   in Loop: Header=BB177_84 Depth=2
	v_div_scale_f32 v12, null, v2, v2, v3
	v_div_scale_f32 v31, vcc_lo, v3, v2, v3
	s_delay_alu instid0(VALU_DEP_2)
	v_rcp_f32_e32 v13, v12
	v_xor_b32_e32 v12, 0x80000000, v12
	s_delay_alu instid0(TRANS32_DEP_1) | instid1(VALU_DEP_1)
	v_fma_f32 v30, v12, v13, 1.0
	s_delay_alu instid0(VALU_DEP_1) | instskip(NEXT) | instid1(VALU_DEP_1)
	v_fmac_f32_e32 v13, v30, v13
	v_mul_f32_e32 v30, v31, v13
	s_delay_alu instid0(VALU_DEP_1) | instskip(NEXT) | instid1(VALU_DEP_1)
	v_fma_f32 v32, v12, v30, v31
	v_fmac_f32_e32 v30, v32, v13
	s_delay_alu instid0(VALU_DEP_1) | instskip(SKIP_1) | instid1(VALU_DEP_1)
	v_fmac_f32_e32 v31, v12, v30
	s_wait_alu 0xfffd
	v_div_fmas_f32 v12, v31, v13, v30
	s_delay_alu instid0(VALU_DEP_1) | instskip(NEXT) | instid1(VALU_DEP_1)
	v_div_fixup_f32 v12, v12, v2, v3
	v_fmac_f32_e32 v2, v3, v12
	s_delay_alu instid0(VALU_DEP_1) | instskip(SKIP_1) | instid1(VALU_DEP_2)
	v_div_scale_f32 v3, null, v2, v2, 1.0
	v_div_scale_f32 v31, vcc_lo, 1.0, v2, 1.0
	v_rcp_f32_e32 v13, v3
	v_xor_b32_e32 v3, 0x80000000, v3
	s_delay_alu instid0(TRANS32_DEP_1) | instid1(VALU_DEP_1)
	v_fma_f32 v30, v3, v13, 1.0
	s_delay_alu instid0(VALU_DEP_1) | instskip(NEXT) | instid1(VALU_DEP_1)
	v_fmac_f32_e32 v13, v30, v13
	v_mul_f32_e32 v30, v31, v13
	s_delay_alu instid0(VALU_DEP_1) | instskip(NEXT) | instid1(VALU_DEP_1)
	v_fma_f32 v32, v3, v30, v31
	v_fmac_f32_e32 v30, v32, v13
	s_delay_alu instid0(VALU_DEP_1) | instskip(SKIP_1) | instid1(VALU_DEP_1)
	v_fmac_f32_e32 v31, v3, v30
	s_wait_alu 0xfffd
	v_div_fmas_f32 v3, v31, v13, v30
	v_fma_f32 v13, v1, v12, v0
	v_fma_f32 v0, -v0, v12, v1
	s_delay_alu instid0(VALU_DEP_3) | instskip(NEXT) | instid1(VALU_DEP_1)
	v_div_fixup_f32 v2, v3, v2, 1.0
	v_mul_f32_e32 v12, v13, v2
	s_delay_alu instid0(VALU_DEP_3)
	v_mul_f32_e32 v13, v0, v2
.LBB177_91:                             ;   in Loop: Header=BB177_84 Depth=2
	s_lshl_b32 s39, s39, 3
	s_lshl_b32 s37, s37, 3
	ds_store_b64 v29, v[12:13]
	s_wait_alu 0xfffe
	s_add_co_i32 s37, s39, s37
	s_wait_alu 0xfffe
	v_mov_b32_e32 v0, s37
	s_mov_b32 s37, -1
	ds_load_2addr_b64 v[0:3], v0 offset1:1
	s_wait_dscnt 0x0
	v_dual_mul_f32 v30, v13, v3 :: v_dual_and_b32 v31, 0x7fffffff, v0
	v_dual_mul_f32 v3, v12, v3 :: v_dual_and_b32 v32, 0x7fffffff, v1
	s_delay_alu instid0(VALU_DEP_2) | instskip(NEXT) | instid1(VALU_DEP_2)
	v_fma_f32 v30, v12, v2, -v30
	v_fmac_f32_e32 v3, v13, v2
	s_delay_alu instid0(VALU_DEP_3) | instskip(NEXT) | instid1(VALU_DEP_2)
	v_cmp_ngt_f32_e32 vcc_lo, v31, v32
	v_dual_sub_f32 v2, v14, v30 :: v_dual_sub_f32 v3, v15, v3
                                        ; implicit-def: $vgpr15
	s_cbranch_vccz .LBB177_93
; %bb.92:                               ;   in Loop: Header=BB177_84 Depth=2
	v_div_scale_f32 v14, null, v1, v1, v0
	v_div_scale_f32 v30, vcc_lo, v0, v1, v0
	s_mov_b32 s37, 0
	v_rcp_f32_e32 v15, v14
	v_xor_b32_e32 v14, 0x80000000, v14
	s_delay_alu instid0(TRANS32_DEP_1) | instid1(VALU_DEP_1)
	v_fma_f32 v29, v14, v15, 1.0
	s_delay_alu instid0(VALU_DEP_1) | instskip(NEXT) | instid1(VALU_DEP_1)
	v_fmac_f32_e32 v15, v29, v15
	v_mul_f32_e32 v29, v30, v15
	s_delay_alu instid0(VALU_DEP_1) | instskip(NEXT) | instid1(VALU_DEP_1)
	v_fma_f32 v31, v14, v29, v30
	v_fmac_f32_e32 v29, v31, v15
	s_delay_alu instid0(VALU_DEP_1) | instskip(SKIP_1) | instid1(VALU_DEP_1)
	v_fmac_f32_e32 v30, v14, v29
	s_wait_alu 0xfffd
	v_div_fmas_f32 v14, v30, v15, v29
	s_delay_alu instid0(VALU_DEP_1) | instskip(NEXT) | instid1(VALU_DEP_1)
	v_div_fixup_f32 v14, v14, v1, v0
	v_fma_f32 v15, v0, v14, v1
	s_delay_alu instid0(VALU_DEP_1) | instskip(SKIP_1) | instid1(VALU_DEP_2)
	v_div_scale_f32 v29, null, v15, v15, 1.0
	v_div_scale_f32 v32, vcc_lo, 1.0, v15, 1.0
	v_rcp_f32_e32 v30, v29
	v_xor_b32_e32 v29, 0x80000000, v29
	s_delay_alu instid0(TRANS32_DEP_1) | instid1(VALU_DEP_1)
	v_fma_f32 v31, v29, v30, 1.0
	s_delay_alu instid0(VALU_DEP_1) | instskip(NEXT) | instid1(VALU_DEP_1)
	v_fmac_f32_e32 v30, v31, v30
	v_mul_f32_e32 v31, v32, v30
	s_delay_alu instid0(VALU_DEP_1) | instskip(NEXT) | instid1(VALU_DEP_1)
	v_fma_f32 v33, v29, v31, v32
	v_fmac_f32_e32 v31, v33, v30
	s_delay_alu instid0(VALU_DEP_1) | instskip(SKIP_1) | instid1(VALU_DEP_1)
	v_fmac_f32_e32 v32, v29, v31
	s_wait_alu 0xfffd
	v_div_fmas_f32 v29, v32, v30, v31
	v_fma_f32 v30, v14, v2, v3
	s_delay_alu instid0(VALU_DEP_2) | instskip(SKIP_1) | instid1(VALU_DEP_2)
	v_div_fixup_f32 v15, v29, v15, 1.0
	v_fma_f32 v29, v14, v3, -v2
	v_mul_f32_e32 v14, v30, v15
	s_delay_alu instid0(VALU_DEP_2)
	v_mul_f32_e32 v15, v29, v15
.LBB177_93:                             ;   in Loop: Header=BB177_84 Depth=2
	s_wait_alu 0xfffe
	s_and_not1_b32 vcc_lo, exec_lo, s37
	s_wait_alu 0xfffe
	s_cbranch_vccnz .LBB177_95
; %bb.94:                               ;   in Loop: Header=BB177_84 Depth=2
	v_div_scale_f32 v14, null, v0, v0, v1
	v_div_scale_f32 v30, vcc_lo, v1, v0, v1
	s_delay_alu instid0(VALU_DEP_2)
	v_rcp_f32_e32 v15, v14
	v_xor_b32_e32 v14, 0x80000000, v14
	s_delay_alu instid0(TRANS32_DEP_1) | instid1(VALU_DEP_1)
	v_fma_f32 v29, v14, v15, 1.0
	s_delay_alu instid0(VALU_DEP_1) | instskip(NEXT) | instid1(VALU_DEP_1)
	v_fmac_f32_e32 v15, v29, v15
	v_mul_f32_e32 v29, v30, v15
	s_delay_alu instid0(VALU_DEP_1) | instskip(NEXT) | instid1(VALU_DEP_1)
	v_fma_f32 v31, v14, v29, v30
	v_fmac_f32_e32 v29, v31, v15
	s_delay_alu instid0(VALU_DEP_1) | instskip(SKIP_1) | instid1(VALU_DEP_1)
	v_fmac_f32_e32 v30, v14, v29
	s_wait_alu 0xfffd
	v_div_fmas_f32 v14, v30, v15, v29
	s_delay_alu instid0(VALU_DEP_1) | instskip(NEXT) | instid1(VALU_DEP_1)
	v_div_fixup_f32 v14, v14, v0, v1
	v_fmac_f32_e32 v0, v1, v14
	s_delay_alu instid0(VALU_DEP_1) | instskip(SKIP_1) | instid1(VALU_DEP_2)
	v_div_scale_f32 v1, null, v0, v0, 1.0
	v_div_scale_f32 v30, vcc_lo, 1.0, v0, 1.0
	v_rcp_f32_e32 v15, v1
	v_xor_b32_e32 v1, 0x80000000, v1
	s_delay_alu instid0(TRANS32_DEP_1) | instid1(VALU_DEP_1)
	v_fma_f32 v29, v1, v15, 1.0
	s_delay_alu instid0(VALU_DEP_1) | instskip(NEXT) | instid1(VALU_DEP_1)
	v_fmac_f32_e32 v15, v29, v15
	v_mul_f32_e32 v29, v30, v15
	s_delay_alu instid0(VALU_DEP_1) | instskip(NEXT) | instid1(VALU_DEP_1)
	v_fma_f32 v31, v1, v29, v30
	v_fmac_f32_e32 v29, v31, v15
	s_delay_alu instid0(VALU_DEP_1) | instskip(SKIP_1) | instid1(VALU_DEP_1)
	v_fmac_f32_e32 v30, v1, v29
	s_wait_alu 0xfffd
	v_div_fmas_f32 v1, v30, v15, v29
	v_fma_f32 v15, v14, v3, v2
	s_delay_alu instid0(VALU_DEP_2) | instskip(SKIP_1) | instid1(VALU_DEP_2)
	v_div_fixup_f32 v0, v1, v0, 1.0
	v_fma_f32 v1, -v14, v2, v3
	v_mul_f32_e32 v14, v15, v0
	s_delay_alu instid0(VALU_DEP_2)
	v_mul_f32_e32 v15, v1, v0
.LBB177_95:                             ;   in Loop: Header=BB177_84 Depth=2
	s_lshl_b32 s38, s38, 3
	s_lshl_b32 s37, s15, 3
	;; [unrolled: 1-line block ×3, first 2 shown]
	s_wait_alu 0xfffe
	s_add_co_i32 s39, s38, s37
	s_add_co_i32 s36, s38, s36
	s_wait_alu 0xfffe
	v_dual_mov_b32 v0, s39 :: v_dual_mov_b32 v1, s36
	s_mov_b32 s36, -1
	ds_load_b64 v[29:30], v0
	ds_load_2addr_b64 v[0:3], v1 offset1:1
	ds_store_b64 v28, v[14:15]
	s_wait_dscnt 0x1
	v_dual_mul_f32 v31, v13, v30 :: v_dual_mul_f32 v32, v15, v3
	v_dual_mul_f32 v30, v12, v30 :: v_dual_mul_f32 v3, v14, v3
	v_and_b32_e32 v33, 0x7fffffff, v0
	s_delay_alu instid0(VALU_DEP_3) | instskip(NEXT) | instid1(VALU_DEP_4)
	v_fma_f32 v31, v12, v29, -v31
	v_fma_f32 v32, v14, v2, -v32
	s_delay_alu instid0(VALU_DEP_4) | instskip(SKIP_1) | instid1(VALU_DEP_4)
	v_fmac_f32_e32 v30, v13, v29
	v_and_b32_e32 v29, 0x7fffffff, v1
	v_dual_fmac_f32 v3, v15, v2 :: v_dual_sub_f32 v2, v10, v31
	s_delay_alu instid0(VALU_DEP_3) | instskip(NEXT) | instid1(VALU_DEP_3)
	v_sub_f32_e32 v10, v11, v30
	v_cmp_ngt_f32_e32 vcc_lo, v33, v29
	s_delay_alu instid0(VALU_DEP_3) | instskip(NEXT) | instid1(VALU_DEP_3)
	v_sub_f32_e32 v2, v2, v32
	v_sub_f32_e32 v3, v10, v3
                                        ; implicit-def: $vgpr11
	s_cbranch_vccz .LBB177_97
; %bb.96:                               ;   in Loop: Header=BB177_84 Depth=2
	v_div_scale_f32 v10, null, v1, v1, v0
	v_div_scale_f32 v29, vcc_lo, v0, v1, v0
	s_mov_b32 s36, 0
	v_rcp_f32_e32 v11, v10
	v_xor_b32_e32 v10, 0x80000000, v10
	s_delay_alu instid0(TRANS32_DEP_1) | instid1(VALU_DEP_1)
	v_fma_f32 v28, v10, v11, 1.0
	s_delay_alu instid0(VALU_DEP_1) | instskip(NEXT) | instid1(VALU_DEP_1)
	v_fmac_f32_e32 v11, v28, v11
	v_mul_f32_e32 v28, v29, v11
	s_delay_alu instid0(VALU_DEP_1) | instskip(NEXT) | instid1(VALU_DEP_1)
	v_fma_f32 v30, v10, v28, v29
	v_fmac_f32_e32 v28, v30, v11
	s_delay_alu instid0(VALU_DEP_1) | instskip(SKIP_1) | instid1(VALU_DEP_1)
	v_fmac_f32_e32 v29, v10, v28
	s_wait_alu 0xfffd
	v_div_fmas_f32 v10, v29, v11, v28
	s_delay_alu instid0(VALU_DEP_1) | instskip(NEXT) | instid1(VALU_DEP_1)
	v_div_fixup_f32 v10, v10, v1, v0
	v_fma_f32 v11, v0, v10, v1
	s_delay_alu instid0(VALU_DEP_1) | instskip(SKIP_1) | instid1(VALU_DEP_2)
	v_div_scale_f32 v28, null, v11, v11, 1.0
	v_div_scale_f32 v31, vcc_lo, 1.0, v11, 1.0
	v_rcp_f32_e32 v29, v28
	v_xor_b32_e32 v28, 0x80000000, v28
	s_delay_alu instid0(TRANS32_DEP_1) | instid1(VALU_DEP_1)
	v_fma_f32 v30, v28, v29, 1.0
	s_delay_alu instid0(VALU_DEP_1) | instskip(NEXT) | instid1(VALU_DEP_1)
	v_fmac_f32_e32 v29, v30, v29
	v_mul_f32_e32 v30, v31, v29
	s_delay_alu instid0(VALU_DEP_1) | instskip(NEXT) | instid1(VALU_DEP_1)
	v_fma_f32 v32, v28, v30, v31
	v_fmac_f32_e32 v30, v32, v29
	s_delay_alu instid0(VALU_DEP_1) | instskip(SKIP_1) | instid1(VALU_DEP_1)
	v_fmac_f32_e32 v31, v28, v30
	s_wait_alu 0xfffd
	v_div_fmas_f32 v28, v31, v29, v30
	v_fma_f32 v29, v10, v2, v3
	s_delay_alu instid0(VALU_DEP_2) | instskip(SKIP_1) | instid1(VALU_DEP_2)
	v_div_fixup_f32 v11, v28, v11, 1.0
	v_fma_f32 v28, v10, v3, -v2
	v_mul_f32_e32 v10, v29, v11
	s_delay_alu instid0(VALU_DEP_2)
	v_mul_f32_e32 v11, v28, v11
.LBB177_97:                             ;   in Loop: Header=BB177_84 Depth=2
	s_wait_alu 0xfffe
	s_and_not1_b32 vcc_lo, exec_lo, s36
	s_wait_alu 0xfffe
	s_cbranch_vccnz .LBB177_99
; %bb.98:                               ;   in Loop: Header=BB177_84 Depth=2
	v_div_scale_f32 v10, null, v0, v0, v1
	v_div_scale_f32 v29, vcc_lo, v1, v0, v1
	s_delay_alu instid0(VALU_DEP_2)
	v_rcp_f32_e32 v11, v10
	v_xor_b32_e32 v10, 0x80000000, v10
	s_delay_alu instid0(TRANS32_DEP_1) | instid1(VALU_DEP_1)
	v_fma_f32 v28, v10, v11, 1.0
	s_delay_alu instid0(VALU_DEP_1) | instskip(NEXT) | instid1(VALU_DEP_1)
	v_fmac_f32_e32 v11, v28, v11
	v_mul_f32_e32 v28, v29, v11
	s_delay_alu instid0(VALU_DEP_1) | instskip(NEXT) | instid1(VALU_DEP_1)
	v_fma_f32 v30, v10, v28, v29
	v_fmac_f32_e32 v28, v30, v11
	s_delay_alu instid0(VALU_DEP_1) | instskip(SKIP_1) | instid1(VALU_DEP_1)
	v_fmac_f32_e32 v29, v10, v28
	s_wait_alu 0xfffd
	v_div_fmas_f32 v10, v29, v11, v28
	s_delay_alu instid0(VALU_DEP_1) | instskip(NEXT) | instid1(VALU_DEP_1)
	v_div_fixup_f32 v10, v10, v0, v1
	v_fmac_f32_e32 v0, v1, v10
	s_delay_alu instid0(VALU_DEP_1) | instskip(SKIP_1) | instid1(VALU_DEP_2)
	v_div_scale_f32 v1, null, v0, v0, 1.0
	v_div_scale_f32 v29, vcc_lo, 1.0, v0, 1.0
	v_rcp_f32_e32 v11, v1
	v_xor_b32_e32 v1, 0x80000000, v1
	s_delay_alu instid0(TRANS32_DEP_1) | instid1(VALU_DEP_1)
	v_fma_f32 v28, v1, v11, 1.0
	s_delay_alu instid0(VALU_DEP_1) | instskip(NEXT) | instid1(VALU_DEP_1)
	v_fmac_f32_e32 v11, v28, v11
	v_mul_f32_e32 v28, v29, v11
	s_delay_alu instid0(VALU_DEP_1) | instskip(NEXT) | instid1(VALU_DEP_1)
	v_fma_f32 v30, v1, v28, v29
	v_fmac_f32_e32 v28, v30, v11
	s_delay_alu instid0(VALU_DEP_1) | instskip(SKIP_1) | instid1(VALU_DEP_1)
	v_fmac_f32_e32 v29, v1, v28
	s_wait_alu 0xfffd
	v_div_fmas_f32 v1, v29, v11, v28
	v_fma_f32 v11, v10, v3, v2
	s_delay_alu instid0(VALU_DEP_2) | instskip(SKIP_1) | instid1(VALU_DEP_2)
	v_div_fixup_f32 v0, v1, v0, 1.0
	v_fma_f32 v1, -v10, v2, v3
	v_mul_f32_e32 v10, v11, v0
	s_delay_alu instid0(VALU_DEP_2)
	v_mul_f32_e32 v11, v1, v0
.LBB177_99:                             ;   in Loop: Header=BB177_84 Depth=2
	s_lshl_b32 s35, s35, 3
	s_lshl_b32 s34, s34, 3
	s_wait_alu 0xfffe
	s_add_co_i32 s36, s35, s37
	s_add_co_i32 s34, s35, s34
	s_wait_alu 0xfffe
	s_add_co_i32 s36, s36, -8
	s_wait_alu 0xfffe
	v_dual_mov_b32 v1, s34 :: v_dual_mov_b32 v0, s36
	s_mov_b32 s34, -1
	ds_load_2addr_b64 v[28:31], v0 offset1:1
	ds_load_2addr_b64 v[0:3], v1 offset1:1
	ds_store_b64 v27, v[10:11]
	s_wait_dscnt 0x2
	v_dual_mul_f32 v32, v13, v31 :: v_dual_mul_f32 v33, v15, v29
	v_mul_f32_e32 v31, v12, v31
	s_wait_dscnt 0x1
	v_dual_mul_f32 v29, v14, v29 :: v_dual_mul_f32 v34, v11, v3
	s_delay_alu instid0(VALU_DEP_3) | instskip(SKIP_2) | instid1(VALU_DEP_3)
	v_fma_f32 v12, v12, v30, -v32
	v_mul_f32_e32 v3, v10, v3
	v_fma_f32 v14, v14, v28, -v33
	v_sub_f32_e32 v8, v8, v12
	v_dual_fmac_f32 v29, v15, v28 :: v_dual_and_b32 v12, 0x7fffffff, v1
	v_fma_f32 v15, v10, v2, -v34
	v_fmac_f32_e32 v3, v11, v2
	s_delay_alu instid0(VALU_DEP_4) | instskip(SKIP_1) | instid1(VALU_DEP_2)
	v_sub_f32_e32 v2, v8, v14
	v_fmac_f32_e32 v31, v13, v30
	v_dual_sub_f32 v8, v2, v15 :: v_dual_and_b32 v13, 0x7fffffff, v0
	s_delay_alu instid0(VALU_DEP_2) | instskip(NEXT) | instid1(VALU_DEP_2)
	v_sub_f32_e32 v9, v9, v31
	v_cmp_ngt_f32_e32 vcc_lo, v13, v12
	s_delay_alu instid0(VALU_DEP_2) | instskip(NEXT) | instid1(VALU_DEP_1)
	v_sub_f32_e32 v9, v9, v29
	v_sub_f32_e32 v9, v9, v3
                                        ; implicit-def: $vgpr3
	s_cbranch_vccz .LBB177_101
; %bb.100:                              ;   in Loop: Header=BB177_84 Depth=2
	v_div_scale_f32 v2, null, v1, v1, v0
	v_div_scale_f32 v11, vcc_lo, v0, v1, v0
	s_mov_b32 s34, 0
	v_rcp_f32_e32 v3, v2
	v_xor_b32_e32 v2, 0x80000000, v2
	s_delay_alu instid0(TRANS32_DEP_1) | instid1(VALU_DEP_1)
	v_fma_f32 v10, v2, v3, 1.0
	s_delay_alu instid0(VALU_DEP_1) | instskip(NEXT) | instid1(VALU_DEP_1)
	v_fmac_f32_e32 v3, v10, v3
	v_mul_f32_e32 v10, v11, v3
	s_delay_alu instid0(VALU_DEP_1) | instskip(NEXT) | instid1(VALU_DEP_1)
	v_fma_f32 v12, v2, v10, v11
	v_fmac_f32_e32 v10, v12, v3
	s_delay_alu instid0(VALU_DEP_1) | instskip(SKIP_1) | instid1(VALU_DEP_1)
	v_fmac_f32_e32 v11, v2, v10
	s_wait_alu 0xfffd
	v_div_fmas_f32 v2, v11, v3, v10
	s_delay_alu instid0(VALU_DEP_1) | instskip(NEXT) | instid1(VALU_DEP_1)
	v_div_fixup_f32 v2, v2, v1, v0
	v_fma_f32 v3, v0, v2, v1
	s_delay_alu instid0(VALU_DEP_1) | instskip(SKIP_1) | instid1(VALU_DEP_2)
	v_div_scale_f32 v10, null, v3, v3, 1.0
	v_div_scale_f32 v13, vcc_lo, 1.0, v3, 1.0
	v_rcp_f32_e32 v11, v10
	v_xor_b32_e32 v10, 0x80000000, v10
	s_delay_alu instid0(TRANS32_DEP_1) | instid1(VALU_DEP_1)
	v_fma_f32 v12, v10, v11, 1.0
	s_delay_alu instid0(VALU_DEP_1) | instskip(NEXT) | instid1(VALU_DEP_1)
	v_fmac_f32_e32 v11, v12, v11
	v_mul_f32_e32 v12, v13, v11
	s_delay_alu instid0(VALU_DEP_1) | instskip(NEXT) | instid1(VALU_DEP_1)
	v_fma_f32 v14, v10, v12, v13
	v_fmac_f32_e32 v12, v14, v11
	s_delay_alu instid0(VALU_DEP_1) | instskip(SKIP_1) | instid1(VALU_DEP_1)
	v_fmac_f32_e32 v13, v10, v12
	s_wait_alu 0xfffd
	v_div_fmas_f32 v10, v13, v11, v12
	v_fma_f32 v11, v2, v8, v9
	s_delay_alu instid0(VALU_DEP_2) | instskip(SKIP_1) | instid1(VALU_DEP_2)
	v_div_fixup_f32 v3, v10, v3, 1.0
	v_fma_f32 v10, v2, v9, -v8
	v_mul_f32_e32 v2, v11, v3
	s_delay_alu instid0(VALU_DEP_2)
	v_mul_f32_e32 v3, v10, v3
.LBB177_101:                            ;   in Loop: Header=BB177_84 Depth=2
	s_wait_alu 0xfffe
	s_and_not1_b32 vcc_lo, exec_lo, s34
	s_wait_alu 0xfffe
	s_cbranch_vccnz .LBB177_103
; %bb.102:                              ;   in Loop: Header=BB177_84 Depth=2
	v_div_scale_f32 v2, null, v0, v0, v1
	v_div_scale_f32 v11, vcc_lo, v1, v0, v1
	s_delay_alu instid0(VALU_DEP_2)
	v_rcp_f32_e32 v3, v2
	v_xor_b32_e32 v2, 0x80000000, v2
	s_delay_alu instid0(TRANS32_DEP_1) | instid1(VALU_DEP_1)
	v_fma_f32 v10, v2, v3, 1.0
	s_delay_alu instid0(VALU_DEP_1) | instskip(NEXT) | instid1(VALU_DEP_1)
	v_fmac_f32_e32 v3, v10, v3
	v_mul_f32_e32 v10, v11, v3
	s_delay_alu instid0(VALU_DEP_1) | instskip(NEXT) | instid1(VALU_DEP_1)
	v_fma_f32 v12, v2, v10, v11
	v_fmac_f32_e32 v10, v12, v3
	s_delay_alu instid0(VALU_DEP_1) | instskip(SKIP_1) | instid1(VALU_DEP_1)
	v_fmac_f32_e32 v11, v2, v10
	s_wait_alu 0xfffd
	v_div_fmas_f32 v2, v11, v3, v10
	s_delay_alu instid0(VALU_DEP_1) | instskip(NEXT) | instid1(VALU_DEP_1)
	v_div_fixup_f32 v2, v2, v0, v1
	v_fmac_f32_e32 v0, v1, v2
	s_delay_alu instid0(VALU_DEP_1) | instskip(SKIP_1) | instid1(VALU_DEP_2)
	v_div_scale_f32 v1, null, v0, v0, 1.0
	v_div_scale_f32 v11, vcc_lo, 1.0, v0, 1.0
	v_rcp_f32_e32 v3, v1
	v_xor_b32_e32 v1, 0x80000000, v1
	s_delay_alu instid0(TRANS32_DEP_1) | instid1(VALU_DEP_1)
	v_fma_f32 v10, v1, v3, 1.0
	s_delay_alu instid0(VALU_DEP_1) | instskip(NEXT) | instid1(VALU_DEP_1)
	v_fmac_f32_e32 v3, v10, v3
	v_mul_f32_e32 v10, v11, v3
	s_delay_alu instid0(VALU_DEP_1) | instskip(NEXT) | instid1(VALU_DEP_1)
	v_fma_f32 v12, v1, v10, v11
	v_fmac_f32_e32 v10, v12, v3
	s_delay_alu instid0(VALU_DEP_1) | instskip(SKIP_1) | instid1(VALU_DEP_1)
	v_fmac_f32_e32 v11, v1, v10
	s_wait_alu 0xfffd
	v_div_fmas_f32 v1, v11, v3, v10
	v_fma_f32 v3, v2, v9, v8
	s_delay_alu instid0(VALU_DEP_2) | instskip(SKIP_1) | instid1(VALU_DEP_2)
	v_div_fixup_f32 v0, v1, v0, 1.0
	v_fma_f32 v1, -v2, v8, v9
	v_mul_f32_e32 v2, v3, v0
	s_delay_alu instid0(VALU_DEP_2)
	v_mul_f32_e32 v3, v1, v0
.LBB177_103:                            ;   in Loop: Header=BB177_84 Depth=2
	s_add_co_i32 s34, s15, -4
	s_addk_co_i32 s14, 0xf800
	s_cmp_lt_i32 s15, 7
	ds_store_b64 v26, v[2:3]
	s_cbranch_scc1 .LBB177_105
; %bb.104:                              ;   in Loop: Header=BB177_84 Depth=2
	s_wait_alu 0xfffe
	s_mov_b32 s15, s34
	s_branch .LBB177_84
.LBB177_105:                            ;   in Loop: Header=BB177_3 Depth=1
	s_wait_alu 0xfffe
	s_cmp_lt_i32 s34, 0
	s_cbranch_scc1 .LBB177_114
; %bb.106:                              ;   in Loop: Header=BB177_3 Depth=1
	s_lshl_b32 s14, s34, 9
	s_wait_alu 0xfffe
	s_add_co_i32 s14, s25, s14
	s_branch .LBB177_108
.LBB177_107:                            ;   in Loop: Header=BB177_108 Depth=2
	v_sub_co_u32 v0, s15, s34, 1
	s_and_b32 vcc_lo, exec_lo, s15
	s_addk_co_i32 s14, 0xfe00
	ds_store_b64 v10, v[8:9]
	v_readfirstlane_b32 s34, v0
	s_wait_alu 0xfffe
	s_cbranch_vccnz .LBB177_114
.LBB177_108:                            ;   Parent Loop BB177_3 Depth=1
                                        ; =>  This Loop Header: Depth=2
                                        ;       Child Loop BB177_109 Depth 3
	s_wait_alu 0xf1ff
	v_lshl_add_u32 v10, s34, 9, v17
	v_mov_b32_e32 v2, v23
	s_cmp_le_i32 s27, s34
	s_wait_alu 0xfffe
	s_mov_b32 s15, s14
	s_mov_b32 s35, s27
	ds_load_b64 v[0:1], v10
	s_cbranch_scc1 .LBB177_110
.LBB177_109:                            ;   Parent Loop BB177_3 Depth=1
                                        ;     Parent Loop BB177_108 Depth=2
                                        ; =>    This Inner Loop Header: Depth=3
	s_wait_alu 0xfffe
	v_mov_b32_e32 v3, s15
	s_add_co_i32 s35, s35, -1
	s_add_co_i32 s15, s15, -8
	s_wait_alu 0xfffe
	s_cmp_le_u32 s35, s34
	ds_load_b64 v[8:9], v2
	ds_load_b64 v[11:12], v3
	s_wait_dscnt 0x0
	v_dual_mul_f32 v3, v12, v9 :: v_dual_add_nc_u32 v2, 0xfffffe00, v2
	s_delay_alu instid0(VALU_DEP_1) | instskip(NEXT) | instid1(VALU_DEP_1)
	v_fma_f32 v3, v11, v8, -v3
	v_dual_mul_f32 v9, v11, v9 :: v_dual_sub_f32 v0, v0, v3
	s_delay_alu instid0(VALU_DEP_1) | instskip(NEXT) | instid1(VALU_DEP_1)
	v_fmac_f32_e32 v9, v12, v8
	v_sub_f32_e32 v1, v1, v9
	s_cbranch_scc0 .LBB177_109
.LBB177_110:                            ;   in Loop: Header=BB177_108 Depth=2
	s_mul_i32 s15, s34, 0x208
	s_wait_alu 0xfffe
	v_mov_b32_e32 v2, s15
	s_mov_b32 s15, -1
	ds_load_b64 v[2:3], v2
	s_wait_dscnt 0x0
	v_and_b32_e32 v8, 0x7fffffff, v2
	v_and_b32_e32 v9, 0x7fffffff, v3
	s_delay_alu instid0(VALU_DEP_1)
	v_cmp_ngt_f32_e32 vcc_lo, v8, v9
                                        ; implicit-def: $vgpr8
	s_cbranch_vccz .LBB177_112
; %bb.111:                              ;   in Loop: Header=BB177_108 Depth=2
	v_div_scale_f32 v8, null, v3, v3, v2
	v_div_scale_f32 v12, vcc_lo, v2, v3, v2
	s_mov_b32 s15, 0
	v_rcp_f32_e32 v9, v8
	v_xor_b32_e32 v8, 0x80000000, v8
	s_delay_alu instid0(TRANS32_DEP_1) | instid1(VALU_DEP_1)
	v_fma_f32 v11, v8, v9, 1.0
	s_delay_alu instid0(VALU_DEP_1) | instskip(NEXT) | instid1(VALU_DEP_1)
	v_fmac_f32_e32 v9, v11, v9
	v_mul_f32_e32 v11, v12, v9
	s_delay_alu instid0(VALU_DEP_1) | instskip(NEXT) | instid1(VALU_DEP_1)
	v_fma_f32 v13, v8, v11, v12
	v_fmac_f32_e32 v11, v13, v9
	s_delay_alu instid0(VALU_DEP_1) | instskip(SKIP_1) | instid1(VALU_DEP_1)
	v_fmac_f32_e32 v12, v8, v11
	s_wait_alu 0xfffd
	v_div_fmas_f32 v8, v12, v9, v11
	s_delay_alu instid0(VALU_DEP_1) | instskip(NEXT) | instid1(VALU_DEP_1)
	v_div_fixup_f32 v8, v8, v3, v2
	v_fma_f32 v9, v2, v8, v3
	s_delay_alu instid0(VALU_DEP_1) | instskip(SKIP_1) | instid1(VALU_DEP_2)
	v_div_scale_f32 v11, null, v9, v9, 1.0
	v_div_scale_f32 v14, vcc_lo, 1.0, v9, 1.0
	v_rcp_f32_e32 v12, v11
	v_xor_b32_e32 v11, 0x80000000, v11
	s_delay_alu instid0(TRANS32_DEP_1) | instid1(VALU_DEP_1)
	v_fma_f32 v13, v11, v12, 1.0
	s_delay_alu instid0(VALU_DEP_1) | instskip(NEXT) | instid1(VALU_DEP_1)
	v_fmac_f32_e32 v12, v13, v12
	v_mul_f32_e32 v13, v14, v12
	s_delay_alu instid0(VALU_DEP_1) | instskip(NEXT) | instid1(VALU_DEP_1)
	v_fma_f32 v15, v11, v13, v14
	v_fmac_f32_e32 v13, v15, v12
	s_delay_alu instid0(VALU_DEP_1) | instskip(SKIP_1) | instid1(VALU_DEP_1)
	v_fmac_f32_e32 v14, v11, v13
	s_wait_alu 0xfffd
	v_div_fmas_f32 v11, v14, v12, v13
	v_fma_f32 v12, v0, v8, v1
	s_delay_alu instid0(VALU_DEP_2) | instskip(SKIP_1) | instid1(VALU_DEP_2)
	v_div_fixup_f32 v9, v11, v9, 1.0
	v_fma_f32 v11, v1, v8, -v0
	v_mul_f32_e32 v8, v12, v9
	s_delay_alu instid0(VALU_DEP_2)
	v_mul_f32_e32 v9, v11, v9
.LBB177_112:                            ;   in Loop: Header=BB177_108 Depth=2
	s_wait_alu 0xfffe
	s_and_not1_b32 vcc_lo, exec_lo, s15
	s_wait_alu 0xfffe
	s_cbranch_vccnz .LBB177_107
; %bb.113:                              ;   in Loop: Header=BB177_108 Depth=2
	v_div_scale_f32 v8, null, v2, v2, v3
	v_div_scale_f32 v12, vcc_lo, v3, v2, v3
	s_delay_alu instid0(VALU_DEP_2)
	v_rcp_f32_e32 v9, v8
	v_xor_b32_e32 v8, 0x80000000, v8
	s_delay_alu instid0(TRANS32_DEP_1) | instid1(VALU_DEP_1)
	v_fma_f32 v11, v8, v9, 1.0
	s_delay_alu instid0(VALU_DEP_1) | instskip(NEXT) | instid1(VALU_DEP_1)
	v_fmac_f32_e32 v9, v11, v9
	v_mul_f32_e32 v11, v12, v9
	s_delay_alu instid0(VALU_DEP_1) | instskip(NEXT) | instid1(VALU_DEP_1)
	v_fma_f32 v13, v8, v11, v12
	v_fmac_f32_e32 v11, v13, v9
	s_delay_alu instid0(VALU_DEP_1) | instskip(SKIP_1) | instid1(VALU_DEP_1)
	v_fmac_f32_e32 v12, v8, v11
	s_wait_alu 0xfffd
	v_div_fmas_f32 v8, v12, v9, v11
	s_delay_alu instid0(VALU_DEP_1) | instskip(NEXT) | instid1(VALU_DEP_1)
	v_div_fixup_f32 v8, v8, v2, v3
	v_fmac_f32_e32 v2, v3, v8
	s_delay_alu instid0(VALU_DEP_1) | instskip(SKIP_1) | instid1(VALU_DEP_2)
	v_div_scale_f32 v3, null, v2, v2, 1.0
	v_div_scale_f32 v12, vcc_lo, 1.0, v2, 1.0
	v_rcp_f32_e32 v9, v3
	v_xor_b32_e32 v3, 0x80000000, v3
	s_delay_alu instid0(TRANS32_DEP_1) | instid1(VALU_DEP_1)
	v_fma_f32 v11, v3, v9, 1.0
	s_delay_alu instid0(VALU_DEP_1) | instskip(NEXT) | instid1(VALU_DEP_1)
	v_fmac_f32_e32 v9, v11, v9
	v_mul_f32_e32 v11, v12, v9
	s_delay_alu instid0(VALU_DEP_1) | instskip(NEXT) | instid1(VALU_DEP_1)
	v_fma_f32 v13, v3, v11, v12
	v_fmac_f32_e32 v11, v13, v9
	s_delay_alu instid0(VALU_DEP_1) | instskip(SKIP_1) | instid1(VALU_DEP_1)
	v_fmac_f32_e32 v12, v3, v11
	s_wait_alu 0xfffd
	v_div_fmas_f32 v3, v12, v9, v11
	v_fma_f32 v9, v1, v8, v0
	v_fma_f32 v0, -v0, v8, v1
	s_delay_alu instid0(VALU_DEP_3) | instskip(NEXT) | instid1(VALU_DEP_1)
	v_div_fixup_f32 v2, v3, v2, 1.0
	v_mul_f32_e32 v8, v9, v2
	s_delay_alu instid0(VALU_DEP_3)
	v_mul_f32_e32 v9, v0, v2
	s_branch .LBB177_107
.LBB177_114:                            ;   in Loop: Header=BB177_3 Depth=1
	s_mov_b32 s14, 0
.LBB177_115:                            ;   in Loop: Header=BB177_3 Depth=1
	s_wait_alu 0xfffe
	s_and_not1_b32 vcc_lo, exec_lo, s14
	s_wait_alu 0xfffe
	s_cbranch_vccnz .LBB177_147
; %bb.116:                              ;   in Loop: Header=BB177_3 Depth=1
	s_and_not1_b32 vcc_lo, exec_lo, s31
	s_mov_b32 s34, 0
	s_wait_alu 0xfffe
	s_cbranch_vccnz .LBB177_138
; %bb.117:                              ;   in Loop: Header=BB177_3 Depth=1
	s_mov_b32 s14, 0
	s_mov_b32 s15, 0
.LBB177_118:                            ;   Parent Loop BB177_3 Depth=1
                                        ; =>  This Loop Header: Depth=2
                                        ;       Child Loop BB177_119 Depth 3
	s_wait_alu 0xfffe
	s_or_b32 s36, s15, 1
	v_lshl_add_u32 v29, s15, 9, v17
	s_or_b32 s34, s15, 2
	s_or_b32 s35, s15, 3
	s_wait_alu 0xfffe
	v_lshl_add_u32 v28, s36, 9, v17
	v_lshl_add_u32 v27, s34, 9, v17
	;; [unrolled: 1-line block ×3, first 2 shown]
	ds_load_b64 v[0:1], v29
	ds_load_b64 v[14:15], v28
	;; [unrolled: 1-line block ×4, first 2 shown]
	v_mov_b32_e32 v2, v17
	s_cmp_eq_u32 s15, 0
	s_mov_b32 s37, s14
	s_mov_b32 s38, s15
	s_cbranch_scc1 .LBB177_120
.LBB177_119:                            ;   Parent Loop BB177_3 Depth=1
                                        ;     Parent Loop BB177_118 Depth=2
                                        ; =>    This Inner Loop Header: Depth=3
	s_wait_alu 0xfffe
	v_mov_b32_e32 v3, s37
	s_add_co_i32 s38, s38, -1
	s_add_co_i32 s37, s37, 8
	s_wait_alu 0xfffe
	s_cmp_eq_u32 s38, 0
	ds_load_b64 v[12:13], v2
	ds_load_2addr_stride64_b64 v[30:33], v3 offset1:1
	ds_load_2addr_stride64_b64 v[34:37], v3 offset0:2 offset1:3
	s_wait_dscnt 0x1
	v_dual_mul_f32 v3, v31, v13 :: v_dual_add_nc_u32 v2, 0x200, v2
	v_mul_f32_e32 v38, v30, v13
	s_wait_dscnt 0x0
	v_mul_f32_e32 v40, v35, v13
	v_mul_f32_e32 v39, v33, v13
	;; [unrolled: 1-line block ×5, first 2 shown]
	v_fma_f32 v3, v30, v12, -v3
	v_mul_f32_e32 v35, v35, v12
	v_fmac_f32_e32 v38, v31, v12
	v_fma_f32 v31, v34, v12, -v40
	v_fma_f32 v30, v32, v12, -v39
	v_fmac_f32_e32 v33, v32, v13
	v_fmac_f32_e32 v37, v36, v13
	v_sub_f32_e32 v0, v0, v3
	v_sub_f32_e32 v10, v10, v31
	v_fma_f32 v12, v36, v12, -v41
	v_fmac_f32_e32 v35, v34, v13
	v_sub_f32_e32 v1, v1, v38
	v_dual_sub_f32 v14, v14, v30 :: v_dual_sub_f32 v15, v15, v33
	s_delay_alu instid0(VALU_DEP_3)
	v_dual_sub_f32 v8, v8, v12 :: v_dual_sub_f32 v11, v11, v35
	v_sub_f32_e32 v9, v9, v37
	s_cbranch_scc0 .LBB177_119
.LBB177_120:                            ;   in Loop: Header=BB177_118 Depth=2
	s_mul_i32 s38, s15, 0x208
	s_lshl_b32 s36, s36, 6
	s_wait_alu 0xfffe
	v_mov_b32_e32 v2, s38
	s_lshl_b32 s37, s34, 6
	s_lshl_b32 s35, s35, 6
	s_mov_b32 s38, -1
	ds_load_b64 v[2:3], v2
	s_wait_dscnt 0x0
	v_and_b32_e32 v12, 0x7fffffff, v2
	v_and_b32_e32 v13, 0x7fffffff, v3
	s_delay_alu instid0(VALU_DEP_1)
	v_cmp_ngt_f32_e32 vcc_lo, v12, v13
                                        ; implicit-def: $vgpr13
	s_cbranch_vccz .LBB177_122
; %bb.121:                              ;   in Loop: Header=BB177_118 Depth=2
	v_div_scale_f32 v12, null, v3, v3, v2
	v_div_scale_f32 v31, vcc_lo, v2, v3, v2
	s_mov_b32 s38, 0
	v_rcp_f32_e32 v13, v12
	v_xor_b32_e32 v12, 0x80000000, v12
	s_delay_alu instid0(TRANS32_DEP_1) | instid1(VALU_DEP_1)
	v_fma_f32 v30, v12, v13, 1.0
	s_delay_alu instid0(VALU_DEP_1) | instskip(NEXT) | instid1(VALU_DEP_1)
	v_fmac_f32_e32 v13, v30, v13
	v_mul_f32_e32 v30, v31, v13
	s_delay_alu instid0(VALU_DEP_1) | instskip(NEXT) | instid1(VALU_DEP_1)
	v_fma_f32 v32, v12, v30, v31
	v_fmac_f32_e32 v30, v32, v13
	s_delay_alu instid0(VALU_DEP_1) | instskip(SKIP_1) | instid1(VALU_DEP_1)
	v_fmac_f32_e32 v31, v12, v30
	s_wait_alu 0xfffd
	v_div_fmas_f32 v12, v31, v13, v30
	s_delay_alu instid0(VALU_DEP_1) | instskip(NEXT) | instid1(VALU_DEP_1)
	v_div_fixup_f32 v12, v12, v3, v2
	v_fma_f32 v13, v2, v12, v3
	s_delay_alu instid0(VALU_DEP_1) | instskip(SKIP_1) | instid1(VALU_DEP_2)
	v_div_scale_f32 v30, null, v13, v13, 1.0
	v_div_scale_f32 v33, vcc_lo, 1.0, v13, 1.0
	v_rcp_f32_e32 v31, v30
	v_xor_b32_e32 v30, 0x80000000, v30
	s_delay_alu instid0(TRANS32_DEP_1) | instid1(VALU_DEP_1)
	v_fma_f32 v32, v30, v31, 1.0
	s_delay_alu instid0(VALU_DEP_1) | instskip(NEXT) | instid1(VALU_DEP_1)
	v_fmac_f32_e32 v31, v32, v31
	v_mul_f32_e32 v32, v33, v31
	s_delay_alu instid0(VALU_DEP_1) | instskip(NEXT) | instid1(VALU_DEP_1)
	v_fma_f32 v34, v30, v32, v33
	v_fmac_f32_e32 v32, v34, v31
	s_delay_alu instid0(VALU_DEP_1) | instskip(SKIP_1) | instid1(VALU_DEP_1)
	v_fmac_f32_e32 v33, v30, v32
	s_wait_alu 0xfffd
	v_div_fmas_f32 v30, v33, v31, v32
	v_fma_f32 v31, v0, v12, v1
	s_delay_alu instid0(VALU_DEP_2) | instskip(SKIP_1) | instid1(VALU_DEP_2)
	v_div_fixup_f32 v13, v30, v13, 1.0
	v_fma_f32 v30, v1, v12, -v0
	v_mul_f32_e32 v12, v31, v13
	s_delay_alu instid0(VALU_DEP_2)
	v_mul_f32_e32 v13, v30, v13
.LBB177_122:                            ;   in Loop: Header=BB177_118 Depth=2
	s_wait_alu 0xfffe
	s_and_not1_b32 vcc_lo, exec_lo, s38
	s_wait_alu 0xfffe
	s_cbranch_vccnz .LBB177_124
; %bb.123:                              ;   in Loop: Header=BB177_118 Depth=2
	v_div_scale_f32 v12, null, v2, v2, v3
	v_div_scale_f32 v31, vcc_lo, v3, v2, v3
	s_delay_alu instid0(VALU_DEP_2)
	v_rcp_f32_e32 v13, v12
	v_xor_b32_e32 v12, 0x80000000, v12
	s_delay_alu instid0(TRANS32_DEP_1) | instid1(VALU_DEP_1)
	v_fma_f32 v30, v12, v13, 1.0
	s_delay_alu instid0(VALU_DEP_1) | instskip(NEXT) | instid1(VALU_DEP_1)
	v_fmac_f32_e32 v13, v30, v13
	v_mul_f32_e32 v30, v31, v13
	s_delay_alu instid0(VALU_DEP_1) | instskip(NEXT) | instid1(VALU_DEP_1)
	v_fma_f32 v32, v12, v30, v31
	v_fmac_f32_e32 v30, v32, v13
	s_delay_alu instid0(VALU_DEP_1) | instskip(SKIP_1) | instid1(VALU_DEP_1)
	v_fmac_f32_e32 v31, v12, v30
	s_wait_alu 0xfffd
	v_div_fmas_f32 v12, v31, v13, v30
	s_delay_alu instid0(VALU_DEP_1) | instskip(NEXT) | instid1(VALU_DEP_1)
	v_div_fixup_f32 v12, v12, v2, v3
	v_fmac_f32_e32 v2, v3, v12
	s_delay_alu instid0(VALU_DEP_1) | instskip(SKIP_1) | instid1(VALU_DEP_2)
	v_div_scale_f32 v3, null, v2, v2, 1.0
	v_div_scale_f32 v31, vcc_lo, 1.0, v2, 1.0
	v_rcp_f32_e32 v13, v3
	v_xor_b32_e32 v3, 0x80000000, v3
	s_delay_alu instid0(TRANS32_DEP_1) | instid1(VALU_DEP_1)
	v_fma_f32 v30, v3, v13, 1.0
	s_delay_alu instid0(VALU_DEP_1) | instskip(NEXT) | instid1(VALU_DEP_1)
	v_fmac_f32_e32 v13, v30, v13
	v_mul_f32_e32 v30, v31, v13
	s_delay_alu instid0(VALU_DEP_1) | instskip(NEXT) | instid1(VALU_DEP_1)
	v_fma_f32 v32, v3, v30, v31
	v_fmac_f32_e32 v30, v32, v13
	s_delay_alu instid0(VALU_DEP_1) | instskip(SKIP_1) | instid1(VALU_DEP_1)
	v_fmac_f32_e32 v31, v3, v30
	s_wait_alu 0xfffd
	v_div_fmas_f32 v3, v31, v13, v30
	v_fma_f32 v13, v1, v12, v0
	v_fma_f32 v0, -v0, v12, v1
	s_delay_alu instid0(VALU_DEP_3) | instskip(NEXT) | instid1(VALU_DEP_1)
	v_div_fixup_f32 v2, v3, v2, 1.0
	v_mul_f32_e32 v12, v13, v2
	s_delay_alu instid0(VALU_DEP_3)
	v_mul_f32_e32 v13, v0, v2
.LBB177_124:                            ;   in Loop: Header=BB177_118 Depth=2
	s_lshl_b32 s38, s36, 3
	s_lshl_b32 s36, s15, 3
	ds_store_b64 v29, v[12:13]
	s_wait_alu 0xfffe
	s_add_co_i32 s38, s38, s36
	s_wait_alu 0xfffe
	v_mov_b32_e32 v0, s38
	s_mov_b32 s38, -1
	ds_load_b128 v[0:3], v0
	s_wait_dscnt 0x0
	v_dual_mul_f32 v30, v13, v1 :: v_dual_and_b32 v31, 0x7fffffff, v2
	v_dual_mul_f32 v1, v12, v1 :: v_dual_and_b32 v32, 0x7fffffff, v3
	s_delay_alu instid0(VALU_DEP_2) | instskip(NEXT) | instid1(VALU_DEP_2)
	v_fma_f32 v30, v12, v0, -v30
	v_fmac_f32_e32 v1, v13, v0
	s_delay_alu instid0(VALU_DEP_3) | instskip(NEXT) | instid1(VALU_DEP_2)
	v_cmp_ngt_f32_e32 vcc_lo, v31, v32
	v_dual_sub_f32 v0, v14, v30 :: v_dual_sub_f32 v1, v15, v1
                                        ; implicit-def: $vgpr15
	s_cbranch_vccz .LBB177_126
; %bb.125:                              ;   in Loop: Header=BB177_118 Depth=2
	v_div_scale_f32 v14, null, v3, v3, v2
	v_div_scale_f32 v30, vcc_lo, v2, v3, v2
	s_mov_b32 s38, 0
	v_rcp_f32_e32 v15, v14
	v_xor_b32_e32 v14, 0x80000000, v14
	s_delay_alu instid0(TRANS32_DEP_1) | instid1(VALU_DEP_1)
	v_fma_f32 v29, v14, v15, 1.0
	s_delay_alu instid0(VALU_DEP_1) | instskip(NEXT) | instid1(VALU_DEP_1)
	v_fmac_f32_e32 v15, v29, v15
	v_mul_f32_e32 v29, v30, v15
	s_delay_alu instid0(VALU_DEP_1) | instskip(NEXT) | instid1(VALU_DEP_1)
	v_fma_f32 v31, v14, v29, v30
	v_fmac_f32_e32 v29, v31, v15
	s_delay_alu instid0(VALU_DEP_1) | instskip(SKIP_1) | instid1(VALU_DEP_1)
	v_fmac_f32_e32 v30, v14, v29
	s_wait_alu 0xfffd
	v_div_fmas_f32 v14, v30, v15, v29
	s_delay_alu instid0(VALU_DEP_1) | instskip(NEXT) | instid1(VALU_DEP_1)
	v_div_fixup_f32 v14, v14, v3, v2
	v_fma_f32 v15, v2, v14, v3
	s_delay_alu instid0(VALU_DEP_1) | instskip(SKIP_1) | instid1(VALU_DEP_2)
	v_div_scale_f32 v29, null, v15, v15, 1.0
	v_div_scale_f32 v32, vcc_lo, 1.0, v15, 1.0
	v_rcp_f32_e32 v30, v29
	v_xor_b32_e32 v29, 0x80000000, v29
	s_delay_alu instid0(TRANS32_DEP_1) | instid1(VALU_DEP_1)
	v_fma_f32 v31, v29, v30, 1.0
	s_delay_alu instid0(VALU_DEP_1) | instskip(NEXT) | instid1(VALU_DEP_1)
	v_fmac_f32_e32 v30, v31, v30
	v_mul_f32_e32 v31, v32, v30
	s_delay_alu instid0(VALU_DEP_1) | instskip(NEXT) | instid1(VALU_DEP_1)
	v_fma_f32 v33, v29, v31, v32
	v_fmac_f32_e32 v31, v33, v30
	s_delay_alu instid0(VALU_DEP_1) | instskip(SKIP_1) | instid1(VALU_DEP_1)
	v_fmac_f32_e32 v32, v29, v31
	s_wait_alu 0xfffd
	v_div_fmas_f32 v29, v32, v30, v31
	v_fma_f32 v30, v14, v0, v1
	s_delay_alu instid0(VALU_DEP_2) | instskip(SKIP_1) | instid1(VALU_DEP_2)
	v_div_fixup_f32 v15, v29, v15, 1.0
	v_fma_f32 v29, v14, v1, -v0
	v_mul_f32_e32 v14, v30, v15
	s_delay_alu instid0(VALU_DEP_2)
	v_mul_f32_e32 v15, v29, v15
.LBB177_126:                            ;   in Loop: Header=BB177_118 Depth=2
	s_wait_alu 0xfffe
	s_and_not1_b32 vcc_lo, exec_lo, s38
	s_wait_alu 0xfffe
	s_cbranch_vccnz .LBB177_128
; %bb.127:                              ;   in Loop: Header=BB177_118 Depth=2
	v_div_scale_f32 v14, null, v2, v2, v3
	v_div_scale_f32 v30, vcc_lo, v3, v2, v3
	s_delay_alu instid0(VALU_DEP_2)
	v_rcp_f32_e32 v15, v14
	v_xor_b32_e32 v14, 0x80000000, v14
	s_delay_alu instid0(TRANS32_DEP_1) | instid1(VALU_DEP_1)
	v_fma_f32 v29, v14, v15, 1.0
	s_delay_alu instid0(VALU_DEP_1) | instskip(NEXT) | instid1(VALU_DEP_1)
	v_fmac_f32_e32 v15, v29, v15
	v_mul_f32_e32 v29, v30, v15
	s_delay_alu instid0(VALU_DEP_1) | instskip(NEXT) | instid1(VALU_DEP_1)
	v_fma_f32 v31, v14, v29, v30
	v_fmac_f32_e32 v29, v31, v15
	s_delay_alu instid0(VALU_DEP_1) | instskip(SKIP_1) | instid1(VALU_DEP_1)
	v_fmac_f32_e32 v30, v14, v29
	s_wait_alu 0xfffd
	v_div_fmas_f32 v14, v30, v15, v29
	s_delay_alu instid0(VALU_DEP_1) | instskip(NEXT) | instid1(VALU_DEP_1)
	v_div_fixup_f32 v14, v14, v2, v3
	v_fmac_f32_e32 v2, v3, v14
	s_delay_alu instid0(VALU_DEP_1) | instskip(SKIP_1) | instid1(VALU_DEP_2)
	v_div_scale_f32 v3, null, v2, v2, 1.0
	v_div_scale_f32 v30, vcc_lo, 1.0, v2, 1.0
	v_rcp_f32_e32 v15, v3
	v_xor_b32_e32 v3, 0x80000000, v3
	s_delay_alu instid0(TRANS32_DEP_1) | instid1(VALU_DEP_1)
	v_fma_f32 v29, v3, v15, 1.0
	s_delay_alu instid0(VALU_DEP_1) | instskip(NEXT) | instid1(VALU_DEP_1)
	v_fmac_f32_e32 v15, v29, v15
	v_mul_f32_e32 v29, v30, v15
	s_delay_alu instid0(VALU_DEP_1) | instskip(NEXT) | instid1(VALU_DEP_1)
	v_fma_f32 v31, v3, v29, v30
	v_fmac_f32_e32 v29, v31, v15
	s_delay_alu instid0(VALU_DEP_1) | instskip(SKIP_1) | instid1(VALU_DEP_1)
	v_fmac_f32_e32 v30, v3, v29
	s_wait_alu 0xfffd
	v_div_fmas_f32 v3, v30, v15, v29
	v_fma_f32 v15, v14, v1, v0
	v_fma_f32 v0, -v14, v0, v1
	s_delay_alu instid0(VALU_DEP_3) | instskip(NEXT) | instid1(VALU_DEP_1)
	v_div_fixup_f32 v2, v3, v2, 1.0
	v_mul_f32_e32 v14, v15, v2
	s_delay_alu instid0(VALU_DEP_3)
	v_mul_f32_e32 v15, v0, v2
.LBB177_128:                            ;   in Loop: Header=BB177_118 Depth=2
	s_lshl_b32 s37, s37, 3
	s_lshl_b32 s34, s34, 3
	s_wait_alu 0xfffe
	s_add_co_i32 s38, s37, s36
	s_add_co_i32 s34, s37, s34
	s_wait_alu 0xfffe
	v_dual_mov_b32 v0, s38 :: v_dual_mov_b32 v1, s34
	s_mov_b32 s34, -1
	ds_load_b128 v[29:32], v0
	ds_load_b64 v[0:1], v1
	ds_store_b64 v28, v[14:15]
	s_wait_dscnt 0x1
	v_dual_mul_f32 v2, v13, v30 :: v_dual_and_b32 v33, 0x7fffffff, v0
	v_dual_mul_f32 v3, v12, v30 :: v_dual_mul_f32 v30, v15, v32
	v_mul_f32_e32 v32, v14, v32
	s_delay_alu instid0(VALU_DEP_3) | instskip(NEXT) | instid1(VALU_DEP_3)
	v_fma_f32 v2, v12, v29, -v2
	v_fmac_f32_e32 v3, v13, v29
	s_delay_alu instid0(VALU_DEP_3) | instskip(SKIP_1) | instid1(VALU_DEP_3)
	v_dual_fmac_f32 v32, v15, v31 :: v_dual_and_b32 v29, 0x7fffffff, v1
	v_fma_f32 v30, v14, v31, -v30
	v_dual_sub_f32 v2, v10, v2 :: v_dual_sub_f32 v3, v11, v3
	s_delay_alu instid0(VALU_DEP_3) | instskip(NEXT) | instid1(VALU_DEP_2)
	v_cmp_ngt_f32_e32 vcc_lo, v33, v29
                                        ; implicit-def: $vgpr11
	v_dual_sub_f32 v2, v2, v30 :: v_dual_sub_f32 v3, v3, v32
	s_cbranch_vccz .LBB177_130
; %bb.129:                              ;   in Loop: Header=BB177_118 Depth=2
	v_div_scale_f32 v10, null, v1, v1, v0
	v_div_scale_f32 v29, vcc_lo, v0, v1, v0
	s_mov_b32 s34, 0
	v_rcp_f32_e32 v11, v10
	v_xor_b32_e32 v10, 0x80000000, v10
	s_delay_alu instid0(TRANS32_DEP_1) | instid1(VALU_DEP_1)
	v_fma_f32 v28, v10, v11, 1.0
	s_delay_alu instid0(VALU_DEP_1) | instskip(NEXT) | instid1(VALU_DEP_1)
	v_fmac_f32_e32 v11, v28, v11
	v_mul_f32_e32 v28, v29, v11
	s_delay_alu instid0(VALU_DEP_1) | instskip(NEXT) | instid1(VALU_DEP_1)
	v_fma_f32 v30, v10, v28, v29
	v_fmac_f32_e32 v28, v30, v11
	s_delay_alu instid0(VALU_DEP_1) | instskip(SKIP_1) | instid1(VALU_DEP_1)
	v_fmac_f32_e32 v29, v10, v28
	s_wait_alu 0xfffd
	v_div_fmas_f32 v10, v29, v11, v28
	s_delay_alu instid0(VALU_DEP_1) | instskip(NEXT) | instid1(VALU_DEP_1)
	v_div_fixup_f32 v10, v10, v1, v0
	v_fma_f32 v11, v0, v10, v1
	s_delay_alu instid0(VALU_DEP_1) | instskip(SKIP_1) | instid1(VALU_DEP_2)
	v_div_scale_f32 v28, null, v11, v11, 1.0
	v_div_scale_f32 v31, vcc_lo, 1.0, v11, 1.0
	v_rcp_f32_e32 v29, v28
	v_xor_b32_e32 v28, 0x80000000, v28
	s_delay_alu instid0(TRANS32_DEP_1) | instid1(VALU_DEP_1)
	v_fma_f32 v30, v28, v29, 1.0
	s_delay_alu instid0(VALU_DEP_1) | instskip(NEXT) | instid1(VALU_DEP_1)
	v_fmac_f32_e32 v29, v30, v29
	v_mul_f32_e32 v30, v31, v29
	s_delay_alu instid0(VALU_DEP_1) | instskip(NEXT) | instid1(VALU_DEP_1)
	v_fma_f32 v32, v28, v30, v31
	v_fmac_f32_e32 v30, v32, v29
	s_delay_alu instid0(VALU_DEP_1) | instskip(SKIP_1) | instid1(VALU_DEP_1)
	v_fmac_f32_e32 v31, v28, v30
	s_wait_alu 0xfffd
	v_div_fmas_f32 v28, v31, v29, v30
	v_fma_f32 v29, v10, v2, v3
	s_delay_alu instid0(VALU_DEP_2) | instskip(SKIP_1) | instid1(VALU_DEP_2)
	v_div_fixup_f32 v11, v28, v11, 1.0
	v_fma_f32 v28, v10, v3, -v2
	v_mul_f32_e32 v10, v29, v11
	s_delay_alu instid0(VALU_DEP_2)
	v_mul_f32_e32 v11, v28, v11
.LBB177_130:                            ;   in Loop: Header=BB177_118 Depth=2
	s_wait_alu 0xfffe
	s_and_not1_b32 vcc_lo, exec_lo, s34
	s_wait_alu 0xfffe
	s_cbranch_vccnz .LBB177_132
; %bb.131:                              ;   in Loop: Header=BB177_118 Depth=2
	v_div_scale_f32 v10, null, v0, v0, v1
	v_div_scale_f32 v29, vcc_lo, v1, v0, v1
	s_delay_alu instid0(VALU_DEP_2)
	v_rcp_f32_e32 v11, v10
	v_xor_b32_e32 v10, 0x80000000, v10
	s_delay_alu instid0(TRANS32_DEP_1) | instid1(VALU_DEP_1)
	v_fma_f32 v28, v10, v11, 1.0
	s_delay_alu instid0(VALU_DEP_1) | instskip(NEXT) | instid1(VALU_DEP_1)
	v_fmac_f32_e32 v11, v28, v11
	v_mul_f32_e32 v28, v29, v11
	s_delay_alu instid0(VALU_DEP_1) | instskip(NEXT) | instid1(VALU_DEP_1)
	v_fma_f32 v30, v10, v28, v29
	v_fmac_f32_e32 v28, v30, v11
	s_delay_alu instid0(VALU_DEP_1) | instskip(SKIP_1) | instid1(VALU_DEP_1)
	v_fmac_f32_e32 v29, v10, v28
	s_wait_alu 0xfffd
	v_div_fmas_f32 v10, v29, v11, v28
	s_delay_alu instid0(VALU_DEP_1) | instskip(NEXT) | instid1(VALU_DEP_1)
	v_div_fixup_f32 v10, v10, v0, v1
	v_fmac_f32_e32 v0, v1, v10
	s_delay_alu instid0(VALU_DEP_1) | instskip(SKIP_1) | instid1(VALU_DEP_2)
	v_div_scale_f32 v1, null, v0, v0, 1.0
	v_div_scale_f32 v29, vcc_lo, 1.0, v0, 1.0
	v_rcp_f32_e32 v11, v1
	v_xor_b32_e32 v1, 0x80000000, v1
	s_delay_alu instid0(TRANS32_DEP_1) | instid1(VALU_DEP_1)
	v_fma_f32 v28, v1, v11, 1.0
	s_delay_alu instid0(VALU_DEP_1) | instskip(NEXT) | instid1(VALU_DEP_1)
	v_fmac_f32_e32 v11, v28, v11
	v_mul_f32_e32 v28, v29, v11
	s_delay_alu instid0(VALU_DEP_1) | instskip(NEXT) | instid1(VALU_DEP_1)
	v_fma_f32 v30, v1, v28, v29
	v_fmac_f32_e32 v28, v30, v11
	s_delay_alu instid0(VALU_DEP_1) | instskip(SKIP_1) | instid1(VALU_DEP_1)
	v_fmac_f32_e32 v29, v1, v28
	s_wait_alu 0xfffd
	v_div_fmas_f32 v1, v29, v11, v28
	v_fma_f32 v11, v10, v3, v2
	s_delay_alu instid0(VALU_DEP_2) | instskip(SKIP_1) | instid1(VALU_DEP_2)
	v_div_fixup_f32 v0, v1, v0, 1.0
	v_fma_f32 v1, -v10, v2, v3
	v_mul_f32_e32 v10, v11, v0
	s_delay_alu instid0(VALU_DEP_2)
	v_mul_f32_e32 v11, v1, v0
.LBB177_132:                            ;   in Loop: Header=BB177_118 Depth=2
	s_lshl_b32 s34, s35, 3
	s_wait_alu 0xfffe
	s_add_co_i32 s34, s34, s36
	s_wait_alu 0xfffe
	v_mov_b32_e32 v0, s34
	s_mov_b32 s34, -1
	ds_load_b128 v[28:31], v0
	ds_load_b128 v[0:3], v0 offset:16
	ds_store_b64 v27, v[10:11]
	s_wait_dscnt 0x2
	v_dual_mul_f32 v32, v13, v29 :: v_dual_mul_f32 v33, v15, v31
	v_mul_f32_e32 v29, v12, v29
	s_wait_dscnt 0x1
	v_dual_mul_f32 v31, v14, v31 :: v_dual_mul_f32 v34, v11, v1
	s_delay_alu instid0(VALU_DEP_3) | instskip(SKIP_3) | instid1(VALU_DEP_4)
	v_fma_f32 v12, v12, v28, -v32
	v_mul_f32_e32 v1, v10, v1
	v_fmac_f32_e32 v29, v13, v28
	v_fma_f32 v14, v14, v30, -v33
	v_dual_fmac_f32 v31, v15, v30 :: v_dual_sub_f32 v8, v8, v12
	s_delay_alu instid0(VALU_DEP_3) | instskip(SKIP_1) | instid1(VALU_DEP_3)
	v_dual_sub_f32 v9, v9, v29 :: v_dual_and_b32 v12, 0x7fffffff, v3
	v_fma_f32 v15, v10, v0, -v34
	v_dual_fmac_f32 v1, v11, v0 :: v_dual_sub_f32 v0, v8, v14
	v_and_b32_e32 v13, 0x7fffffff, v2
	s_delay_alu instid0(VALU_DEP_4) | instskip(NEXT) | instid1(VALU_DEP_3)
	v_sub_f32_e32 v9, v9, v31
	v_sub_f32_e32 v8, v0, v15
	s_delay_alu instid0(VALU_DEP_3) | instskip(NEXT) | instid1(VALU_DEP_3)
	v_cmp_ngt_f32_e32 vcc_lo, v13, v12
	v_sub_f32_e32 v9, v9, v1
                                        ; implicit-def: $vgpr1
	s_cbranch_vccz .LBB177_134
; %bb.133:                              ;   in Loop: Header=BB177_118 Depth=2
	v_div_scale_f32 v0, null, v3, v3, v2
	v_div_scale_f32 v11, vcc_lo, v2, v3, v2
	s_mov_b32 s34, 0
	v_rcp_f32_e32 v1, v0
	v_xor_b32_e32 v0, 0x80000000, v0
	s_delay_alu instid0(TRANS32_DEP_1) | instid1(VALU_DEP_1)
	v_fma_f32 v10, v0, v1, 1.0
	s_delay_alu instid0(VALU_DEP_1) | instskip(NEXT) | instid1(VALU_DEP_1)
	v_fmac_f32_e32 v1, v10, v1
	v_mul_f32_e32 v10, v11, v1
	s_delay_alu instid0(VALU_DEP_1) | instskip(NEXT) | instid1(VALU_DEP_1)
	v_fma_f32 v12, v0, v10, v11
	v_fmac_f32_e32 v10, v12, v1
	s_delay_alu instid0(VALU_DEP_1) | instskip(SKIP_1) | instid1(VALU_DEP_1)
	v_fmac_f32_e32 v11, v0, v10
	s_wait_alu 0xfffd
	v_div_fmas_f32 v0, v11, v1, v10
	s_delay_alu instid0(VALU_DEP_1) | instskip(NEXT) | instid1(VALU_DEP_1)
	v_div_fixup_f32 v0, v0, v3, v2
	v_fma_f32 v1, v2, v0, v3
	s_delay_alu instid0(VALU_DEP_1) | instskip(SKIP_1) | instid1(VALU_DEP_2)
	v_div_scale_f32 v10, null, v1, v1, 1.0
	v_div_scale_f32 v13, vcc_lo, 1.0, v1, 1.0
	v_rcp_f32_e32 v11, v10
	v_xor_b32_e32 v10, 0x80000000, v10
	s_delay_alu instid0(TRANS32_DEP_1) | instid1(VALU_DEP_1)
	v_fma_f32 v12, v10, v11, 1.0
	s_delay_alu instid0(VALU_DEP_1) | instskip(NEXT) | instid1(VALU_DEP_1)
	v_fmac_f32_e32 v11, v12, v11
	v_mul_f32_e32 v12, v13, v11
	s_delay_alu instid0(VALU_DEP_1) | instskip(NEXT) | instid1(VALU_DEP_1)
	v_fma_f32 v14, v10, v12, v13
	v_fmac_f32_e32 v12, v14, v11
	s_delay_alu instid0(VALU_DEP_1) | instskip(SKIP_1) | instid1(VALU_DEP_1)
	v_fmac_f32_e32 v13, v10, v12
	s_wait_alu 0xfffd
	v_div_fmas_f32 v10, v13, v11, v12
	v_fma_f32 v11, v0, v8, v9
	s_delay_alu instid0(VALU_DEP_2) | instskip(SKIP_1) | instid1(VALU_DEP_2)
	v_div_fixup_f32 v1, v10, v1, 1.0
	v_fma_f32 v10, v0, v9, -v8
	v_mul_f32_e32 v0, v11, v1
	s_delay_alu instid0(VALU_DEP_2)
	v_mul_f32_e32 v1, v10, v1
.LBB177_134:                            ;   in Loop: Header=BB177_118 Depth=2
	s_wait_alu 0xfffe
	s_and_not1_b32 vcc_lo, exec_lo, s34
	s_wait_alu 0xfffe
	s_cbranch_vccnz .LBB177_136
; %bb.135:                              ;   in Loop: Header=BB177_118 Depth=2
	v_div_scale_f32 v0, null, v2, v2, v3
	v_div_scale_f32 v11, vcc_lo, v3, v2, v3
	s_delay_alu instid0(VALU_DEP_2)
	v_rcp_f32_e32 v1, v0
	v_xor_b32_e32 v0, 0x80000000, v0
	s_delay_alu instid0(TRANS32_DEP_1) | instid1(VALU_DEP_1)
	v_fma_f32 v10, v0, v1, 1.0
	s_delay_alu instid0(VALU_DEP_1) | instskip(NEXT) | instid1(VALU_DEP_1)
	v_fmac_f32_e32 v1, v10, v1
	v_mul_f32_e32 v10, v11, v1
	s_delay_alu instid0(VALU_DEP_1) | instskip(NEXT) | instid1(VALU_DEP_1)
	v_fma_f32 v12, v0, v10, v11
	v_fmac_f32_e32 v10, v12, v1
	s_delay_alu instid0(VALU_DEP_1) | instskip(SKIP_1) | instid1(VALU_DEP_1)
	v_fmac_f32_e32 v11, v0, v10
	s_wait_alu 0xfffd
	v_div_fmas_f32 v0, v11, v1, v10
	s_delay_alu instid0(VALU_DEP_1) | instskip(NEXT) | instid1(VALU_DEP_1)
	v_div_fixup_f32 v0, v0, v2, v3
	v_fmac_f32_e32 v2, v3, v0
	s_delay_alu instid0(VALU_DEP_1) | instskip(SKIP_1) | instid1(VALU_DEP_2)
	v_div_scale_f32 v1, null, v2, v2, 1.0
	v_div_scale_f32 v11, vcc_lo, 1.0, v2, 1.0
	v_rcp_f32_e32 v3, v1
	v_xor_b32_e32 v1, 0x80000000, v1
	s_delay_alu instid0(TRANS32_DEP_1) | instid1(VALU_DEP_1)
	v_fma_f32 v10, v1, v3, 1.0
	s_delay_alu instid0(VALU_DEP_1) | instskip(NEXT) | instid1(VALU_DEP_1)
	v_fmac_f32_e32 v3, v10, v3
	v_mul_f32_e32 v10, v11, v3
	s_delay_alu instid0(VALU_DEP_1) | instskip(NEXT) | instid1(VALU_DEP_1)
	v_fma_f32 v12, v1, v10, v11
	v_fmac_f32_e32 v10, v12, v3
	s_delay_alu instid0(VALU_DEP_1) | instskip(SKIP_1) | instid1(VALU_DEP_1)
	v_fmac_f32_e32 v11, v1, v10
	s_wait_alu 0xfffd
	v_div_fmas_f32 v1, v11, v3, v10
	v_fma_f32 v3, v0, v9, v8
	s_delay_alu instid0(VALU_DEP_2) | instskip(SKIP_1) | instid1(VALU_DEP_2)
	v_div_fixup_f32 v1, v1, v2, 1.0
	v_fma_f32 v2, -v0, v8, v9
	v_mul_f32_e32 v0, v3, v1
	s_delay_alu instid0(VALU_DEP_2)
	v_mul_f32_e32 v1, v2, v1
.LBB177_136:                            ;   in Loop: Header=BB177_118 Depth=2
	s_add_co_i32 s34, s15, 4
	s_add_co_i32 s15, s15, 7
	s_addk_co_i32 s14, 0x800
	s_wait_alu 0xfffe
	s_cmp_ge_i32 s15, s26
	ds_store_b64 v26, v[0:1]
	s_cbranch_scc1 .LBB177_138
; %bb.137:                              ;   in Loop: Header=BB177_118 Depth=2
	s_mov_b32 s15, s34
	s_branch .LBB177_118
.LBB177_138:                            ;   in Loop: Header=BB177_3 Depth=1
	s_cmp_ge_i32 s34, s26
	s_cbranch_scc1 .LBB177_147
; %bb.139:                              ;   in Loop: Header=BB177_3 Depth=1
	s_lshl_b32 s14, s34, 9
	s_branch .LBB177_141
.LBB177_140:                            ;   in Loop: Header=BB177_141 Depth=2
	s_add_co_i32 s34, s34, 1
	s_addk_co_i32 s14, 0x200
	s_wait_alu 0xfffe
	s_cmp_ge_i32 s34, s26
	ds_store_b64 v10, v[8:9]
	s_cbranch_scc1 .LBB177_147
.LBB177_141:                            ;   Parent Loop BB177_3 Depth=1
                                        ; =>  This Loop Header: Depth=2
                                        ;       Child Loop BB177_142 Depth 3
	v_lshl_add_u32 v10, s34, 9, v17
	v_mov_b32_e32 v2, v17
	s_cmp_eq_u32 s34, 0
	s_wait_alu 0xfffe
	s_mov_b32 s15, s14
	s_mov_b32 s35, s34
	ds_load_b64 v[0:1], v10
	s_cbranch_scc1 .LBB177_143
.LBB177_142:                            ;   Parent Loop BB177_3 Depth=1
                                        ;     Parent Loop BB177_141 Depth=2
                                        ; =>    This Inner Loop Header: Depth=3
	s_wait_alu 0xfffe
	v_mov_b32_e32 v3, s15
	s_add_co_i32 s35, s35, -1
	s_add_co_i32 s15, s15, 8
	s_wait_alu 0xfffe
	s_cmp_eq_u32 s35, 0
	ds_load_b64 v[8:9], v2
	ds_load_b64 v[11:12], v3
	s_wait_dscnt 0x0
	v_dual_mul_f32 v3, v12, v9 :: v_dual_add_nc_u32 v2, 0x200, v2
	s_delay_alu instid0(VALU_DEP_1) | instskip(NEXT) | instid1(VALU_DEP_1)
	v_fma_f32 v3, v11, v8, -v3
	v_dual_mul_f32 v9, v11, v9 :: v_dual_sub_f32 v0, v0, v3
	s_delay_alu instid0(VALU_DEP_1) | instskip(NEXT) | instid1(VALU_DEP_1)
	v_fmac_f32_e32 v9, v12, v8
	v_sub_f32_e32 v1, v1, v9
	s_cbranch_scc0 .LBB177_142
.LBB177_143:                            ;   in Loop: Header=BB177_141 Depth=2
	s_mul_i32 s15, s34, 0x208
	s_wait_alu 0xfffe
	v_mov_b32_e32 v2, s15
	s_mov_b32 s15, -1
	ds_load_b64 v[2:3], v2
	s_wait_dscnt 0x0
	v_and_b32_e32 v8, 0x7fffffff, v2
	v_and_b32_e32 v9, 0x7fffffff, v3
	s_delay_alu instid0(VALU_DEP_1)
	v_cmp_ngt_f32_e32 vcc_lo, v8, v9
                                        ; implicit-def: $vgpr8
	s_cbranch_vccz .LBB177_145
; %bb.144:                              ;   in Loop: Header=BB177_141 Depth=2
	v_div_scale_f32 v8, null, v3, v3, v2
	v_div_scale_f32 v12, vcc_lo, v2, v3, v2
	s_mov_b32 s15, 0
	v_rcp_f32_e32 v9, v8
	v_xor_b32_e32 v8, 0x80000000, v8
	s_delay_alu instid0(TRANS32_DEP_1) | instid1(VALU_DEP_1)
	v_fma_f32 v11, v8, v9, 1.0
	s_delay_alu instid0(VALU_DEP_1) | instskip(NEXT) | instid1(VALU_DEP_1)
	v_fmac_f32_e32 v9, v11, v9
	v_mul_f32_e32 v11, v12, v9
	s_delay_alu instid0(VALU_DEP_1) | instskip(NEXT) | instid1(VALU_DEP_1)
	v_fma_f32 v13, v8, v11, v12
	v_fmac_f32_e32 v11, v13, v9
	s_delay_alu instid0(VALU_DEP_1) | instskip(SKIP_1) | instid1(VALU_DEP_1)
	v_fmac_f32_e32 v12, v8, v11
	s_wait_alu 0xfffd
	v_div_fmas_f32 v8, v12, v9, v11
	s_delay_alu instid0(VALU_DEP_1) | instskip(NEXT) | instid1(VALU_DEP_1)
	v_div_fixup_f32 v8, v8, v3, v2
	v_fma_f32 v9, v2, v8, v3
	s_delay_alu instid0(VALU_DEP_1) | instskip(SKIP_1) | instid1(VALU_DEP_2)
	v_div_scale_f32 v11, null, v9, v9, 1.0
	v_div_scale_f32 v14, vcc_lo, 1.0, v9, 1.0
	v_rcp_f32_e32 v12, v11
	v_xor_b32_e32 v11, 0x80000000, v11
	s_delay_alu instid0(TRANS32_DEP_1) | instid1(VALU_DEP_1)
	v_fma_f32 v13, v11, v12, 1.0
	s_delay_alu instid0(VALU_DEP_1) | instskip(NEXT) | instid1(VALU_DEP_1)
	v_fmac_f32_e32 v12, v13, v12
	v_mul_f32_e32 v13, v14, v12
	s_delay_alu instid0(VALU_DEP_1) | instskip(NEXT) | instid1(VALU_DEP_1)
	v_fma_f32 v15, v11, v13, v14
	v_fmac_f32_e32 v13, v15, v12
	s_delay_alu instid0(VALU_DEP_1) | instskip(SKIP_1) | instid1(VALU_DEP_1)
	v_fmac_f32_e32 v14, v11, v13
	s_wait_alu 0xfffd
	v_div_fmas_f32 v11, v14, v12, v13
	v_fma_f32 v12, v0, v8, v1
	s_delay_alu instid0(VALU_DEP_2) | instskip(SKIP_1) | instid1(VALU_DEP_2)
	v_div_fixup_f32 v9, v11, v9, 1.0
	v_fma_f32 v11, v1, v8, -v0
	v_mul_f32_e32 v8, v12, v9
	s_delay_alu instid0(VALU_DEP_2)
	v_mul_f32_e32 v9, v11, v9
.LBB177_145:                            ;   in Loop: Header=BB177_141 Depth=2
	s_wait_alu 0xfffe
	s_and_not1_b32 vcc_lo, exec_lo, s15
	s_wait_alu 0xfffe
	s_cbranch_vccnz .LBB177_140
; %bb.146:                              ;   in Loop: Header=BB177_141 Depth=2
	v_div_scale_f32 v8, null, v2, v2, v3
	v_div_scale_f32 v12, vcc_lo, v3, v2, v3
	s_delay_alu instid0(VALU_DEP_2)
	v_rcp_f32_e32 v9, v8
	v_xor_b32_e32 v8, 0x80000000, v8
	s_delay_alu instid0(TRANS32_DEP_1) | instid1(VALU_DEP_1)
	v_fma_f32 v11, v8, v9, 1.0
	s_delay_alu instid0(VALU_DEP_1) | instskip(NEXT) | instid1(VALU_DEP_1)
	v_fmac_f32_e32 v9, v11, v9
	v_mul_f32_e32 v11, v12, v9
	s_delay_alu instid0(VALU_DEP_1) | instskip(NEXT) | instid1(VALU_DEP_1)
	v_fma_f32 v13, v8, v11, v12
	v_fmac_f32_e32 v11, v13, v9
	s_delay_alu instid0(VALU_DEP_1) | instskip(SKIP_1) | instid1(VALU_DEP_1)
	v_fmac_f32_e32 v12, v8, v11
	s_wait_alu 0xfffd
	v_div_fmas_f32 v8, v12, v9, v11
	s_delay_alu instid0(VALU_DEP_1) | instskip(NEXT) | instid1(VALU_DEP_1)
	v_div_fixup_f32 v8, v8, v2, v3
	v_fmac_f32_e32 v2, v3, v8
	s_delay_alu instid0(VALU_DEP_1) | instskip(SKIP_1) | instid1(VALU_DEP_2)
	v_div_scale_f32 v3, null, v2, v2, 1.0
	v_div_scale_f32 v12, vcc_lo, 1.0, v2, 1.0
	v_rcp_f32_e32 v9, v3
	v_xor_b32_e32 v3, 0x80000000, v3
	s_delay_alu instid0(TRANS32_DEP_1) | instid1(VALU_DEP_1)
	v_fma_f32 v11, v3, v9, 1.0
	s_delay_alu instid0(VALU_DEP_1) | instskip(NEXT) | instid1(VALU_DEP_1)
	v_fmac_f32_e32 v9, v11, v9
	v_mul_f32_e32 v11, v12, v9
	s_delay_alu instid0(VALU_DEP_1) | instskip(NEXT) | instid1(VALU_DEP_1)
	v_fma_f32 v13, v3, v11, v12
	v_fmac_f32_e32 v11, v13, v9
	s_delay_alu instid0(VALU_DEP_1) | instskip(SKIP_1) | instid1(VALU_DEP_1)
	v_fmac_f32_e32 v12, v3, v11
	s_wait_alu 0xfffd
	v_div_fmas_f32 v3, v12, v9, v11
	v_fma_f32 v9, v1, v8, v0
	v_fma_f32 v0, -v0, v8, v1
	s_delay_alu instid0(VALU_DEP_3) | instskip(NEXT) | instid1(VALU_DEP_1)
	v_div_fixup_f32 v2, v3, v2, 1.0
	v_mul_f32_e32 v8, v9, v2
	s_delay_alu instid0(VALU_DEP_3)
	v_mul_f32_e32 v9, v0, v2
	s_branch .LBB177_140
.LBB177_147:                            ;   in Loop: Header=BB177_3 Depth=1
	s_and_saveexec_b32 s14, s33
	s_cbranch_execz .LBB177_2
; %bb.148:                              ;   in Loop: Header=BB177_3 Depth=1
	v_add_co_u32 v0, vcc_lo, v6, s10
	s_wait_alu 0xfffd
	v_add_co_ci_u32_e64 v1, null, s11, v7, vcc_lo
	v_mov_b32_e32 v2, v17
	s_delay_alu instid0(VALU_DEP_3) | instskip(SKIP_1) | instid1(VALU_DEP_3)
	v_add_co_u32 v0, vcc_lo, v0, s20
	s_wait_alu 0xfffd
	v_add_co_ci_u32_e64 v1, null, s21, v1, vcc_lo
	s_mov_b32 s15, s16
	v_add_co_u32 v0, vcc_lo, v0, v25
	s_wait_alu 0xfffd
	v_add_co_ci_u32_e64 v1, null, 0, v1, vcc_lo
.LBB177_149:                            ;   Parent Loop BB177_3 Depth=1
                                        ; =>  This Inner Loop Header: Depth=2
	ds_load_b64 v[6:7], v2
	v_add_nc_u32_e32 v2, 0x200, v2
	s_wait_alu 0xfffe
	s_add_co_i32 s15, s15, -1
	s_wait_alu 0xfffe
	s_cmp_lg_u32 s15, 0
	s_wait_dscnt 0x0
	flat_store_b64 v[0:1], v[6:7]
	v_add_co_u32 v0, vcc_lo, v0, s12
	s_wait_alu 0xfffd
	v_add_co_ci_u32_e64 v1, null, s13, v1, vcc_lo
	s_cbranch_scc1 .LBB177_149
	s_branch .LBB177_2
.LBB177_150:
	s_endpgm
	.section	.rodata,"a",@progbits
	.p2align	6, 0x0
	.amdhsa_kernel _ZL31rocblas_trsm_small_right_deviceI19rocblas_complex_numIfES1_PKPKS1_PKPS1_Li64EEv13rocblas_fill_18rocblas_operation_17rocblas_diagonal_iiT0_T1_lilT2_lili
		.amdhsa_group_segment_fixed_size 65536
		.amdhsa_private_segment_fixed_size 0
		.amdhsa_kernarg_size 360
		.amdhsa_user_sgpr_count 2
		.amdhsa_user_sgpr_dispatch_ptr 0
		.amdhsa_user_sgpr_queue_ptr 0
		.amdhsa_user_sgpr_kernarg_segment_ptr 1
		.amdhsa_user_sgpr_dispatch_id 0
		.amdhsa_user_sgpr_private_segment_size 0
		.amdhsa_wavefront_size32 1
		.amdhsa_uses_dynamic_stack 0
		.amdhsa_enable_private_segment 0
		.amdhsa_system_sgpr_workgroup_id_x 1
		.amdhsa_system_sgpr_workgroup_id_y 0
		.amdhsa_system_sgpr_workgroup_id_z 1
		.amdhsa_system_sgpr_workgroup_info 0
		.amdhsa_system_vgpr_workitem_id 0
		.amdhsa_next_free_vgpr 241
		.amdhsa_next_free_sgpr 41
		.amdhsa_reserve_vcc 1
		.amdhsa_float_round_mode_32 0
		.amdhsa_float_round_mode_16_64 0
		.amdhsa_float_denorm_mode_32 3
		.amdhsa_float_denorm_mode_16_64 3
		.amdhsa_fp16_overflow 0
		.amdhsa_workgroup_processor_mode 1
		.amdhsa_memory_ordered 1
		.amdhsa_forward_progress 1
		.amdhsa_inst_pref_size 124
		.amdhsa_round_robin_scheduling 0
		.amdhsa_exception_fp_ieee_invalid_op 0
		.amdhsa_exception_fp_denorm_src 0
		.amdhsa_exception_fp_ieee_div_zero 0
		.amdhsa_exception_fp_ieee_overflow 0
		.amdhsa_exception_fp_ieee_underflow 0
		.amdhsa_exception_fp_ieee_inexact 0
		.amdhsa_exception_int_div_zero 0
	.end_amdhsa_kernel
	.section	.text._ZL31rocblas_trsm_small_right_deviceI19rocblas_complex_numIfES1_PKPKS1_PKPS1_Li64EEv13rocblas_fill_18rocblas_operation_17rocblas_diagonal_iiT0_T1_lilT2_lili,"axG",@progbits,_ZL31rocblas_trsm_small_right_deviceI19rocblas_complex_numIfES1_PKPKS1_PKPS1_Li64EEv13rocblas_fill_18rocblas_operation_17rocblas_diagonal_iiT0_T1_lilT2_lili,comdat
.Lfunc_end177:
	.size	_ZL31rocblas_trsm_small_right_deviceI19rocblas_complex_numIfES1_PKPKS1_PKPS1_Li64EEv13rocblas_fill_18rocblas_operation_17rocblas_diagonal_iiT0_T1_lilT2_lili, .Lfunc_end177-_ZL31rocblas_trsm_small_right_deviceI19rocblas_complex_numIfES1_PKPKS1_PKPS1_Li64EEv13rocblas_fill_18rocblas_operation_17rocblas_diagonal_iiT0_T1_lilT2_lili
                                        ; -- End function
	.set _ZL31rocblas_trsm_small_right_deviceI19rocblas_complex_numIfES1_PKPKS1_PKPS1_Li64EEv13rocblas_fill_18rocblas_operation_17rocblas_diagonal_iiT0_T1_lilT2_lili.num_vgpr, 42
	.set _ZL31rocblas_trsm_small_right_deviceI19rocblas_complex_numIfES1_PKPKS1_PKPS1_Li64EEv13rocblas_fill_18rocblas_operation_17rocblas_diagonal_iiT0_T1_lilT2_lili.num_agpr, 0
	.set _ZL31rocblas_trsm_small_right_deviceI19rocblas_complex_numIfES1_PKPKS1_PKPS1_Li64EEv13rocblas_fill_18rocblas_operation_17rocblas_diagonal_iiT0_T1_lilT2_lili.numbered_sgpr, 41
	.set _ZL31rocblas_trsm_small_right_deviceI19rocblas_complex_numIfES1_PKPKS1_PKPS1_Li64EEv13rocblas_fill_18rocblas_operation_17rocblas_diagonal_iiT0_T1_lilT2_lili.num_named_barrier, 0
	.set _ZL31rocblas_trsm_small_right_deviceI19rocblas_complex_numIfES1_PKPKS1_PKPS1_Li64EEv13rocblas_fill_18rocblas_operation_17rocblas_diagonal_iiT0_T1_lilT2_lili.private_seg_size, 0
	.set _ZL31rocblas_trsm_small_right_deviceI19rocblas_complex_numIfES1_PKPKS1_PKPS1_Li64EEv13rocblas_fill_18rocblas_operation_17rocblas_diagonal_iiT0_T1_lilT2_lili.uses_vcc, 1
	.set _ZL31rocblas_trsm_small_right_deviceI19rocblas_complex_numIfES1_PKPKS1_PKPS1_Li64EEv13rocblas_fill_18rocblas_operation_17rocblas_diagonal_iiT0_T1_lilT2_lili.uses_flat_scratch, 0
	.set _ZL31rocblas_trsm_small_right_deviceI19rocblas_complex_numIfES1_PKPKS1_PKPS1_Li64EEv13rocblas_fill_18rocblas_operation_17rocblas_diagonal_iiT0_T1_lilT2_lili.has_dyn_sized_stack, 0
	.set _ZL31rocblas_trsm_small_right_deviceI19rocblas_complex_numIfES1_PKPKS1_PKPS1_Li64EEv13rocblas_fill_18rocblas_operation_17rocblas_diagonal_iiT0_T1_lilT2_lili.has_recursion, 0
	.set _ZL31rocblas_trsm_small_right_deviceI19rocblas_complex_numIfES1_PKPKS1_PKPS1_Li64EEv13rocblas_fill_18rocblas_operation_17rocblas_diagonal_iiT0_T1_lilT2_lili.has_indirect_call, 0
	.section	.AMDGPU.csdata,"",@progbits
; Kernel info:
; codeLenInByte = 15792
; TotalNumSgprs: 43
; NumVgprs: 42
; ScratchSize: 0
; MemoryBound: 0
; FloatMode: 240
; IeeeMode: 1
; LDSByteSize: 65536 bytes/workgroup (compile time only)
; SGPRBlocks: 0
; VGPRBlocks: 30
; NumSGPRsForWavesPerEU: 43
; NumVGPRsForWavesPerEU: 241
; Occupancy: 1
; WaveLimiterHint : 0
; COMPUTE_PGM_RSRC2:SCRATCH_EN: 0
; COMPUTE_PGM_RSRC2:USER_SGPR: 2
; COMPUTE_PGM_RSRC2:TRAP_HANDLER: 0
; COMPUTE_PGM_RSRC2:TGID_X_EN: 1
; COMPUTE_PGM_RSRC2:TGID_Y_EN: 0
; COMPUTE_PGM_RSRC2:TGID_Z_EN: 1
; COMPUTE_PGM_RSRC2:TIDIG_COMP_CNT: 0
	.section	.text._ZL39rocblas_trsm_block_forward_substitutionI19rocblas_complex_numIfES1_PKPKS1_PKPS1_Lb0ELb0ELb0EEv18rocblas_operation_llT0_T1_lllT2_lllib,"axG",@progbits,_ZL39rocblas_trsm_block_forward_substitutionI19rocblas_complex_numIfES1_PKPKS1_PKPS1_Lb0ELb0ELb0EEv18rocblas_operation_llT0_T1_lllT2_lllib,comdat
	.globl	_ZL39rocblas_trsm_block_forward_substitutionI19rocblas_complex_numIfES1_PKPKS1_PKPS1_Lb0ELb0ELb0EEv18rocblas_operation_llT0_T1_lllT2_lllib ; -- Begin function _ZL39rocblas_trsm_block_forward_substitutionI19rocblas_complex_numIfES1_PKPKS1_PKPS1_Lb0ELb0ELb0EEv18rocblas_operation_llT0_T1_lllT2_lllib
	.p2align	8
	.type	_ZL39rocblas_trsm_block_forward_substitutionI19rocblas_complex_numIfES1_PKPKS1_PKPS1_Lb0ELb0ELb0EEv18rocblas_operation_llT0_T1_lllT2_lllib,@function
_ZL39rocblas_trsm_block_forward_substitutionI19rocblas_complex_numIfES1_PKPKS1_PKPS1_Lb0ELb0ELb0EEv18rocblas_operation_llT0_T1_lllT2_lllib: ; @_ZL39rocblas_trsm_block_forward_substitutionI19rocblas_complex_numIfES1_PKPKS1_PKPS1_Lb0ELb0ELb0EEv18rocblas_operation_llT0_T1_lllT2_lllib
; %bb.0:
	s_load_b64 s[16:17], s[0:1], 0x60
	s_lshr_b32 s18, ttmp7, 16
	s_wait_kmcnt 0x0
	s_cmp_ge_u32 s18, s16
	s_cbranch_scc1 .LBB178_45
; %bb.1:
	s_clause 0x3
	s_load_b32 s8, s[0:1], 0x0
	s_load_u16 s30, s[0:1], 0x76
	s_load_b64 s[2:3], s[0:1], 0x50
	s_load_b128 s[4:7], s[0:1], 0x8
	s_bitcmp1_b32 s17, 0
	v_bfe_u32 v1, v0, 10, 10
	s_cselect_b32 s9, -1, 0
	s_add_nc_u64 s[22:23], s[0:1], 0x68
	s_xor_b32 s17, s9, -1
	v_cndmask_b32_e64 v18, 0, 1, s9
	s_mov_b64 s[24:25], src_shared_base
	s_mov_b32 s19, 0
	v_mov_b32_e32 v3, 0
	s_wait_kmcnt 0x0
	s_cmp_lg_u32 s8, 0x71
	s_cselect_b32 s31, -1, 0
	s_and_b32 s8, ttmp7, 0xffff
	s_add_nc_u64 s[28:29], s[4:5], -1
	s_wait_alu 0xfffe
	v_mad_co_u64_u32 v[4:5], null, s8, s30, v[1:2]
	s_clause 0x3
	s_load_b64 s[20:21], s[0:1], 0x18
	s_load_b128 s[8:11], s[0:1], 0x20
	s_load_b64 s[26:27], s[0:1], 0x30
	s_load_b128 s[12:15], s[0:1], 0x40
	v_and_b32_e32 v2, 0x3ff, v0
	s_lshl_b32 s0, s30, 3
	v_cmp_gt_i64_e64 s33, s[4:5], 0
	s_add_co_i32 s24, s0, 0
	v_mad_co_u64_u32 v[6:7], null, s2, v4, 0
	v_lshlrev_b32_e32 v9, 3, v2
	v_cmp_le_i64_e32 vcc_lo, s[4:5], v[2:3]
	v_cmp_gt_i64_e64 s1, s[4:5], v[2:3]
	v_cmp_eq_u64_e64 s0, s[28:29], v[2:3]
	v_cmp_gt_i64_e64 s35, s[4:5], 1
	v_lshl_add_u32 v0, v1, 3, 0
	v_mov_b32_e32 v5, v7
	v_lshlrev_b32_e32 v19, 3, v2
	v_or_b32_e32 v20, 4, v9
	v_add_nc_u32_e32 v21, s24, v9
	s_xor_b32 s36, vcc_lo, -1
	v_mad_co_u64_u32 v[7:8], null, s3, v4, v[5:6]
	v_mov_b32_e32 v5, v3
	s_delay_alu instid0(VALU_DEP_1) | instskip(NEXT) | instid1(VALU_DEP_3)
	v_cmp_gt_i64_e64 s2, s[6:7], v[4:5]
	v_lshlrev_b64_e32 v[4:5], 3, v[6:7]
	s_wait_kmcnt 0x0
	s_lshl_b64 s[6:7], s[14:15], 3
	s_and_b32 s34, s2, s1
	s_lshl_b64 s[2:3], s[10:11], 3
	s_branch .LBB178_6
.LBB178_2:                              ;   in Loop: Header=BB178_6 Depth=1
	s_wait_alu 0xfffe
	s_or_b32 exec_lo, exec_lo, s11
.LBB178_3:                              ;   in Loop: Header=BB178_6 Depth=1
	s_wait_loadcnt_dscnt 0x0
	v_mul_f32_e32 v12, v9, v11
	v_mul_f32_e32 v9, v9, v10
	s_delay_alu instid0(VALU_DEP_2) | instskip(NEXT) | instid1(VALU_DEP_1)
	v_fma_f32 v10, v8, v10, -v12
	v_dual_fmac_f32 v9, v8, v11 :: v_dual_mov_b32 v8, v10
.LBB178_4:                              ;   in Loop: Header=BB178_6 Depth=1
	s_wait_alu 0xfffe
	s_or_b32 exec_lo, exec_lo, s10
	flat_store_b64 v[6:7], v[8:9]
.LBB178_5:                              ;   in Loop: Header=BB178_6 Depth=1
	s_wait_alu 0xfffe
	s_or_b32 exec_lo, exec_lo, s1
	s_add_co_i32 s18, s18, 0x10000
	s_delay_alu instid0(SALU_CYCLE_1)
	s_cmp_lt_u32 s18, s16
	s_cbranch_scc0 .LBB178_45
.LBB178_6:                              ; =>This Loop Header: Depth=1
                                        ;     Child Loop BB178_13 Depth 2
                                        ;     Child Loop BB178_26 Depth 2
	s_lshl_b64 s[10:11], s[18:19], 3
	v_cmp_ne_u32_e32 vcc_lo, 1, v18
	s_wait_alu 0xfffe
	s_add_nc_u64 s[14:15], s[8:9], s[10:11]
	s_add_nc_u64 s[10:11], s[12:13], s[10:11]
	global_load_b64 v[8:9], v3, s[14:15]
	s_wait_loadcnt 0x1
	global_load_b64 v[6:7], v3, s[10:11]
	s_wait_loadcnt 0x1
	v_add_co_u32 v10, s1, v8, s2
	s_wait_alu 0xf1ff
	v_add_co_ci_u32_e64 v11, null, s3, v9, s1
	s_cbranch_vccz .LBB178_8
; %bb.7:                                ;   in Loop: Header=BB178_6 Depth=1
	s_and_saveexec_b32 s1, s34
	s_cbranch_execz .LBB178_5
	s_branch .LBB178_22
.LBB178_8:                              ;   in Loop: Header=BB178_6 Depth=1
	s_and_not1_b32 vcc_lo, exec_lo, s33
	s_wait_alu 0xfffe
	s_cbranch_vccnz .LBB178_21
; %bb.9:                                ;   in Loop: Header=BB178_6 Depth=1
	v_mad_co_u64_u32 v[8:9], null, s26, v2, 0
	v_add_co_u32 v14, vcc_lo, v10, v19
	s_wait_alu 0xfffd
	v_add_co_ci_u32_e64 v15, null, 0, v11, vcc_lo
	s_mov_b32 s10, s30
	v_mov_b32_e32 v16, v1
	v_mad_co_u64_u32 v[12:13], null, s27, v2, v[9:10]
	s_delay_alu instid0(VALU_DEP_1) | instskip(NEXT) | instid1(VALU_DEP_1)
	v_mov_b32_e32 v9, v12
	v_lshlrev_b64_e32 v[8:9], 3, v[8:9]
	s_delay_alu instid0(VALU_DEP_1) | instskip(SKIP_1) | instid1(VALU_DEP_2)
	v_add_co_u32 v8, vcc_lo, v14, v8
	s_wait_alu 0xfffd
	v_add_co_ci_u32_e64 v9, null, v15, v9, vcc_lo
	s_branch .LBB178_13
.LBB178_10:                             ;   in Loop: Header=BB178_13 Depth=2
	s_wait_alu 0xfffe
	s_or_b32 exec_lo, exec_lo, s14
	s_load_b32 s14, s[22:23], 0xc
	s_wait_kmcnt 0x0
	s_and_b32 s14, s14, 0xffff
	s_wait_alu 0xfffe
	v_mul_u32_u24_e32 v10, s14, v2
	s_delay_alu instid0(VALU_DEP_1)
	v_lshl_add_u32 v10, v10, 3, v21
	ds_store_b64 v10, v[12:13]
.LBB178_11:                             ;   in Loop: Header=BB178_13 Depth=2
	s_wait_alu 0xfffe
	s_or_b32 exec_lo, exec_lo, s11
.LBB178_12:                             ;   in Loop: Header=BB178_13 Depth=2
	s_wait_alu 0xfffe
	s_or_b32 exec_lo, exec_lo, s1
	s_ashr_i32 s11, s10, 31
	v_add_nc_u32_e32 v16, s30, v16
	s_wait_alu 0xfffe
	v_cmp_le_i64_e64 s1, s[4:5], s[10:11]
	s_add_co_i32 s10, s10, s30
	s_and_b32 vcc_lo, exec_lo, s1
	s_wait_alu 0xfffe
	s_cbranch_vccnz .LBB178_21
.LBB178_13:                             ;   Parent Loop BB178_6 Depth=1
                                        ; =>  This Inner Loop Header: Depth=2
	v_cmp_gt_i32_e32 vcc_lo, v2, v16
	s_and_b32 s1, s36, vcc_lo
	s_wait_alu 0xfffe
	s_and_saveexec_b32 s11, s1
	s_wait_alu 0xfffe
	s_xor_b32 s1, exec_lo, s11
	s_cbranch_execz .LBB178_15
; %bb.14:                               ;   in Loop: Header=BB178_13 Depth=2
	v_ashrrev_i32_e32 v12, 31, v16
	v_mul_lo_u32 v13, s27, v16
	v_mad_co_u64_u32 v[10:11], null, s26, v16, 0
	s_load_b32 s11, s[22:23], 0xc
	v_mul_lo_u32 v12, s26, v12
	s_delay_alu instid0(VALU_DEP_1) | instskip(NEXT) | instid1(VALU_DEP_1)
	v_add3_u32 v11, v11, v12, v13
	v_lshlrev_b64_e32 v[10:11], 3, v[10:11]
	s_wait_kmcnt 0x0
	s_and_b32 s11, s11, 0xffff
	s_delay_alu instid0(VALU_DEP_1) | instskip(SKIP_1) | instid1(VALU_DEP_2)
	v_add_co_u32 v10, vcc_lo, v14, v10
	s_wait_alu 0xfffd
	v_add_co_ci_u32_e64 v11, null, v15, v11, vcc_lo
	s_wait_alu 0xfffe
	v_mul_lo_u32 v12, v16, s11
	flat_load_b64 v[10:11], v[10:11]
	v_lshl_add_u32 v12, v12, 3, v21
	s_wait_loadcnt_dscnt 0x0
	ds_store_b64 v12, v[10:11]
.LBB178_15:                             ;   in Loop: Header=BB178_13 Depth=2
	s_wait_alu 0xfffe
	s_and_not1_saveexec_b32 s1, s1
	s_cbranch_execz .LBB178_12
; %bb.16:                               ;   in Loop: Header=BB178_13 Depth=2
	v_cmp_eq_u32_e32 vcc_lo, v2, v16
	s_and_b32 s14, s36, vcc_lo
	s_wait_alu 0xfffe
	s_and_saveexec_b32 s11, s14
	s_cbranch_execz .LBB178_11
; %bb.17:                               ;   in Loop: Header=BB178_13 Depth=2
	flat_load_b64 v[10:11], v[8:9]
                                        ; implicit-def: $vgpr12
	s_wait_loadcnt_dscnt 0x0
	v_cmp_ngt_f32_e64 s14, |v10|, |v11|
	s_and_saveexec_b32 s15, s14
	s_wait_alu 0xfffe
	s_xor_b32 s14, exec_lo, s15
	s_cbranch_execz .LBB178_19
; %bb.18:                               ;   in Loop: Header=BB178_13 Depth=2
	v_div_scale_f32 v12, null, v11, v11, v10
	v_div_scale_f32 v22, vcc_lo, v10, v11, v10
	s_delay_alu instid0(VALU_DEP_2) | instskip(NEXT) | instid1(TRANS32_DEP_1)
	v_rcp_f32_e32 v13, v12
	v_fma_f32 v17, -v12, v13, 1.0
	s_delay_alu instid0(VALU_DEP_1) | instskip(NEXT) | instid1(VALU_DEP_1)
	v_fmac_f32_e32 v13, v17, v13
	v_mul_f32_e32 v17, v22, v13
	s_delay_alu instid0(VALU_DEP_1) | instskip(NEXT) | instid1(VALU_DEP_1)
	v_fma_f32 v23, -v12, v17, v22
	v_fmac_f32_e32 v17, v23, v13
	s_delay_alu instid0(VALU_DEP_1) | instskip(SKIP_1) | instid1(VALU_DEP_1)
	v_fma_f32 v12, -v12, v17, v22
	s_wait_alu 0xfffd
	v_div_fmas_f32 v12, v12, v13, v17
	s_delay_alu instid0(VALU_DEP_1) | instskip(NEXT) | instid1(VALU_DEP_1)
	v_div_fixup_f32 v12, v12, v11, v10
	v_fmac_f32_e32 v11, v10, v12
	s_delay_alu instid0(VALU_DEP_1) | instskip(SKIP_1) | instid1(VALU_DEP_2)
	v_div_scale_f32 v10, null, v11, v11, 1.0
	v_div_scale_f32 v22, vcc_lo, 1.0, v11, 1.0
	v_rcp_f32_e32 v13, v10
	s_delay_alu instid0(TRANS32_DEP_1) | instskip(NEXT) | instid1(VALU_DEP_1)
	v_fma_f32 v17, -v10, v13, 1.0
	v_fmac_f32_e32 v13, v17, v13
	s_delay_alu instid0(VALU_DEP_1) | instskip(NEXT) | instid1(VALU_DEP_1)
	v_mul_f32_e32 v17, v22, v13
	v_fma_f32 v23, -v10, v17, v22
	s_delay_alu instid0(VALU_DEP_1) | instskip(NEXT) | instid1(VALU_DEP_1)
	v_fmac_f32_e32 v17, v23, v13
	v_fma_f32 v10, -v10, v17, v22
	s_wait_alu 0xfffd
	s_delay_alu instid0(VALU_DEP_1) | instskip(NEXT) | instid1(VALU_DEP_1)
	v_div_fmas_f32 v10, v10, v13, v17
	v_div_fixup_f32 v10, v10, v11, 1.0
	s_delay_alu instid0(VALU_DEP_1)
	v_mul_f32_e32 v12, v12, v10
	v_xor_b32_e32 v13, 0x80000000, v10
                                        ; implicit-def: $vgpr10_vgpr11
.LBB178_19:                             ;   in Loop: Header=BB178_13 Depth=2
	s_wait_alu 0xfffe
	s_and_not1_saveexec_b32 s14, s14
	s_cbranch_execz .LBB178_10
; %bb.20:                               ;   in Loop: Header=BB178_13 Depth=2
	v_div_scale_f32 v12, null, v10, v10, v11
	v_div_scale_f32 v22, vcc_lo, v11, v10, v11
	s_delay_alu instid0(VALU_DEP_2) | instskip(NEXT) | instid1(TRANS32_DEP_1)
	v_rcp_f32_e32 v13, v12
	v_fma_f32 v17, -v12, v13, 1.0
	s_delay_alu instid0(VALU_DEP_1) | instskip(NEXT) | instid1(VALU_DEP_1)
	v_fmac_f32_e32 v13, v17, v13
	v_mul_f32_e32 v17, v22, v13
	s_delay_alu instid0(VALU_DEP_1) | instskip(NEXT) | instid1(VALU_DEP_1)
	v_fma_f32 v23, -v12, v17, v22
	v_fmac_f32_e32 v17, v23, v13
	s_delay_alu instid0(VALU_DEP_1) | instskip(SKIP_1) | instid1(VALU_DEP_1)
	v_fma_f32 v12, -v12, v17, v22
	s_wait_alu 0xfffd
	v_div_fmas_f32 v12, v12, v13, v17
	s_delay_alu instid0(VALU_DEP_1) | instskip(NEXT) | instid1(VALU_DEP_1)
	v_div_fixup_f32 v13, v12, v10, v11
	v_fmac_f32_e32 v10, v11, v13
	s_delay_alu instid0(VALU_DEP_1) | instskip(NEXT) | instid1(VALU_DEP_1)
	v_div_scale_f32 v11, null, v10, v10, 1.0
	v_rcp_f32_e32 v12, v11
	s_delay_alu instid0(TRANS32_DEP_1) | instskip(NEXT) | instid1(VALU_DEP_1)
	v_fma_f32 v17, -v11, v12, 1.0
	v_fmac_f32_e32 v12, v17, v12
	v_div_scale_f32 v17, vcc_lo, 1.0, v10, 1.0
	s_delay_alu instid0(VALU_DEP_1) | instskip(NEXT) | instid1(VALU_DEP_1)
	v_mul_f32_e32 v22, v17, v12
	v_fma_f32 v23, -v11, v22, v17
	s_delay_alu instid0(VALU_DEP_1) | instskip(NEXT) | instid1(VALU_DEP_1)
	v_fmac_f32_e32 v22, v23, v12
	v_fma_f32 v11, -v11, v22, v17
	s_wait_alu 0xfffd
	s_delay_alu instid0(VALU_DEP_1) | instskip(NEXT) | instid1(VALU_DEP_1)
	v_div_fmas_f32 v11, v11, v12, v22
	v_div_fixup_f32 v12, v11, v10, 1.0
	s_delay_alu instid0(VALU_DEP_1)
	v_mul_f32_e64 v13, v13, -v12
	s_branch .LBB178_10
.LBB178_21:                             ;   in Loop: Header=BB178_6 Depth=1
	s_load_b32 s1, s[22:23], 0xc
	v_dual_mov_b32 v10, s24 :: v_dual_mov_b32 v11, s25
	s_mov_b32 s27, s19
	s_wait_kmcnt 0x0
	s_and_b32 s26, s1, 0xffff
	s_and_saveexec_b32 s1, s34
	s_cbranch_execz .LBB178_5
.LBB178_22:                             ;   in Loop: Header=BB178_6 Depth=1
	s_wait_loadcnt 0x0
	v_add_co_u32 v6, vcc_lo, v6, s6
	s_wait_alu 0xfffd
	v_add_co_ci_u32_e64 v7, null, s7, v7, vcc_lo
	s_delay_alu instid0(VALU_DEP_2) | instskip(SKIP_1) | instid1(VALU_DEP_2)
	v_add_co_u32 v6, vcc_lo, v6, v4
	s_wait_alu 0xfffd
	v_add_co_ci_u32_e64 v7, null, v7, v5, vcc_lo
	s_delay_alu instid0(VALU_DEP_2) | instskip(SKIP_1) | instid1(VALU_DEP_2)
	v_add_co_u32 v6, vcc_lo, v6, v19
	s_wait_alu 0xfffd
	v_add_co_ci_u32_e64 v7, null, 0, v7, vcc_lo
	s_and_not1_b32 vcc_lo, exec_lo, s35
	flat_load_b64 v[12:13], v[6:7]
	s_wait_loadcnt_dscnt 0x0
	v_mul_f32_e32 v9, s20, v13
	s_delay_alu instid0(VALU_DEP_1) | instskip(NEXT) | instid1(VALU_DEP_1)
	v_dual_mul_f32 v8, s21, v13 :: v_dual_fmac_f32 v9, s21, v12
	v_fma_f32 v8, s20, v12, -v8
	s_wait_alu 0xfffe
	s_cbranch_vccnz .LBB178_39
; %bb.23:                               ;   in Loop: Header=BB178_6 Depth=1
	v_mad_co_u64_u32 v[12:13], null, v2, s26, v[2:3]
	s_lshl_b64 s[10:11], s[26:27], 3
	s_mov_b64 s[14:15], 0
	v_mad_co_u64_u32 v[13:14], null, v2, s27, v[13:14]
	s_delay_alu instid0(VALU_DEP_1) | instskip(NEXT) | instid1(VALU_DEP_1)
	v_lshlrev_b64_e32 v[12:13], 3, v[12:13]
	v_add_co_u32 v12, vcc_lo, v10, v12
	s_wait_alu 0xfffd
	s_delay_alu instid0(VALU_DEP_2)
	v_add_co_ci_u32_e64 v13, null, v11, v13, vcc_lo
	v_add_co_u32 v14, vcc_lo, v10, v20
	s_wait_alu 0xfffd
	v_add_co_ci_u32_e64 v15, null, 0, v11, vcc_lo
	s_branch .LBB178_26
.LBB178_24:                             ;   in Loop: Header=BB178_26 Depth=2
	ds_load_b64 v[22:23], v0
	s_wait_loadcnt_dscnt 0x0
	v_dual_mul_f32 v24, v17, v23 :: v_dual_mul_f32 v23, v23, v16
	s_delay_alu instid0(VALU_DEP_1) | instskip(NEXT) | instid1(VALU_DEP_1)
	v_fma_f32 v16, v22, v16, -v24
	v_dual_fmac_f32 v23, v17, v22 :: v_dual_sub_f32 v8, v8, v16
	s_delay_alu instid0(VALU_DEP_1)
	v_sub_f32_e32 v9, v9, v23
.LBB178_25:                             ;   in Loop: Header=BB178_26 Depth=2
	s_or_b32 exec_lo, exec_lo, s37
	v_add_co_u32 v14, vcc_lo, v14, s10
	s_wait_alu 0xfffd
	v_add_co_ci_u32_e64 v15, null, s11, v15, vcc_lo
	s_add_nc_u64 s[14:15], s[14:15], 1
	s_wait_alu 0xfffe
	s_cmp_eq_u64 s[28:29], s[14:15]
	s_cbranch_scc1 .LBB178_39
.LBB178_26:                             ;   Parent Loop BB178_6 Depth=1
                                        ; =>  This Inner Loop Header: Depth=2
	s_mov_b32 s37, exec_lo
	s_barrier_signal -1
	s_barrier_wait -1
	global_inv scope:SCOPE_SE
	s_wait_alu 0xfffe
	v_cmpx_eq_u64_e64 s[14:15], v[2:3]
	s_cbranch_execz .LBB178_34
; %bb.27:                               ;   in Loop: Header=BB178_26 Depth=2
	flat_load_b64 v[16:17], v[12:13]
	s_and_not1_b32 vcc_lo, exec_lo, s17
	s_wait_alu 0xfffe
	s_cbranch_vccnz .LBB178_33
; %bb.28:                               ;   in Loop: Header=BB178_26 Depth=2
	s_wait_loadcnt_dscnt 0x0
	v_cmp_ngt_f32_e64 s38, |v16|, |v17|
	s_and_saveexec_b32 s39, s38
	s_delay_alu instid0(SALU_CYCLE_1)
	s_xor_b32 s38, exec_lo, s39
	s_cbranch_execz .LBB178_30
; %bb.29:                               ;   in Loop: Header=BB178_26 Depth=2
	v_div_scale_f32 v22, null, v17, v17, v16
	v_div_scale_f32 v25, vcc_lo, v16, v17, v16
	s_delay_alu instid0(VALU_DEP_2) | instskip(NEXT) | instid1(TRANS32_DEP_1)
	v_rcp_f32_e32 v23, v22
	v_fma_f32 v24, -v22, v23, 1.0
	s_delay_alu instid0(VALU_DEP_1) | instskip(NEXT) | instid1(VALU_DEP_1)
	v_fmac_f32_e32 v23, v24, v23
	v_mul_f32_e32 v24, v25, v23
	s_delay_alu instid0(VALU_DEP_1) | instskip(NEXT) | instid1(VALU_DEP_1)
	v_fma_f32 v26, -v22, v24, v25
	v_fmac_f32_e32 v24, v26, v23
	s_delay_alu instid0(VALU_DEP_1) | instskip(SKIP_1) | instid1(VALU_DEP_1)
	v_fma_f32 v22, -v22, v24, v25
	s_wait_alu 0xfffd
	v_div_fmas_f32 v22, v22, v23, v24
	s_delay_alu instid0(VALU_DEP_1) | instskip(NEXT) | instid1(VALU_DEP_1)
	v_div_fixup_f32 v22, v22, v17, v16
	v_fmac_f32_e32 v17, v16, v22
	s_delay_alu instid0(VALU_DEP_1) | instskip(SKIP_1) | instid1(VALU_DEP_2)
	v_div_scale_f32 v16, null, v17, v17, 1.0
	v_div_scale_f32 v25, vcc_lo, 1.0, v17, 1.0
	v_rcp_f32_e32 v23, v16
	s_delay_alu instid0(TRANS32_DEP_1) | instskip(NEXT) | instid1(VALU_DEP_1)
	v_fma_f32 v24, -v16, v23, 1.0
	v_fmac_f32_e32 v23, v24, v23
	s_delay_alu instid0(VALU_DEP_1) | instskip(NEXT) | instid1(VALU_DEP_1)
	v_mul_f32_e32 v24, v25, v23
	v_fma_f32 v26, -v16, v24, v25
	s_delay_alu instid0(VALU_DEP_1) | instskip(NEXT) | instid1(VALU_DEP_1)
	v_fmac_f32_e32 v24, v26, v23
	v_fma_f32 v16, -v16, v24, v25
	s_wait_alu 0xfffd
	s_delay_alu instid0(VALU_DEP_1) | instskip(NEXT) | instid1(VALU_DEP_1)
	v_div_fmas_f32 v16, v16, v23, v24
	v_div_fixup_f32 v17, v16, v17, 1.0
	s_delay_alu instid0(VALU_DEP_1)
	v_mul_f32_e32 v16, v22, v17
	v_xor_b32_e32 v17, 0x80000000, v17
.LBB178_30:                             ;   in Loop: Header=BB178_26 Depth=2
	s_and_not1_saveexec_b32 s38, s38
	s_cbranch_execz .LBB178_32
; %bb.31:                               ;   in Loop: Header=BB178_26 Depth=2
	s_delay_alu instid0(VALU_DEP_1) | instskip(SKIP_1) | instid1(VALU_DEP_2)
	v_div_scale_f32 v22, null, v16, v16, v17
	v_div_scale_f32 v25, vcc_lo, v17, v16, v17
	v_rcp_f32_e32 v23, v22
	s_delay_alu instid0(TRANS32_DEP_1) | instskip(NEXT) | instid1(VALU_DEP_1)
	v_fma_f32 v24, -v22, v23, 1.0
	v_fmac_f32_e32 v23, v24, v23
	s_delay_alu instid0(VALU_DEP_1) | instskip(NEXT) | instid1(VALU_DEP_1)
	v_mul_f32_e32 v24, v25, v23
	v_fma_f32 v26, -v22, v24, v25
	s_delay_alu instid0(VALU_DEP_1) | instskip(NEXT) | instid1(VALU_DEP_1)
	v_fmac_f32_e32 v24, v26, v23
	v_fma_f32 v22, -v22, v24, v25
	s_wait_alu 0xfffd
	s_delay_alu instid0(VALU_DEP_1) | instskip(NEXT) | instid1(VALU_DEP_1)
	v_div_fmas_f32 v22, v22, v23, v24
	v_div_fixup_f32 v22, v22, v16, v17
	s_delay_alu instid0(VALU_DEP_1) | instskip(NEXT) | instid1(VALU_DEP_1)
	v_fmac_f32_e32 v16, v17, v22
	v_div_scale_f32 v17, null, v16, v16, 1.0
	s_delay_alu instid0(VALU_DEP_1) | instskip(NEXT) | instid1(TRANS32_DEP_1)
	v_rcp_f32_e32 v23, v17
	v_fma_f32 v24, -v17, v23, 1.0
	s_delay_alu instid0(VALU_DEP_1) | instskip(SKIP_1) | instid1(VALU_DEP_1)
	v_fmac_f32_e32 v23, v24, v23
	v_div_scale_f32 v24, vcc_lo, 1.0, v16, 1.0
	v_mul_f32_e32 v25, v24, v23
	s_delay_alu instid0(VALU_DEP_1) | instskip(NEXT) | instid1(VALU_DEP_1)
	v_fma_f32 v26, -v17, v25, v24
	v_fmac_f32_e32 v25, v26, v23
	s_delay_alu instid0(VALU_DEP_1) | instskip(SKIP_1) | instid1(VALU_DEP_1)
	v_fma_f32 v17, -v17, v25, v24
	s_wait_alu 0xfffd
	v_div_fmas_f32 v17, v17, v23, v25
	s_delay_alu instid0(VALU_DEP_1) | instskip(NEXT) | instid1(VALU_DEP_1)
	v_div_fixup_f32 v16, v17, v16, 1.0
	v_mul_f32_e64 v17, v22, -v16
.LBB178_32:                             ;   in Loop: Header=BB178_26 Depth=2
	s_or_b32 exec_lo, exec_lo, s38
.LBB178_33:                             ;   in Loop: Header=BB178_26 Depth=2
	s_wait_loadcnt_dscnt 0x0
	s_delay_alu instid0(VALU_DEP_1) | instskip(SKIP_1) | instid1(VALU_DEP_1)
	v_mul_f32_e32 v23, v8, v17
	v_mul_f32_e32 v17, v9, v17
	v_fma_f32 v22, v8, v16, -v17
	s_delay_alu instid0(VALU_DEP_1) | instskip(NEXT) | instid1(VALU_DEP_1)
	v_dual_mov_b32 v8, v22 :: v_dual_fmac_f32 v23, v9, v16
	v_mov_b32_e32 v9, v23
	ds_store_b64 v0, v[22:23]
.LBB178_34:                             ;   in Loop: Header=BB178_26 Depth=2
	s_or_b32 exec_lo, exec_lo, s37
	s_delay_alu instid0(SALU_CYCLE_1)
	s_mov_b32 s37, exec_lo
	s_wait_loadcnt_dscnt 0x0
	s_barrier_signal -1
	s_barrier_wait -1
	global_inv scope:SCOPE_SE
	v_cmpx_lt_u64_e64 s[14:15], v[2:3]
	s_cbranch_execz .LBB178_25
; %bb.35:                               ;   in Loop: Header=BB178_26 Depth=2
	s_and_b32 vcc_lo, exec_lo, s31
	s_mov_b32 s38, -1
                                        ; implicit-def: $vgpr16
	s_wait_alu 0xfffe
	s_cbranch_vccz .LBB178_37
; %bb.36:                               ;   in Loop: Header=BB178_26 Depth=2
	flat_load_b64 v[16:17], v[14:15] offset:-4
	s_mov_b32 s38, 0
.LBB178_37:                             ;   in Loop: Header=BB178_26 Depth=2
	s_delay_alu instid0(SALU_CYCLE_1)
	s_and_not1_b32 vcc_lo, exec_lo, s38
	s_wait_alu 0xfffe
	s_cbranch_vccnz .LBB178_24
; %bb.38:                               ;   in Loop: Header=BB178_26 Depth=2
	s_wait_loadcnt_dscnt 0x0
	flat_load_b64 v[16:17], v[14:15] offset:-4
	s_wait_loadcnt_dscnt 0x0
	v_xor_b32_e32 v17, 0x80000000, v17
	s_branch .LBB178_24
.LBB178_39:                             ;   in Loop: Header=BB178_6 Depth=1
	s_and_saveexec_b32 s10, s0
	s_cbranch_execz .LBB178_4
; %bb.40:                               ;   in Loop: Header=BB178_6 Depth=1
	v_mad_co_u64_u32 v[12:13], null, v2, s26, v[2:3]
	s_delay_alu instid0(VALU_DEP_1) | instskip(NEXT) | instid1(VALU_DEP_1)
	v_mad_co_u64_u32 v[13:14], null, v2, s27, v[13:14]
	v_lshlrev_b64_e32 v[12:13], 3, v[12:13]
	s_delay_alu instid0(VALU_DEP_1) | instskip(SKIP_1) | instid1(VALU_DEP_2)
	v_add_co_u32 v10, vcc_lo, v10, v12
	s_wait_alu 0xfffd
	v_add_co_ci_u32_e64 v11, null, v11, v13, vcc_lo
	s_and_not1_b32 vcc_lo, exec_lo, s17
	flat_load_b64 v[10:11], v[10:11]
	s_wait_alu 0xfffe
	s_cbranch_vccnz .LBB178_3
; %bb.41:                               ;   in Loop: Header=BB178_6 Depth=1
	s_wait_loadcnt_dscnt 0x0
	v_cmp_ngt_f32_e64 s11, |v10|, |v11|
	s_and_saveexec_b32 s14, s11
	s_wait_alu 0xfffe
	s_xor_b32 s11, exec_lo, s14
	s_cbranch_execz .LBB178_43
; %bb.42:                               ;   in Loop: Header=BB178_6 Depth=1
	v_div_scale_f32 v12, null, v11, v11, v10
	v_div_scale_f32 v15, vcc_lo, v10, v11, v10
	s_delay_alu instid0(VALU_DEP_2) | instskip(NEXT) | instid1(TRANS32_DEP_1)
	v_rcp_f32_e32 v13, v12
	v_fma_f32 v14, -v12, v13, 1.0
	s_delay_alu instid0(VALU_DEP_1) | instskip(NEXT) | instid1(VALU_DEP_1)
	v_fmac_f32_e32 v13, v14, v13
	v_mul_f32_e32 v14, v15, v13
	s_delay_alu instid0(VALU_DEP_1) | instskip(NEXT) | instid1(VALU_DEP_1)
	v_fma_f32 v16, -v12, v14, v15
	v_fmac_f32_e32 v14, v16, v13
	s_delay_alu instid0(VALU_DEP_1) | instskip(SKIP_1) | instid1(VALU_DEP_1)
	v_fma_f32 v12, -v12, v14, v15
	s_wait_alu 0xfffd
	v_div_fmas_f32 v12, v12, v13, v14
	s_delay_alu instid0(VALU_DEP_1) | instskip(NEXT) | instid1(VALU_DEP_1)
	v_div_fixup_f32 v12, v12, v11, v10
	v_fmac_f32_e32 v11, v10, v12
	s_delay_alu instid0(VALU_DEP_1) | instskip(SKIP_1) | instid1(VALU_DEP_2)
	v_div_scale_f32 v10, null, v11, v11, 1.0
	v_div_scale_f32 v15, vcc_lo, 1.0, v11, 1.0
	v_rcp_f32_e32 v13, v10
	s_delay_alu instid0(TRANS32_DEP_1) | instskip(NEXT) | instid1(VALU_DEP_1)
	v_fma_f32 v14, -v10, v13, 1.0
	v_fmac_f32_e32 v13, v14, v13
	s_delay_alu instid0(VALU_DEP_1) | instskip(NEXT) | instid1(VALU_DEP_1)
	v_mul_f32_e32 v14, v15, v13
	v_fma_f32 v16, -v10, v14, v15
	s_delay_alu instid0(VALU_DEP_1) | instskip(NEXT) | instid1(VALU_DEP_1)
	v_fmac_f32_e32 v14, v16, v13
	v_fma_f32 v10, -v10, v14, v15
	s_wait_alu 0xfffd
	s_delay_alu instid0(VALU_DEP_1) | instskip(NEXT) | instid1(VALU_DEP_1)
	v_div_fmas_f32 v10, v10, v13, v14
	v_div_fixup_f32 v11, v10, v11, 1.0
	s_delay_alu instid0(VALU_DEP_1)
	v_mul_f32_e32 v10, v12, v11
	v_xor_b32_e32 v11, 0x80000000, v11
.LBB178_43:                             ;   in Loop: Header=BB178_6 Depth=1
	s_wait_alu 0xfffe
	s_and_not1_saveexec_b32 s11, s11
	s_cbranch_execz .LBB178_2
; %bb.44:                               ;   in Loop: Header=BB178_6 Depth=1
	s_delay_alu instid0(VALU_DEP_1) | instskip(SKIP_1) | instid1(VALU_DEP_2)
	v_div_scale_f32 v12, null, v10, v10, v11
	v_div_scale_f32 v15, vcc_lo, v11, v10, v11
	v_rcp_f32_e32 v13, v12
	s_delay_alu instid0(TRANS32_DEP_1) | instskip(NEXT) | instid1(VALU_DEP_1)
	v_fma_f32 v14, -v12, v13, 1.0
	v_fmac_f32_e32 v13, v14, v13
	s_delay_alu instid0(VALU_DEP_1) | instskip(NEXT) | instid1(VALU_DEP_1)
	v_mul_f32_e32 v14, v15, v13
	v_fma_f32 v16, -v12, v14, v15
	s_delay_alu instid0(VALU_DEP_1) | instskip(NEXT) | instid1(VALU_DEP_1)
	v_fmac_f32_e32 v14, v16, v13
	v_fma_f32 v12, -v12, v14, v15
	s_wait_alu 0xfffd
	s_delay_alu instid0(VALU_DEP_1) | instskip(NEXT) | instid1(VALU_DEP_1)
	v_div_fmas_f32 v12, v12, v13, v14
	v_div_fixup_f32 v12, v12, v10, v11
	s_delay_alu instid0(VALU_DEP_1) | instskip(NEXT) | instid1(VALU_DEP_1)
	v_fmac_f32_e32 v10, v11, v12
	v_div_scale_f32 v11, null, v10, v10, 1.0
	s_delay_alu instid0(VALU_DEP_1) | instskip(NEXT) | instid1(TRANS32_DEP_1)
	v_rcp_f32_e32 v13, v11
	v_fma_f32 v14, -v11, v13, 1.0
	s_delay_alu instid0(VALU_DEP_1) | instskip(SKIP_1) | instid1(VALU_DEP_1)
	v_fmac_f32_e32 v13, v14, v13
	v_div_scale_f32 v14, vcc_lo, 1.0, v10, 1.0
	v_mul_f32_e32 v15, v14, v13
	s_delay_alu instid0(VALU_DEP_1) | instskip(NEXT) | instid1(VALU_DEP_1)
	v_fma_f32 v16, -v11, v15, v14
	v_fmac_f32_e32 v15, v16, v13
	s_delay_alu instid0(VALU_DEP_1) | instskip(SKIP_1) | instid1(VALU_DEP_1)
	v_fma_f32 v11, -v11, v15, v14
	s_wait_alu 0xfffd
	v_div_fmas_f32 v11, v11, v13, v15
	s_delay_alu instid0(VALU_DEP_1) | instskip(NEXT) | instid1(VALU_DEP_1)
	v_div_fixup_f32 v10, v11, v10, 1.0
	v_mul_f32_e64 v11, v12, -v10
	s_branch .LBB178_2
.LBB178_45:
	s_endpgm
	.section	.rodata,"a",@progbits
	.p2align	6, 0x0
	.amdhsa_kernel _ZL39rocblas_trsm_block_forward_substitutionI19rocblas_complex_numIfES1_PKPKS1_PKPS1_Lb0ELb0ELb0EEv18rocblas_operation_llT0_T1_lllT2_lllib
		.amdhsa_group_segment_fixed_size 0
		.amdhsa_private_segment_fixed_size 0
		.amdhsa_kernarg_size 360
		.amdhsa_user_sgpr_count 2
		.amdhsa_user_sgpr_dispatch_ptr 0
		.amdhsa_user_sgpr_queue_ptr 0
		.amdhsa_user_sgpr_kernarg_segment_ptr 1
		.amdhsa_user_sgpr_dispatch_id 0
		.amdhsa_user_sgpr_private_segment_size 0
		.amdhsa_wavefront_size32 1
		.amdhsa_uses_dynamic_stack 0
		.amdhsa_enable_private_segment 0
		.amdhsa_system_sgpr_workgroup_id_x 1
		.amdhsa_system_sgpr_workgroup_id_y 1
		.amdhsa_system_sgpr_workgroup_id_z 1
		.amdhsa_system_sgpr_workgroup_info 0
		.amdhsa_system_vgpr_workitem_id 1
		.amdhsa_next_free_vgpr 27
		.amdhsa_next_free_sgpr 40
		.amdhsa_reserve_vcc 1
		.amdhsa_float_round_mode_32 0
		.amdhsa_float_round_mode_16_64 0
		.amdhsa_float_denorm_mode_32 3
		.amdhsa_float_denorm_mode_16_64 3
		.amdhsa_fp16_overflow 0
		.amdhsa_workgroup_processor_mode 1
		.amdhsa_memory_ordered 1
		.amdhsa_forward_progress 1
		.amdhsa_inst_pref_size 24
		.amdhsa_round_robin_scheduling 0
		.amdhsa_exception_fp_ieee_invalid_op 0
		.amdhsa_exception_fp_denorm_src 0
		.amdhsa_exception_fp_ieee_div_zero 0
		.amdhsa_exception_fp_ieee_overflow 0
		.amdhsa_exception_fp_ieee_underflow 0
		.amdhsa_exception_fp_ieee_inexact 0
		.amdhsa_exception_int_div_zero 0
	.end_amdhsa_kernel
	.section	.text._ZL39rocblas_trsm_block_forward_substitutionI19rocblas_complex_numIfES1_PKPKS1_PKPS1_Lb0ELb0ELb0EEv18rocblas_operation_llT0_T1_lllT2_lllib,"axG",@progbits,_ZL39rocblas_trsm_block_forward_substitutionI19rocblas_complex_numIfES1_PKPKS1_PKPS1_Lb0ELb0ELb0EEv18rocblas_operation_llT0_T1_lllT2_lllib,comdat
.Lfunc_end178:
	.size	_ZL39rocblas_trsm_block_forward_substitutionI19rocblas_complex_numIfES1_PKPKS1_PKPS1_Lb0ELb0ELb0EEv18rocblas_operation_llT0_T1_lllT2_lllib, .Lfunc_end178-_ZL39rocblas_trsm_block_forward_substitutionI19rocblas_complex_numIfES1_PKPKS1_PKPS1_Lb0ELb0ELb0EEv18rocblas_operation_llT0_T1_lllT2_lllib
                                        ; -- End function
	.set _ZL39rocblas_trsm_block_forward_substitutionI19rocblas_complex_numIfES1_PKPKS1_PKPS1_Lb0ELb0ELb0EEv18rocblas_operation_llT0_T1_lllT2_lllib.num_vgpr, 27
	.set _ZL39rocblas_trsm_block_forward_substitutionI19rocblas_complex_numIfES1_PKPKS1_PKPS1_Lb0ELb0ELb0EEv18rocblas_operation_llT0_T1_lllT2_lllib.num_agpr, 0
	.set _ZL39rocblas_trsm_block_forward_substitutionI19rocblas_complex_numIfES1_PKPKS1_PKPS1_Lb0ELb0ELb0EEv18rocblas_operation_llT0_T1_lllT2_lllib.numbered_sgpr, 40
	.set _ZL39rocblas_trsm_block_forward_substitutionI19rocblas_complex_numIfES1_PKPKS1_PKPS1_Lb0ELb0ELb0EEv18rocblas_operation_llT0_T1_lllT2_lllib.num_named_barrier, 0
	.set _ZL39rocblas_trsm_block_forward_substitutionI19rocblas_complex_numIfES1_PKPKS1_PKPS1_Lb0ELb0ELb0EEv18rocblas_operation_llT0_T1_lllT2_lllib.private_seg_size, 0
	.set _ZL39rocblas_trsm_block_forward_substitutionI19rocblas_complex_numIfES1_PKPKS1_PKPS1_Lb0ELb0ELb0EEv18rocblas_operation_llT0_T1_lllT2_lllib.uses_vcc, 1
	.set _ZL39rocblas_trsm_block_forward_substitutionI19rocblas_complex_numIfES1_PKPKS1_PKPS1_Lb0ELb0ELb0EEv18rocblas_operation_llT0_T1_lllT2_lllib.uses_flat_scratch, 0
	.set _ZL39rocblas_trsm_block_forward_substitutionI19rocblas_complex_numIfES1_PKPKS1_PKPS1_Lb0ELb0ELb0EEv18rocblas_operation_llT0_T1_lllT2_lllib.has_dyn_sized_stack, 0
	.set _ZL39rocblas_trsm_block_forward_substitutionI19rocblas_complex_numIfES1_PKPKS1_PKPS1_Lb0ELb0ELb0EEv18rocblas_operation_llT0_T1_lllT2_lllib.has_recursion, 0
	.set _ZL39rocblas_trsm_block_forward_substitutionI19rocblas_complex_numIfES1_PKPKS1_PKPS1_Lb0ELb0ELb0EEv18rocblas_operation_llT0_T1_lllT2_lllib.has_indirect_call, 0
	.section	.AMDGPU.csdata,"",@progbits
; Kernel info:
; codeLenInByte = 2952
; TotalNumSgprs: 42
; NumVgprs: 27
; ScratchSize: 0
; MemoryBound: 0
; FloatMode: 240
; IeeeMode: 1
; LDSByteSize: 0 bytes/workgroup (compile time only)
; SGPRBlocks: 0
; VGPRBlocks: 3
; NumSGPRsForWavesPerEU: 42
; NumVGPRsForWavesPerEU: 27
; Occupancy: 16
; WaveLimiterHint : 1
; COMPUTE_PGM_RSRC2:SCRATCH_EN: 0
; COMPUTE_PGM_RSRC2:USER_SGPR: 2
; COMPUTE_PGM_RSRC2:TRAP_HANDLER: 0
; COMPUTE_PGM_RSRC2:TGID_X_EN: 1
; COMPUTE_PGM_RSRC2:TGID_Y_EN: 1
; COMPUTE_PGM_RSRC2:TGID_Z_EN: 1
; COMPUTE_PGM_RSRC2:TIDIG_COMP_CNT: 1
	.section	.text._ZL40rocblas_trsm_block_backward_substitutionI19rocblas_complex_numIfES1_PKPKS1_PKPS1_Lb0ELb0ELb0EEv18rocblas_operation_llT0_T1_lllT2_lllib,"axG",@progbits,_ZL40rocblas_trsm_block_backward_substitutionI19rocblas_complex_numIfES1_PKPKS1_PKPS1_Lb0ELb0ELb0EEv18rocblas_operation_llT0_T1_lllT2_lllib,comdat
	.globl	_ZL40rocblas_trsm_block_backward_substitutionI19rocblas_complex_numIfES1_PKPKS1_PKPS1_Lb0ELb0ELb0EEv18rocblas_operation_llT0_T1_lllT2_lllib ; -- Begin function _ZL40rocblas_trsm_block_backward_substitutionI19rocblas_complex_numIfES1_PKPKS1_PKPS1_Lb0ELb0ELb0EEv18rocblas_operation_llT0_T1_lllT2_lllib
	.p2align	8
	.type	_ZL40rocblas_trsm_block_backward_substitutionI19rocblas_complex_numIfES1_PKPKS1_PKPS1_Lb0ELb0ELb0EEv18rocblas_operation_llT0_T1_lllT2_lllib,@function
_ZL40rocblas_trsm_block_backward_substitutionI19rocblas_complex_numIfES1_PKPKS1_PKPS1_Lb0ELb0ELb0EEv18rocblas_operation_llT0_T1_lllT2_lllib: ; @_ZL40rocblas_trsm_block_backward_substitutionI19rocblas_complex_numIfES1_PKPKS1_PKPS1_Lb0ELb0ELb0EEv18rocblas_operation_llT0_T1_lllT2_lllib
; %bb.0:
	s_load_b64 s[16:17], s[0:1], 0x60
	s_lshr_b32 s18, ttmp7, 16
	s_wait_kmcnt 0x0
	s_cmp_ge_u32 s18, s16
	s_cbranch_scc1 .LBB179_46
; %bb.1:
	s_mov_b64 s[26:27], src_shared_base
	s_clause 0x7
	s_load_b64 s[20:21], s[0:1], 0x30
	s_load_b32 s26, s[0:1], 0x0
	s_load_b64 s[2:3], s[0:1], 0x50
	s_load_b128 s[4:7], s[0:1], 0x8
	s_load_u16 s33, s[0:1], 0x76
	s_load_b64 s[22:23], s[0:1], 0x18
	s_load_b128 s[8:11], s[0:1], 0x20
	s_load_b128 s[12:15], s[0:1], 0x40
	s_bitcmp1_b32 s17, 0
	s_add_nc_u64 s[24:25], s[0:1], 0x68
	s_cselect_b32 s0, -1, 0
	v_dual_mov_b32 v3, 0 :: v_dual_and_b32 v2, 0x3ff, v0
	v_bfe_u32 v1, v0, 10, 10
	s_xor_b32 s17, s0, -1
	v_cndmask_b32_e64 v0, 0, 1, s0
	s_mov_b32 s19, 0
	v_lshlrev_b32_e32 v22, 3, v2
	v_lshl_add_u32 v24, v1, 3, 0
	v_lshlrev_b32_e32 v25, 3, v2
	s_wait_kmcnt 0x0
	v_mad_co_u64_u32 v[4:5], null, s20, v2, 0
	s_cmp_lg_u32 s26, 0x71
	v_mad_co_u64_u32 v[6:7], null, s2, v2, 0
	s_cselect_b32 s38, -1, 0
	s_and_b32 s0, ttmp7, 0xffff
	s_lshl_b32 s1, s33, 3
	s_wait_alu 0xfffe
	v_mad_co_u64_u32 v[8:9], null, s0, s33, v[1:2]
	v_mov_b32_e32 v9, v3
	v_mad_co_u64_u32 v[10:11], null, s21, v2, v[5:6]
	v_cmp_le_i64_e64 s39, s[4:5], v[2:3]
	v_cmp_gt_i64_e64 s0, s[4:5], v[2:3]
	s_add_co_i32 s26, s1, 0
	v_mad_co_u64_u32 v[11:12], null, s3, v2, v[7:8]
	v_cmp_gt_i64_e32 vcc_lo, s[6:7], v[8:9]
	v_mov_b32_e32 v5, v10
	v_cmp_gt_i64_e64 s41, s[4:5], 0
	v_lshlrev_b64_e32 v[8:9], 3, v[8:9]
	v_cmp_gt_i64_e64 s42, s[4:5], 1
	v_add_nc_u32_e32 v23, s26, v22
	v_mov_b32_e32 v7, v11
	v_lshlrev_b64_e32 v[4:5], 3, v[4:5]
	v_cmp_eq_u32_e64 s1, 0, v2
	s_add_nc_u64 s[6:7], s[4:5], -1
	s_and_b32 s40, vcc_lo, s0
	v_lshlrev_b64_e32 v[6:7], 3, v[6:7]
	s_wait_alu 0xfffe
	s_lshl_b64 s[28:29], s[6:7], 3
	s_lshl_b64 s[10:11], s[10:11], 3
	s_xor_b32 s43, s39, -1
	s_lshl_b64 s[14:15], s[14:15], 3
	s_branch .LBB179_6
.LBB179_2:                              ;   in Loop: Header=BB179_6 Depth=1
	s_wait_alu 0xfffe
	s_or_b32 exec_lo, exec_lo, s2
.LBB179_3:                              ;   in Loop: Header=BB179_6 Depth=1
	s_wait_loadcnt_dscnt 0x0
	v_mul_f32_e32 v16, v13, v15
	v_mul_f32_e32 v13, v13, v14
	s_delay_alu instid0(VALU_DEP_2) | instskip(NEXT) | instid1(VALU_DEP_1)
	v_fma_f32 v14, v12, v14, -v16
	v_dual_fmac_f32 v13, v12, v15 :: v_dual_mov_b32 v12, v14
.LBB179_4:                              ;   in Loop: Header=BB179_6 Depth=1
	s_wait_alu 0xfffe
	s_or_b32 exec_lo, exec_lo, s34
	flat_store_b64 v[10:11], v[12:13]
.LBB179_5:                              ;   in Loop: Header=BB179_6 Depth=1
	s_or_b32 exec_lo, exec_lo, s44
	s_add_co_i32 s18, s18, 0x10000
	s_delay_alu instid0(SALU_CYCLE_1)
	s_cmp_lt_u32 s18, s16
	s_cbranch_scc0 .LBB179_46
.LBB179_6:                              ; =>This Loop Header: Depth=1
                                        ;     Child Loop BB179_12 Depth 2
                                        ;     Child Loop BB179_27 Depth 2
	s_lshl_b64 s[2:3], s[18:19], 3
	v_cmp_ne_u32_e32 vcc_lo, 1, v0
	s_wait_alu 0xfffe
	s_add_nc_u64 s[30:31], s[8:9], s[2:3]
	s_add_nc_u64 s[2:3], s[12:13], s[2:3]
	global_load_b64 v[12:13], v3, s[30:31]
	s_wait_loadcnt 0x1
	global_load_b64 v[10:11], v3, s[2:3]
	s_and_b32 vcc_lo, exec_lo, vcc_lo
	s_mov_b64 s[30:31], s[20:21]
	s_wait_loadcnt 0x1
	v_add_co_u32 v14, s2, v12, s10
	s_wait_alu 0xf1fe
	v_add_co_ci_u32_e64 v15, null, s11, v13, s2
	s_mov_b64 s[2:3], 1
	s_cbranch_vccz .LBB179_8
; %bb.7:                                ;   in Loop: Header=BB179_6 Depth=1
	s_and_saveexec_b32 s44, s40
	s_cbranch_execz .LBB179_5
	s_branch .LBB179_23
.LBB179_8:                              ;   in Loop: Header=BB179_6 Depth=1
	s_and_not1_b32 vcc_lo, exec_lo, s41
	s_wait_alu 0xfffe
	s_cbranch_vccnz .LBB179_22
; %bb.9:                                ;   in Loop: Header=BB179_6 Depth=1
	v_add_co_u32 v19, vcc_lo, v14, v4
	s_wait_alu 0xfffd
	v_add_co_ci_u32_e64 v20, null, v15, v5, vcc_lo
	v_mov_b32_e32 v14, v1
	s_delay_alu instid0(VALU_DEP_3) | instskip(SKIP_1) | instid1(VALU_DEP_3)
	v_add_co_u32 v12, vcc_lo, v19, v25
	s_wait_alu 0xfffd
	v_add_co_ci_u32_e64 v13, null, 0, v20, vcc_lo
	s_mov_b32 s30, s33
	s_branch .LBB179_12
.LBB179_10:                             ;   in Loop: Header=BB179_12 Depth=2
	s_wait_alu 0xfffe
	s_or_b32 exec_lo, exec_lo, s3
	s_load_b32 s3, s[24:25], 0xc
	s_wait_kmcnt 0x0
	s_and_b32 s3, s3, 0xffff
	s_wait_alu 0xfffe
	v_mul_u32_u24_e32 v15, s3, v2
	s_delay_alu instid0(VALU_DEP_1)
	v_lshl_add_u32 v15, v15, 3, v23
	ds_store_b64 v15, v[17:18]
.LBB179_11:                             ;   in Loop: Header=BB179_12 Depth=2
	s_wait_alu 0xfffe
	s_or_b32 exec_lo, exec_lo, s2
	s_ashr_i32 s31, s30, 31
	v_add_nc_u32_e32 v14, s33, v14
	s_wait_alu 0xfffe
	v_cmp_le_i64_e64 s2, s[4:5], s[30:31]
	s_add_co_i32 s30, s30, s33
	s_and_b32 vcc_lo, exec_lo, s2
	s_wait_alu 0xfffe
	s_cbranch_vccnz .LBB179_22
.LBB179_12:                             ;   Parent Loop BB179_6 Depth=1
                                        ; =>  This Inner Loop Header: Depth=2
	s_mov_b32 s31, s39
	s_and_saveexec_b32 s3, s0
	s_cbranch_execz .LBB179_16
; %bb.13:                               ;   in Loop: Header=BB179_12 Depth=2
	v_ashrrev_i32_e32 v15, 31, v14
	v_cmp_lt_i32_e64 s2, v2, v14
	s_mov_b32 s31, -1
	v_cmp_gt_i64_e32 vcc_lo, s[4:5], v[14:15]
	s_wait_alu 0xfffe
	s_and_b32 s34, s2, vcc_lo
	s_wait_alu 0xfffe
	s_and_saveexec_b32 s2, s34
	s_cbranch_execz .LBB179_15
; %bb.14:                               ;   in Loop: Header=BB179_12 Depth=2
	v_lshlrev_b64_e32 v[15:16], 3, v[14:15]
	s_load_b32 s31, s[24:25], 0xc
	s_delay_alu instid0(VALU_DEP_1) | instskip(SKIP_1) | instid1(VALU_DEP_2)
	v_add_co_u32 v15, vcc_lo, v19, v15
	s_wait_alu 0xfffd
	v_add_co_ci_u32_e64 v16, null, v20, v16, vcc_lo
	flat_load_b64 v[15:16], v[15:16]
	s_wait_kmcnt 0x0
	s_and_b32 s31, s31, 0xffff
	s_wait_alu 0xfffe
	v_mul_lo_u32 v17, v14, s31
	s_xor_b32 s31, exec_lo, -1
	s_delay_alu instid0(VALU_DEP_1)
	v_lshl_add_u32 v17, v17, 3, v23
	s_wait_loadcnt_dscnt 0x0
	ds_store_b64 v17, v[15:16]
.LBB179_15:                             ;   in Loop: Header=BB179_12 Depth=2
	s_wait_alu 0xfffe
	s_or_b32 exec_lo, exec_lo, s2
	s_delay_alu instid0(SALU_CYCLE_1)
	s_and_not1_b32 s2, s39, exec_lo
	s_and_b32 s31, s31, exec_lo
	s_wait_alu 0xfffe
	s_or_b32 s31, s2, s31
.LBB179_16:                             ;   in Loop: Header=BB179_12 Depth=2
	s_wait_alu 0xfffe
	s_or_b32 exec_lo, exec_lo, s3
	s_and_saveexec_b32 s2, s31
	s_cbranch_execz .LBB179_11
; %bb.17:                               ;   in Loop: Header=BB179_12 Depth=2
	v_cmp_eq_u32_e32 vcc_lo, v2, v14
	s_and_b32 s3, s43, vcc_lo
	s_wait_alu 0xfffe
	s_and_b32 exec_lo, exec_lo, s3
	s_cbranch_execz .LBB179_11
; %bb.18:                               ;   in Loop: Header=BB179_12 Depth=2
	flat_load_b64 v[15:16], v[12:13]
                                        ; implicit-def: $vgpr17
	s_wait_loadcnt_dscnt 0x0
	v_cmp_ngt_f32_e64 s3, |v15|, |v16|
	s_and_saveexec_b32 s31, s3
	s_wait_alu 0xfffe
	s_xor_b32 s3, exec_lo, s31
	s_cbranch_execz .LBB179_20
; %bb.19:                               ;   in Loop: Header=BB179_12 Depth=2
	v_div_scale_f32 v17, null, v16, v16, v15
	v_div_scale_f32 v26, vcc_lo, v15, v16, v15
	s_delay_alu instid0(VALU_DEP_2) | instskip(NEXT) | instid1(TRANS32_DEP_1)
	v_rcp_f32_e32 v18, v17
	v_fma_f32 v21, -v17, v18, 1.0
	s_delay_alu instid0(VALU_DEP_1) | instskip(NEXT) | instid1(VALU_DEP_1)
	v_fmac_f32_e32 v18, v21, v18
	v_mul_f32_e32 v21, v26, v18
	s_delay_alu instid0(VALU_DEP_1) | instskip(NEXT) | instid1(VALU_DEP_1)
	v_fma_f32 v27, -v17, v21, v26
	v_fmac_f32_e32 v21, v27, v18
	s_delay_alu instid0(VALU_DEP_1) | instskip(SKIP_1) | instid1(VALU_DEP_1)
	v_fma_f32 v17, -v17, v21, v26
	s_wait_alu 0xfffd
	v_div_fmas_f32 v17, v17, v18, v21
	s_delay_alu instid0(VALU_DEP_1) | instskip(NEXT) | instid1(VALU_DEP_1)
	v_div_fixup_f32 v17, v17, v16, v15
	v_fmac_f32_e32 v16, v15, v17
	s_delay_alu instid0(VALU_DEP_1) | instskip(SKIP_1) | instid1(VALU_DEP_2)
	v_div_scale_f32 v15, null, v16, v16, 1.0
	v_div_scale_f32 v26, vcc_lo, 1.0, v16, 1.0
	v_rcp_f32_e32 v18, v15
	s_delay_alu instid0(TRANS32_DEP_1) | instskip(NEXT) | instid1(VALU_DEP_1)
	v_fma_f32 v21, -v15, v18, 1.0
	v_fmac_f32_e32 v18, v21, v18
	s_delay_alu instid0(VALU_DEP_1) | instskip(NEXT) | instid1(VALU_DEP_1)
	v_mul_f32_e32 v21, v26, v18
	v_fma_f32 v27, -v15, v21, v26
	s_delay_alu instid0(VALU_DEP_1) | instskip(NEXT) | instid1(VALU_DEP_1)
	v_fmac_f32_e32 v21, v27, v18
	v_fma_f32 v15, -v15, v21, v26
	s_wait_alu 0xfffd
	s_delay_alu instid0(VALU_DEP_1) | instskip(NEXT) | instid1(VALU_DEP_1)
	v_div_fmas_f32 v15, v15, v18, v21
	v_div_fixup_f32 v15, v15, v16, 1.0
	s_delay_alu instid0(VALU_DEP_1)
	v_mul_f32_e32 v17, v17, v15
	v_xor_b32_e32 v18, 0x80000000, v15
                                        ; implicit-def: $vgpr15_vgpr16
.LBB179_20:                             ;   in Loop: Header=BB179_12 Depth=2
	s_wait_alu 0xfffe
	s_and_not1_saveexec_b32 s3, s3
	s_cbranch_execz .LBB179_10
; %bb.21:                               ;   in Loop: Header=BB179_12 Depth=2
	v_div_scale_f32 v17, null, v15, v15, v16
	v_div_scale_f32 v26, vcc_lo, v16, v15, v16
	s_delay_alu instid0(VALU_DEP_2) | instskip(NEXT) | instid1(TRANS32_DEP_1)
	v_rcp_f32_e32 v18, v17
	v_fma_f32 v21, -v17, v18, 1.0
	s_delay_alu instid0(VALU_DEP_1) | instskip(NEXT) | instid1(VALU_DEP_1)
	v_fmac_f32_e32 v18, v21, v18
	v_mul_f32_e32 v21, v26, v18
	s_delay_alu instid0(VALU_DEP_1) | instskip(NEXT) | instid1(VALU_DEP_1)
	v_fma_f32 v27, -v17, v21, v26
	v_fmac_f32_e32 v21, v27, v18
	s_delay_alu instid0(VALU_DEP_1) | instskip(SKIP_1) | instid1(VALU_DEP_1)
	v_fma_f32 v17, -v17, v21, v26
	s_wait_alu 0xfffd
	v_div_fmas_f32 v17, v17, v18, v21
	s_delay_alu instid0(VALU_DEP_1) | instskip(NEXT) | instid1(VALU_DEP_1)
	v_div_fixup_f32 v18, v17, v15, v16
	v_fmac_f32_e32 v15, v16, v18
	s_delay_alu instid0(VALU_DEP_1) | instskip(NEXT) | instid1(VALU_DEP_1)
	v_div_scale_f32 v16, null, v15, v15, 1.0
	v_rcp_f32_e32 v17, v16
	s_delay_alu instid0(TRANS32_DEP_1) | instskip(NEXT) | instid1(VALU_DEP_1)
	v_fma_f32 v21, -v16, v17, 1.0
	v_fmac_f32_e32 v17, v21, v17
	v_div_scale_f32 v21, vcc_lo, 1.0, v15, 1.0
	s_delay_alu instid0(VALU_DEP_1) | instskip(NEXT) | instid1(VALU_DEP_1)
	v_mul_f32_e32 v26, v21, v17
	v_fma_f32 v27, -v16, v26, v21
	s_delay_alu instid0(VALU_DEP_1) | instskip(NEXT) | instid1(VALU_DEP_1)
	v_fmac_f32_e32 v26, v27, v17
	v_fma_f32 v16, -v16, v26, v21
	s_wait_alu 0xfffd
	s_delay_alu instid0(VALU_DEP_1) | instskip(NEXT) | instid1(VALU_DEP_1)
	v_div_fmas_f32 v16, v16, v17, v26
	v_div_fixup_f32 v17, v16, v15, 1.0
	s_delay_alu instid0(VALU_DEP_1)
	v_mul_f32_e64 v18, v18, -v17
	s_branch .LBB179_10
.LBB179_22:                             ;   in Loop: Header=BB179_6 Depth=1
	s_load_b32 s2, s[24:25], 0xc
	v_dual_mov_b32 v14, s26 :: v_dual_mov_b32 v15, s27
	s_mov_b32 s3, s19
	s_mov_b64 s[30:31], 1
	s_wait_kmcnt 0x0
	s_and_b32 s2, s2, 0xffff
	s_and_saveexec_b32 s44, s40
	s_cbranch_execz .LBB179_5
.LBB179_23:                             ;   in Loop: Header=BB179_6 Depth=1
	s_wait_loadcnt 0x0
	v_add_co_u32 v10, vcc_lo, v10, s14
	s_wait_alu 0xfffd
	v_add_co_ci_u32_e64 v11, null, s15, v11, vcc_lo
	s_delay_alu instid0(VALU_DEP_2) | instskip(SKIP_1) | instid1(VALU_DEP_2)
	v_add_co_u32 v10, vcc_lo, v10, v6
	s_wait_alu 0xfffd
	v_add_co_ci_u32_e64 v11, null, v11, v7, vcc_lo
	s_delay_alu instid0(VALU_DEP_2) | instskip(SKIP_1) | instid1(VALU_DEP_2)
	v_add_co_u32 v10, vcc_lo, v10, v8
	s_wait_alu 0xfffd
	v_add_co_ci_u32_e64 v11, null, v11, v9, vcc_lo
	s_and_not1_b32 vcc_lo, exec_lo, s42
	flat_load_b64 v[16:17], v[10:11]
	s_wait_loadcnt_dscnt 0x0
	v_mul_f32_e32 v13, s22, v17
	s_delay_alu instid0(VALU_DEP_1) | instskip(NEXT) | instid1(VALU_DEP_1)
	v_dual_mul_f32 v12, s23, v17 :: v_dual_fmac_f32 v13, s23, v16
	v_fma_f32 v12, s22, v16, -v12
	s_wait_alu 0xfffe
	s_cbranch_vccnz .LBB179_40
; %bb.24:                               ;   in Loop: Header=BB179_6 Depth=1
	s_mul_u64 s[36:37], s[28:29], s[2:3]
	s_add_nc_u64 s[34:35], s[2:3], s[30:31]
	s_wait_alu 0xfffe
	v_add_co_u32 v18, vcc_lo, v14, s36
	s_wait_alu 0xfffd
	v_add_co_ci_u32_e64 v19, null, s37, v15, vcc_lo
	v_mad_co_u64_u32 v[16:17], null, s34, v2, 0
	s_lshl_b32 s34, s2, 3
	v_mad_co_u64_u32 v[18:19], null, v22, s30, v[18:19]
	s_mov_b64 s[36:37], s[6:7]
	v_mad_co_u64_u32 v[20:21], null, s35, v2, v[17:18]
	s_mov_b32 s35, s19
	s_wait_alu 0xfffe
	s_sub_nc_u64 s[34:35], 0, s[34:35]
	v_mov_b32_e32 v17, v20
	v_mad_co_u64_u32 v[19:20], null, v22, s31, v[19:20]
	s_delay_alu instid0(VALU_DEP_2) | instskip(SKIP_2) | instid1(VALU_DEP_3)
	v_lshlrev_b64_e32 v[20:21], 3, v[16:17]
	v_add_co_u32 v16, vcc_lo, v18, 4
	s_wait_alu 0xfffd
	v_add_co_ci_u32_e64 v17, null, 0, v19, vcc_lo
	s_delay_alu instid0(VALU_DEP_3)
	v_add_co_u32 v18, vcc_lo, v14, v20
	s_wait_alu 0xfffd
	v_add_co_ci_u32_e64 v19, null, v15, v21, vcc_lo
	s_branch .LBB179_27
.LBB179_25:                             ;   in Loop: Header=BB179_27 Depth=2
	ds_load_b64 v[26:27], v24
	s_wait_loadcnt_dscnt 0x0
	v_dual_mul_f32 v28, v21, v27 :: v_dual_mul_f32 v27, v27, v20
	s_delay_alu instid0(VALU_DEP_1) | instskip(NEXT) | instid1(VALU_DEP_1)
	v_fma_f32 v20, v26, v20, -v28
	v_dual_fmac_f32 v27, v21, v26 :: v_dual_sub_f32 v12, v12, v20
	s_delay_alu instid0(VALU_DEP_1)
	v_sub_f32_e32 v13, v13, v27
.LBB179_26:                             ;   in Loop: Header=BB179_27 Depth=2
	s_or_b32 exec_lo, exec_lo, s45
	s_add_nc_u64 s[46:47], s[36:37], 1
	s_wait_alu 0xfffe
	v_add_co_u32 v16, vcc_lo, v16, s34
	v_cmp_lt_u64_e64 s45, s[46:47], 3
	s_wait_alu 0xfffd
	v_add_co_ci_u32_e64 v17, null, s35, v17, vcc_lo
	s_add_nc_u64 s[36:37], s[36:37], -1
	s_and_b32 vcc_lo, exec_lo, s45
	s_wait_alu 0xfffe
	s_cbranch_vccnz .LBB179_40
.LBB179_27:                             ;   Parent Loop BB179_6 Depth=1
                                        ; =>  This Inner Loop Header: Depth=2
	s_mov_b32 s45, exec_lo
	s_barrier_signal -1
	s_barrier_wait -1
	global_inv scope:SCOPE_SE
	v_cmpx_eq_u64_e64 s[36:37], v[2:3]
	s_cbranch_execz .LBB179_35
; %bb.28:                               ;   in Loop: Header=BB179_27 Depth=2
	flat_load_b64 v[20:21], v[18:19]
	s_and_not1_b32 vcc_lo, exec_lo, s17
	s_wait_alu 0xfffe
	s_cbranch_vccnz .LBB179_34
; %bb.29:                               ;   in Loop: Header=BB179_27 Depth=2
	s_wait_loadcnt_dscnt 0x0
	v_cmp_ngt_f32_e64 s46, |v20|, |v21|
	s_and_saveexec_b32 s47, s46
	s_wait_alu 0xfffe
	s_xor_b32 s46, exec_lo, s47
	s_cbranch_execz .LBB179_31
; %bb.30:                               ;   in Loop: Header=BB179_27 Depth=2
	v_div_scale_f32 v26, null, v21, v21, v20
	v_div_scale_f32 v29, vcc_lo, v20, v21, v20
	s_delay_alu instid0(VALU_DEP_2) | instskip(NEXT) | instid1(TRANS32_DEP_1)
	v_rcp_f32_e32 v27, v26
	v_fma_f32 v28, -v26, v27, 1.0
	s_delay_alu instid0(VALU_DEP_1) | instskip(NEXT) | instid1(VALU_DEP_1)
	v_fmac_f32_e32 v27, v28, v27
	v_mul_f32_e32 v28, v29, v27
	s_delay_alu instid0(VALU_DEP_1) | instskip(NEXT) | instid1(VALU_DEP_1)
	v_fma_f32 v30, -v26, v28, v29
	v_fmac_f32_e32 v28, v30, v27
	s_delay_alu instid0(VALU_DEP_1) | instskip(SKIP_1) | instid1(VALU_DEP_1)
	v_fma_f32 v26, -v26, v28, v29
	s_wait_alu 0xfffd
	v_div_fmas_f32 v26, v26, v27, v28
	s_delay_alu instid0(VALU_DEP_1) | instskip(NEXT) | instid1(VALU_DEP_1)
	v_div_fixup_f32 v26, v26, v21, v20
	v_fmac_f32_e32 v21, v20, v26
	s_delay_alu instid0(VALU_DEP_1) | instskip(SKIP_1) | instid1(VALU_DEP_2)
	v_div_scale_f32 v20, null, v21, v21, 1.0
	v_div_scale_f32 v29, vcc_lo, 1.0, v21, 1.0
	v_rcp_f32_e32 v27, v20
	s_delay_alu instid0(TRANS32_DEP_1) | instskip(NEXT) | instid1(VALU_DEP_1)
	v_fma_f32 v28, -v20, v27, 1.0
	v_fmac_f32_e32 v27, v28, v27
	s_delay_alu instid0(VALU_DEP_1) | instskip(NEXT) | instid1(VALU_DEP_1)
	v_mul_f32_e32 v28, v29, v27
	v_fma_f32 v30, -v20, v28, v29
	s_delay_alu instid0(VALU_DEP_1) | instskip(NEXT) | instid1(VALU_DEP_1)
	v_fmac_f32_e32 v28, v30, v27
	v_fma_f32 v20, -v20, v28, v29
	s_wait_alu 0xfffd
	s_delay_alu instid0(VALU_DEP_1) | instskip(NEXT) | instid1(VALU_DEP_1)
	v_div_fmas_f32 v20, v20, v27, v28
	v_div_fixup_f32 v21, v20, v21, 1.0
	s_delay_alu instid0(VALU_DEP_1)
	v_mul_f32_e32 v20, v26, v21
	v_xor_b32_e32 v21, 0x80000000, v21
.LBB179_31:                             ;   in Loop: Header=BB179_27 Depth=2
	s_wait_alu 0xfffe
	s_and_not1_saveexec_b32 s46, s46
	s_cbranch_execz .LBB179_33
; %bb.32:                               ;   in Loop: Header=BB179_27 Depth=2
	s_delay_alu instid0(VALU_DEP_1) | instskip(SKIP_1) | instid1(VALU_DEP_2)
	v_div_scale_f32 v26, null, v20, v20, v21
	v_div_scale_f32 v29, vcc_lo, v21, v20, v21
	v_rcp_f32_e32 v27, v26
	s_delay_alu instid0(TRANS32_DEP_1) | instskip(NEXT) | instid1(VALU_DEP_1)
	v_fma_f32 v28, -v26, v27, 1.0
	v_fmac_f32_e32 v27, v28, v27
	s_delay_alu instid0(VALU_DEP_1) | instskip(NEXT) | instid1(VALU_DEP_1)
	v_mul_f32_e32 v28, v29, v27
	v_fma_f32 v30, -v26, v28, v29
	s_delay_alu instid0(VALU_DEP_1) | instskip(NEXT) | instid1(VALU_DEP_1)
	v_fmac_f32_e32 v28, v30, v27
	v_fma_f32 v26, -v26, v28, v29
	s_wait_alu 0xfffd
	s_delay_alu instid0(VALU_DEP_1) | instskip(NEXT) | instid1(VALU_DEP_1)
	v_div_fmas_f32 v26, v26, v27, v28
	v_div_fixup_f32 v26, v26, v20, v21
	s_delay_alu instid0(VALU_DEP_1) | instskip(NEXT) | instid1(VALU_DEP_1)
	v_fmac_f32_e32 v20, v21, v26
	v_div_scale_f32 v21, null, v20, v20, 1.0
	s_delay_alu instid0(VALU_DEP_1) | instskip(NEXT) | instid1(TRANS32_DEP_1)
	v_rcp_f32_e32 v27, v21
	v_fma_f32 v28, -v21, v27, 1.0
	s_delay_alu instid0(VALU_DEP_1) | instskip(SKIP_1) | instid1(VALU_DEP_1)
	v_fmac_f32_e32 v27, v28, v27
	v_div_scale_f32 v28, vcc_lo, 1.0, v20, 1.0
	v_mul_f32_e32 v29, v28, v27
	s_delay_alu instid0(VALU_DEP_1) | instskip(NEXT) | instid1(VALU_DEP_1)
	v_fma_f32 v30, -v21, v29, v28
	v_fmac_f32_e32 v29, v30, v27
	s_delay_alu instid0(VALU_DEP_1) | instskip(SKIP_1) | instid1(VALU_DEP_1)
	v_fma_f32 v21, -v21, v29, v28
	s_wait_alu 0xfffd
	v_div_fmas_f32 v21, v21, v27, v29
	s_delay_alu instid0(VALU_DEP_1) | instskip(NEXT) | instid1(VALU_DEP_1)
	v_div_fixup_f32 v20, v21, v20, 1.0
	v_mul_f32_e64 v21, v26, -v20
.LBB179_33:                             ;   in Loop: Header=BB179_27 Depth=2
	s_wait_alu 0xfffe
	s_or_b32 exec_lo, exec_lo, s46
.LBB179_34:                             ;   in Loop: Header=BB179_27 Depth=2
	s_wait_loadcnt_dscnt 0x0
	s_delay_alu instid0(VALU_DEP_1) | instskip(SKIP_1) | instid1(VALU_DEP_1)
	v_mul_f32_e32 v27, v12, v21
	v_mul_f32_e32 v21, v13, v21
	v_fma_f32 v26, v12, v20, -v21
	s_delay_alu instid0(VALU_DEP_1) | instskip(NEXT) | instid1(VALU_DEP_1)
	v_dual_mov_b32 v12, v26 :: v_dual_fmac_f32 v27, v13, v20
	v_mov_b32_e32 v13, v27
	ds_store_b64 v24, v[26:27]
.LBB179_35:                             ;   in Loop: Header=BB179_27 Depth=2
	s_or_b32 exec_lo, exec_lo, s45
	s_delay_alu instid0(SALU_CYCLE_1)
	s_mov_b32 s45, exec_lo
	s_wait_loadcnt_dscnt 0x0
	s_barrier_signal -1
	s_barrier_wait -1
	global_inv scope:SCOPE_SE
	v_cmpx_gt_i64_e64 s[36:37], v[2:3]
	s_cbranch_execz .LBB179_26
; %bb.36:                               ;   in Loop: Header=BB179_27 Depth=2
	s_and_b32 vcc_lo, exec_lo, s38
	s_mov_b32 s46, -1
                                        ; implicit-def: $vgpr20
	s_wait_alu 0xfffe
	s_cbranch_vccz .LBB179_38
; %bb.37:                               ;   in Loop: Header=BB179_27 Depth=2
	flat_load_b64 v[20:21], v[16:17] offset:-4
	s_mov_b32 s46, 0
.LBB179_38:                             ;   in Loop: Header=BB179_27 Depth=2
	s_wait_alu 0xfffe
	s_and_not1_b32 vcc_lo, exec_lo, s46
	s_wait_alu 0xfffe
	s_cbranch_vccnz .LBB179_25
; %bb.39:                               ;   in Loop: Header=BB179_27 Depth=2
	s_wait_loadcnt_dscnt 0x0
	flat_load_b64 v[20:21], v[16:17] offset:-4
	s_wait_loadcnt_dscnt 0x0
	v_xor_b32_e32 v21, 0x80000000, v21
	s_branch .LBB179_25
.LBB179_40:                             ;   in Loop: Header=BB179_6 Depth=1
	s_and_saveexec_b32 s34, s1
	s_cbranch_execz .LBB179_4
; %bb.41:                               ;   in Loop: Header=BB179_6 Depth=1
	s_add_nc_u64 s[2:3], s[2:3], s[30:31]
	s_wait_alu 0xfffe
	v_mad_co_u64_u32 v[16:17], null, s2, v2, 0
	s_delay_alu instid0(VALU_DEP_1) | instskip(NEXT) | instid1(VALU_DEP_1)
	v_mad_co_u64_u32 v[17:18], null, s3, v2, v[17:18]
	v_lshlrev_b64_e32 v[16:17], 3, v[16:17]
	s_delay_alu instid0(VALU_DEP_1) | instskip(SKIP_1) | instid1(VALU_DEP_2)
	v_add_co_u32 v14, vcc_lo, v14, v16
	s_wait_alu 0xfffd
	v_add_co_ci_u32_e64 v15, null, v15, v17, vcc_lo
	s_and_not1_b32 vcc_lo, exec_lo, s17
	flat_load_b64 v[14:15], v[14:15]
	s_wait_alu 0xfffe
	s_cbranch_vccnz .LBB179_3
; %bb.42:                               ;   in Loop: Header=BB179_6 Depth=1
	s_wait_loadcnt_dscnt 0x0
	v_cmp_ngt_f32_e64 s2, |v14|, |v15|
	s_and_saveexec_b32 s3, s2
	s_wait_alu 0xfffe
	s_xor_b32 s2, exec_lo, s3
	s_cbranch_execz .LBB179_44
; %bb.43:                               ;   in Loop: Header=BB179_6 Depth=1
	v_div_scale_f32 v16, null, v15, v15, v14
	v_div_scale_f32 v19, vcc_lo, v14, v15, v14
	s_delay_alu instid0(VALU_DEP_2) | instskip(NEXT) | instid1(TRANS32_DEP_1)
	v_rcp_f32_e32 v17, v16
	v_fma_f32 v18, -v16, v17, 1.0
	s_delay_alu instid0(VALU_DEP_1) | instskip(NEXT) | instid1(VALU_DEP_1)
	v_fmac_f32_e32 v17, v18, v17
	v_mul_f32_e32 v18, v19, v17
	s_delay_alu instid0(VALU_DEP_1) | instskip(NEXT) | instid1(VALU_DEP_1)
	v_fma_f32 v20, -v16, v18, v19
	v_fmac_f32_e32 v18, v20, v17
	s_delay_alu instid0(VALU_DEP_1) | instskip(SKIP_1) | instid1(VALU_DEP_1)
	v_fma_f32 v16, -v16, v18, v19
	s_wait_alu 0xfffd
	v_div_fmas_f32 v16, v16, v17, v18
	s_delay_alu instid0(VALU_DEP_1) | instskip(NEXT) | instid1(VALU_DEP_1)
	v_div_fixup_f32 v16, v16, v15, v14
	v_fmac_f32_e32 v15, v14, v16
	s_delay_alu instid0(VALU_DEP_1) | instskip(SKIP_1) | instid1(VALU_DEP_2)
	v_div_scale_f32 v14, null, v15, v15, 1.0
	v_div_scale_f32 v19, vcc_lo, 1.0, v15, 1.0
	v_rcp_f32_e32 v17, v14
	s_delay_alu instid0(TRANS32_DEP_1) | instskip(NEXT) | instid1(VALU_DEP_1)
	v_fma_f32 v18, -v14, v17, 1.0
	v_fmac_f32_e32 v17, v18, v17
	s_delay_alu instid0(VALU_DEP_1) | instskip(NEXT) | instid1(VALU_DEP_1)
	v_mul_f32_e32 v18, v19, v17
	v_fma_f32 v20, -v14, v18, v19
	s_delay_alu instid0(VALU_DEP_1) | instskip(NEXT) | instid1(VALU_DEP_1)
	v_fmac_f32_e32 v18, v20, v17
	v_fma_f32 v14, -v14, v18, v19
	s_wait_alu 0xfffd
	s_delay_alu instid0(VALU_DEP_1) | instskip(NEXT) | instid1(VALU_DEP_1)
	v_div_fmas_f32 v14, v14, v17, v18
	v_div_fixup_f32 v15, v14, v15, 1.0
	s_delay_alu instid0(VALU_DEP_1)
	v_mul_f32_e32 v14, v16, v15
	v_xor_b32_e32 v15, 0x80000000, v15
.LBB179_44:                             ;   in Loop: Header=BB179_6 Depth=1
	s_wait_alu 0xfffe
	s_and_not1_saveexec_b32 s2, s2
	s_cbranch_execz .LBB179_2
; %bb.45:                               ;   in Loop: Header=BB179_6 Depth=1
	s_delay_alu instid0(VALU_DEP_1) | instskip(SKIP_1) | instid1(VALU_DEP_2)
	v_div_scale_f32 v16, null, v14, v14, v15
	v_div_scale_f32 v19, vcc_lo, v15, v14, v15
	v_rcp_f32_e32 v17, v16
	s_delay_alu instid0(TRANS32_DEP_1) | instskip(NEXT) | instid1(VALU_DEP_1)
	v_fma_f32 v18, -v16, v17, 1.0
	v_fmac_f32_e32 v17, v18, v17
	s_delay_alu instid0(VALU_DEP_1) | instskip(NEXT) | instid1(VALU_DEP_1)
	v_mul_f32_e32 v18, v19, v17
	v_fma_f32 v20, -v16, v18, v19
	s_delay_alu instid0(VALU_DEP_1) | instskip(NEXT) | instid1(VALU_DEP_1)
	v_fmac_f32_e32 v18, v20, v17
	v_fma_f32 v16, -v16, v18, v19
	s_wait_alu 0xfffd
	s_delay_alu instid0(VALU_DEP_1) | instskip(NEXT) | instid1(VALU_DEP_1)
	v_div_fmas_f32 v16, v16, v17, v18
	v_div_fixup_f32 v16, v16, v14, v15
	s_delay_alu instid0(VALU_DEP_1) | instskip(NEXT) | instid1(VALU_DEP_1)
	v_fmac_f32_e32 v14, v15, v16
	v_div_scale_f32 v15, null, v14, v14, 1.0
	s_delay_alu instid0(VALU_DEP_1) | instskip(NEXT) | instid1(TRANS32_DEP_1)
	v_rcp_f32_e32 v17, v15
	v_fma_f32 v18, -v15, v17, 1.0
	s_delay_alu instid0(VALU_DEP_1) | instskip(SKIP_1) | instid1(VALU_DEP_1)
	v_fmac_f32_e32 v17, v18, v17
	v_div_scale_f32 v18, vcc_lo, 1.0, v14, 1.0
	v_mul_f32_e32 v19, v18, v17
	s_delay_alu instid0(VALU_DEP_1) | instskip(NEXT) | instid1(VALU_DEP_1)
	v_fma_f32 v20, -v15, v19, v18
	v_fmac_f32_e32 v19, v20, v17
	s_delay_alu instid0(VALU_DEP_1) | instskip(SKIP_1) | instid1(VALU_DEP_1)
	v_fma_f32 v15, -v15, v19, v18
	s_wait_alu 0xfffd
	v_div_fmas_f32 v15, v15, v17, v19
	s_delay_alu instid0(VALU_DEP_1) | instskip(NEXT) | instid1(VALU_DEP_1)
	v_div_fixup_f32 v14, v15, v14, 1.0
	v_mul_f32_e64 v15, v16, -v14
	s_branch .LBB179_2
.LBB179_46:
	s_endpgm
	.section	.rodata,"a",@progbits
	.p2align	6, 0x0
	.amdhsa_kernel _ZL40rocblas_trsm_block_backward_substitutionI19rocblas_complex_numIfES1_PKPKS1_PKPS1_Lb0ELb0ELb0EEv18rocblas_operation_llT0_T1_lllT2_lllib
		.amdhsa_group_segment_fixed_size 0
		.amdhsa_private_segment_fixed_size 0
		.amdhsa_kernarg_size 360
		.amdhsa_user_sgpr_count 2
		.amdhsa_user_sgpr_dispatch_ptr 0
		.amdhsa_user_sgpr_queue_ptr 0
		.amdhsa_user_sgpr_kernarg_segment_ptr 1
		.amdhsa_user_sgpr_dispatch_id 0
		.amdhsa_user_sgpr_private_segment_size 0
		.amdhsa_wavefront_size32 1
		.amdhsa_uses_dynamic_stack 0
		.amdhsa_enable_private_segment 0
		.amdhsa_system_sgpr_workgroup_id_x 1
		.amdhsa_system_sgpr_workgroup_id_y 1
		.amdhsa_system_sgpr_workgroup_id_z 1
		.amdhsa_system_sgpr_workgroup_info 0
		.amdhsa_system_vgpr_workitem_id 1
		.amdhsa_next_free_vgpr 31
		.amdhsa_next_free_sgpr 48
		.amdhsa_reserve_vcc 1
		.amdhsa_float_round_mode_32 0
		.amdhsa_float_round_mode_16_64 0
		.amdhsa_float_denorm_mode_32 3
		.amdhsa_float_denorm_mode_16_64 3
		.amdhsa_fp16_overflow 0
		.amdhsa_workgroup_processor_mode 1
		.amdhsa_memory_ordered 1
		.amdhsa_forward_progress 1
		.amdhsa_inst_pref_size 24
		.amdhsa_round_robin_scheduling 0
		.amdhsa_exception_fp_ieee_invalid_op 0
		.amdhsa_exception_fp_denorm_src 0
		.amdhsa_exception_fp_ieee_div_zero 0
		.amdhsa_exception_fp_ieee_overflow 0
		.amdhsa_exception_fp_ieee_underflow 0
		.amdhsa_exception_fp_ieee_inexact 0
		.amdhsa_exception_int_div_zero 0
	.end_amdhsa_kernel
	.section	.text._ZL40rocblas_trsm_block_backward_substitutionI19rocblas_complex_numIfES1_PKPKS1_PKPS1_Lb0ELb0ELb0EEv18rocblas_operation_llT0_T1_lllT2_lllib,"axG",@progbits,_ZL40rocblas_trsm_block_backward_substitutionI19rocblas_complex_numIfES1_PKPKS1_PKPS1_Lb0ELb0ELb0EEv18rocblas_operation_llT0_T1_lllT2_lllib,comdat
.Lfunc_end179:
	.size	_ZL40rocblas_trsm_block_backward_substitutionI19rocblas_complex_numIfES1_PKPKS1_PKPS1_Lb0ELb0ELb0EEv18rocblas_operation_llT0_T1_lllT2_lllib, .Lfunc_end179-_ZL40rocblas_trsm_block_backward_substitutionI19rocblas_complex_numIfES1_PKPKS1_PKPS1_Lb0ELb0ELb0EEv18rocblas_operation_llT0_T1_lllT2_lllib
                                        ; -- End function
	.set _ZL40rocblas_trsm_block_backward_substitutionI19rocblas_complex_numIfES1_PKPKS1_PKPS1_Lb0ELb0ELb0EEv18rocblas_operation_llT0_T1_lllT2_lllib.num_vgpr, 31
	.set _ZL40rocblas_trsm_block_backward_substitutionI19rocblas_complex_numIfES1_PKPKS1_PKPS1_Lb0ELb0ELb0EEv18rocblas_operation_llT0_T1_lllT2_lllib.num_agpr, 0
	.set _ZL40rocblas_trsm_block_backward_substitutionI19rocblas_complex_numIfES1_PKPKS1_PKPS1_Lb0ELb0ELb0EEv18rocblas_operation_llT0_T1_lllT2_lllib.numbered_sgpr, 48
	.set _ZL40rocblas_trsm_block_backward_substitutionI19rocblas_complex_numIfES1_PKPKS1_PKPS1_Lb0ELb0ELb0EEv18rocblas_operation_llT0_T1_lllT2_lllib.num_named_barrier, 0
	.set _ZL40rocblas_trsm_block_backward_substitutionI19rocblas_complex_numIfES1_PKPKS1_PKPS1_Lb0ELb0ELb0EEv18rocblas_operation_llT0_T1_lllT2_lllib.private_seg_size, 0
	.set _ZL40rocblas_trsm_block_backward_substitutionI19rocblas_complex_numIfES1_PKPKS1_PKPS1_Lb0ELb0ELb0EEv18rocblas_operation_llT0_T1_lllT2_lllib.uses_vcc, 1
	.set _ZL40rocblas_trsm_block_backward_substitutionI19rocblas_complex_numIfES1_PKPKS1_PKPS1_Lb0ELb0ELb0EEv18rocblas_operation_llT0_T1_lllT2_lllib.uses_flat_scratch, 0
	.set _ZL40rocblas_trsm_block_backward_substitutionI19rocblas_complex_numIfES1_PKPKS1_PKPS1_Lb0ELb0ELb0EEv18rocblas_operation_llT0_T1_lllT2_lllib.has_dyn_sized_stack, 0
	.set _ZL40rocblas_trsm_block_backward_substitutionI19rocblas_complex_numIfES1_PKPKS1_PKPS1_Lb0ELb0ELb0EEv18rocblas_operation_llT0_T1_lllT2_lllib.has_recursion, 0
	.set _ZL40rocblas_trsm_block_backward_substitutionI19rocblas_complex_numIfES1_PKPKS1_PKPS1_Lb0ELb0ELb0EEv18rocblas_operation_llT0_T1_lllT2_lllib.has_indirect_call, 0
	.section	.AMDGPU.csdata,"",@progbits
; Kernel info:
; codeLenInByte = 3064
; TotalNumSgprs: 50
; NumVgprs: 31
; ScratchSize: 0
; MemoryBound: 0
; FloatMode: 240
; IeeeMode: 1
; LDSByteSize: 0 bytes/workgroup (compile time only)
; SGPRBlocks: 0
; VGPRBlocks: 3
; NumSGPRsForWavesPerEU: 50
; NumVGPRsForWavesPerEU: 31
; Occupancy: 16
; WaveLimiterHint : 1
; COMPUTE_PGM_RSRC2:SCRATCH_EN: 0
; COMPUTE_PGM_RSRC2:USER_SGPR: 2
; COMPUTE_PGM_RSRC2:TRAP_HANDLER: 0
; COMPUTE_PGM_RSRC2:TGID_X_EN: 1
; COMPUTE_PGM_RSRC2:TGID_Y_EN: 1
; COMPUTE_PGM_RSRC2:TGID_Z_EN: 1
; COMPUTE_PGM_RSRC2:TIDIG_COMP_CNT: 1
	.section	.text._ZL39rocblas_trsm_block_forward_substitutionI19rocblas_complex_numIfES1_PKPKS1_PKPS1_Lb0ELb0ELb1EEv18rocblas_operation_llT0_T1_lllT2_lllib,"axG",@progbits,_ZL39rocblas_trsm_block_forward_substitutionI19rocblas_complex_numIfES1_PKPKS1_PKPS1_Lb0ELb0ELb1EEv18rocblas_operation_llT0_T1_lllT2_lllib,comdat
	.globl	_ZL39rocblas_trsm_block_forward_substitutionI19rocblas_complex_numIfES1_PKPKS1_PKPS1_Lb0ELb0ELb1EEv18rocblas_operation_llT0_T1_lllT2_lllib ; -- Begin function _ZL39rocblas_trsm_block_forward_substitutionI19rocblas_complex_numIfES1_PKPKS1_PKPS1_Lb0ELb0ELb1EEv18rocblas_operation_llT0_T1_lllT2_lllib
	.p2align	8
	.type	_ZL39rocblas_trsm_block_forward_substitutionI19rocblas_complex_numIfES1_PKPKS1_PKPS1_Lb0ELb0ELb1EEv18rocblas_operation_llT0_T1_lllT2_lllib,@function
_ZL39rocblas_trsm_block_forward_substitutionI19rocblas_complex_numIfES1_PKPKS1_PKPS1_Lb0ELb0ELb1EEv18rocblas_operation_llT0_T1_lllT2_lllib: ; @_ZL39rocblas_trsm_block_forward_substitutionI19rocblas_complex_numIfES1_PKPKS1_PKPS1_Lb0ELb0ELb1EEv18rocblas_operation_llT0_T1_lllT2_lllib
; %bb.0:
	s_load_b64 s[2:3], s[0:1], 0x60
	s_lshr_b32 s16, ttmp7, 16
	s_wait_kmcnt 0x0
	s_cmp_ge_u32 s16, s2
	s_cbranch_scc1 .LBB180_23
; %bb.1:
	s_clause 0x3
	s_load_b32 s8, s[0:1], 0x0
	s_load_u16 s30, s[0:1], 0x76
	s_load_b64 s[26:27], s[0:1], 0x50
	s_load_b128 s[4:7], s[0:1], 0x8
	s_bitcmp1_b32 s3, 0
	v_bfe_u32 v1, v0, 10, 10
	s_cselect_b32 s3, -1, 0
	v_mov_b32_e32 v3, 0
	s_add_nc_u64 s[20:21], s[0:1], 0x68
	s_mov_b64 s[22:23], src_shared_base
	s_mov_b32 s17, 0
	s_wait_kmcnt 0x0
	s_cmp_lg_u32 s8, 0x71
	s_cselect_b32 s31, -1, 0
	s_and_b32 s8, ttmp7, 0xffff
	v_cmp_gt_i64_e64 s34, s[4:5], 1
	v_mad_co_u64_u32 v[4:5], null, s8, s30, v[1:2]
	s_clause 0x3
	s_load_b64 s[18:19], s[0:1], 0x18
	s_load_b128 s[8:11], s[0:1], 0x20
	s_load_b64 s[24:25], s[0:1], 0x30
	s_load_b128 s[12:15], s[0:1], 0x40
	v_dual_mov_b32 v5, v3 :: v_dual_and_b32 v2, 0x3ff, v0
	s_lshl_b32 s1, s30, 3
	s_delay_alu instid0(SALU_CYCLE_1) | instskip(SKIP_1) | instid1(VALU_DEP_2)
	s_add_co_i32 s22, s1, 0
	v_mad_co_u64_u32 v[6:7], null, s26, v4, 0
	v_cmp_gt_i64_e64 s0, s[4:5], v[2:3]
	v_lshlrev_b32_e32 v16, 3, v2
	v_cmp_gt_i64_e32 vcc_lo, s[6:7], v[4:5]
	v_cmp_gt_i64_e64 s1, s[4:5], 0
	s_add_nc_u64 s[6:7], s[4:5], -1
	v_dual_mov_b32 v0, v7 :: v_dual_lshlrev_b32 v9, 3, v2
	s_and_b32 s33, vcc_lo, s0
	s_wait_kmcnt 0x0
	s_lshl_b64 s[10:11], s[10:11], 3
	s_delay_alu instid0(VALU_DEP_1) | instskip(SKIP_4) | instid1(VALU_DEP_4)
	v_mad_co_u64_u32 v[7:8], null, s27, v4, v[0:1]
	v_lshl_add_u32 v0, v1, 3, 0
	v_or_b32_e32 v14, 4, v9
	v_add_nc_u32_e32 v15, s22, v9
	s_lshl_b64 s[14:15], s[14:15], 3
	v_lshlrev_b64_e32 v[4:5], 3, v[6:7]
	s_branch .LBB180_4
.LBB180_2:                              ;   in Loop: Header=BB180_4 Depth=1
	flat_store_b64 v[6:7], v[8:9]
.LBB180_3:                              ;   in Loop: Header=BB180_4 Depth=1
	s_or_b32 exec_lo, exec_lo, s35
	s_add_co_i32 s16, s16, 0x10000
	s_delay_alu instid0(SALU_CYCLE_1)
	s_cmp_lt_u32 s16, s2
	s_cbranch_scc0 .LBB180_23
.LBB180_4:                              ; =>This Loop Header: Depth=1
                                        ;     Child Loop BB180_9 Depth 2
                                        ;     Child Loop BB180_16 Depth 2
	s_lshl_b64 s[26:27], s[16:17], 3
	s_wait_alu 0xfffe
	s_add_nc_u64 s[28:29], s[8:9], s[26:27]
	s_add_nc_u64 s[26:27], s[12:13], s[26:27]
	global_load_b64 v[8:9], v3, s[28:29]
	s_wait_loadcnt 0x1
	global_load_b64 v[6:7], v3, s[26:27]
	s_wait_loadcnt 0x1
	v_add_co_u32 v10, vcc_lo, v8, s10
	s_wait_alu 0xfffd
	v_add_co_ci_u32_e64 v11, null, s11, v9, vcc_lo
	s_and_not1_b32 vcc_lo, exec_lo, s3
	s_wait_alu 0xfffe
	s_cbranch_vccz .LBB180_6
; %bb.5:                                ;   in Loop: Header=BB180_4 Depth=1
	s_and_saveexec_b32 s35, s33
	s_cbranch_execz .LBB180_3
	s_branch .LBB180_12
.LBB180_6:                              ;   in Loop: Header=BB180_4 Depth=1
	s_and_not1_b32 vcc_lo, exec_lo, s1
	s_wait_alu 0xfffe
	s_cbranch_vccnz .LBB180_11
; %bb.7:                                ;   in Loop: Header=BB180_4 Depth=1
	v_add_co_u32 v8, vcc_lo, v10, v16
	s_wait_alu 0xfffd
	v_add_co_ci_u32_e64 v9, null, 0, v11, vcc_lo
	s_mov_b32 s26, 0
	s_branch .LBB180_9
.LBB180_8:                              ;   in Loop: Header=BB180_9 Depth=2
	s_wait_alu 0xfffe
	s_or_b32 exec_lo, exec_lo, s27
	s_add_co_i32 s26, s26, s30
	s_wait_alu 0xfffe
	s_ashr_i32 s27, s26, 31
	s_wait_alu 0xfffe
	v_cmp_le_i64_e64 s27, s[4:5], s[26:27]
	s_and_b32 vcc_lo, exec_lo, s27
	s_wait_alu 0xfffe
	s_cbranch_vccnz .LBB180_11
.LBB180_9:                              ;   Parent Loop BB180_4 Depth=1
                                        ; =>  This Inner Loop Header: Depth=2
	s_wait_alu 0xfffe
	v_add_nc_u32_e32 v10, s26, v1
	s_delay_alu instid0(VALU_DEP_1)
	v_cmp_gt_i32_e32 vcc_lo, v2, v10
	s_and_b32 s28, s0, vcc_lo
	s_wait_alu 0xfffe
	s_and_saveexec_b32 s27, s28
	s_cbranch_execz .LBB180_8
; %bb.10:                               ;   in Loop: Header=BB180_9 Depth=2
	v_ashrrev_i32_e32 v13, 31, v10
	v_mul_lo_u32 v17, s25, v10
	v_mad_co_u64_u32 v[11:12], null, s24, v10, 0
	s_load_b32 s28, s[20:21], 0xc
	v_mul_lo_u32 v13, s24, v13
	s_delay_alu instid0(VALU_DEP_1) | instskip(NEXT) | instid1(VALU_DEP_1)
	v_add3_u32 v12, v12, v13, v17
	v_lshlrev_b64_e32 v[11:12], 3, v[11:12]
	s_wait_kmcnt 0x0
	s_and_b32 s28, s28, 0xffff
	s_delay_alu instid0(VALU_DEP_1) | instskip(SKIP_1) | instid1(VALU_DEP_2)
	v_add_co_u32 v11, vcc_lo, v8, v11
	s_wait_alu 0xfffd
	v_add_co_ci_u32_e64 v12, null, v9, v12, vcc_lo
	s_wait_alu 0xfffe
	v_mul_lo_u32 v10, v10, s28
	flat_load_b64 v[11:12], v[11:12]
	v_lshl_add_u32 v10, v10, 3, v15
	s_wait_loadcnt_dscnt 0x0
	ds_store_b64 v10, v[11:12]
	s_branch .LBB180_8
.LBB180_11:                             ;   in Loop: Header=BB180_4 Depth=1
	s_load_b32 s24, s[20:21], 0xc
	v_dual_mov_b32 v10, s22 :: v_dual_mov_b32 v11, s23
	s_mov_b32 s25, s17
	s_wait_kmcnt 0x0
	s_and_b32 s24, s24, 0xffff
	s_and_saveexec_b32 s35, s33
	s_cbranch_execz .LBB180_3
.LBB180_12:                             ;   in Loop: Header=BB180_4 Depth=1
	s_wait_loadcnt 0x0
	v_add_co_u32 v6, vcc_lo, v6, s14
	s_wait_alu 0xfffd
	v_add_co_ci_u32_e64 v7, null, s15, v7, vcc_lo
	s_delay_alu instid0(VALU_DEP_2) | instskip(SKIP_1) | instid1(VALU_DEP_2)
	v_add_co_u32 v6, vcc_lo, v6, v4
	s_wait_alu 0xfffd
	v_add_co_ci_u32_e64 v7, null, v7, v5, vcc_lo
	s_delay_alu instid0(VALU_DEP_2) | instskip(SKIP_1) | instid1(VALU_DEP_2)
	v_add_co_u32 v6, vcc_lo, v6, v16
	s_wait_alu 0xfffd
	v_add_co_ci_u32_e64 v7, null, 0, v7, vcc_lo
	s_and_not1_b32 vcc_lo, exec_lo, s34
	flat_load_b64 v[12:13], v[6:7]
	s_wait_loadcnt_dscnt 0x0
	v_mul_f32_e32 v9, s18, v13
	s_delay_alu instid0(VALU_DEP_1) | instskip(NEXT) | instid1(VALU_DEP_1)
	v_dual_mul_f32 v8, s19, v13 :: v_dual_fmac_f32 v9, s19, v12
	v_fma_f32 v8, s18, v12, -v8
	s_wait_alu 0xfffe
	s_cbranch_vccnz .LBB180_2
; %bb.13:                               ;   in Loop: Header=BB180_4 Depth=1
	v_add_co_u32 v10, vcc_lo, v10, v14
	s_wait_alu 0xfffd
	v_add_co_ci_u32_e64 v11, null, 0, v11, vcc_lo
	s_lshl_b64 s[26:27], s[24:25], 3
	s_mov_b64 s[28:29], 0
	s_branch .LBB180_16
.LBB180_14:                             ;   in Loop: Header=BB180_16 Depth=2
	ds_load_b64 v[17:18], v0
	s_wait_loadcnt_dscnt 0x0
	v_dual_mul_f32 v19, v13, v18 :: v_dual_mul_f32 v18, v18, v12
	s_delay_alu instid0(VALU_DEP_1) | instskip(NEXT) | instid1(VALU_DEP_2)
	v_fma_f32 v12, v17, v12, -v19
	v_fmac_f32_e32 v18, v13, v17
	s_delay_alu instid0(VALU_DEP_1)
	v_dual_sub_f32 v8, v8, v12 :: v_dual_sub_f32 v9, v9, v18
.LBB180_15:                             ;   in Loop: Header=BB180_16 Depth=2
	s_or_b32 exec_lo, exec_lo, s36
	v_add_co_u32 v10, vcc_lo, v10, s26
	s_wait_alu 0xfffd
	v_add_co_ci_u32_e64 v11, null, s27, v11, vcc_lo
	s_add_nc_u64 s[28:29], s[28:29], 1
	s_wait_alu 0xfffe
	s_cmp_eq_u64 s[6:7], s[28:29]
	s_cbranch_scc1 .LBB180_2
.LBB180_16:                             ;   Parent Loop BB180_4 Depth=1
                                        ; =>  This Inner Loop Header: Depth=2
	s_mov_b32 s36, exec_lo
	s_barrier_signal -1
	s_barrier_wait -1
	global_inv scope:SCOPE_SE
	s_wait_alu 0xfffe
	v_cmpx_eq_u64_e64 s[28:29], v[2:3]
; %bb.17:                               ;   in Loop: Header=BB180_16 Depth=2
	ds_store_b64 v0, v[8:9]
; %bb.18:                               ;   in Loop: Header=BB180_16 Depth=2
	s_or_b32 exec_lo, exec_lo, s36
	s_delay_alu instid0(SALU_CYCLE_1)
	s_mov_b32 s36, exec_lo
	s_wait_loadcnt_dscnt 0x0
	s_barrier_signal -1
	s_barrier_wait -1
	global_inv scope:SCOPE_SE
	v_cmpx_lt_u64_e64 s[28:29], v[2:3]
	s_cbranch_execz .LBB180_15
; %bb.19:                               ;   in Loop: Header=BB180_16 Depth=2
	s_and_b32 vcc_lo, exec_lo, s31
	s_mov_b32 s37, -1
                                        ; implicit-def: $vgpr12
	s_wait_alu 0xfffe
	s_cbranch_vccz .LBB180_21
; %bb.20:                               ;   in Loop: Header=BB180_16 Depth=2
	flat_load_b64 v[12:13], v[10:11] offset:-4
	s_mov_b32 s37, 0
.LBB180_21:                             ;   in Loop: Header=BB180_16 Depth=2
	s_delay_alu instid0(SALU_CYCLE_1)
	s_and_not1_b32 vcc_lo, exec_lo, s37
	s_wait_alu 0xfffe
	s_cbranch_vccnz .LBB180_14
; %bb.22:                               ;   in Loop: Header=BB180_16 Depth=2
	s_wait_loadcnt_dscnt 0x0
	flat_load_b64 v[12:13], v[10:11] offset:-4
	s_wait_loadcnt_dscnt 0x0
	v_xor_b32_e32 v13, 0x80000000, v13
	s_branch .LBB180_14
.LBB180_23:
	s_endpgm
	.section	.rodata,"a",@progbits
	.p2align	6, 0x0
	.amdhsa_kernel _ZL39rocblas_trsm_block_forward_substitutionI19rocblas_complex_numIfES1_PKPKS1_PKPS1_Lb0ELb0ELb1EEv18rocblas_operation_llT0_T1_lllT2_lllib
		.amdhsa_group_segment_fixed_size 0
		.amdhsa_private_segment_fixed_size 0
		.amdhsa_kernarg_size 360
		.amdhsa_user_sgpr_count 2
		.amdhsa_user_sgpr_dispatch_ptr 0
		.amdhsa_user_sgpr_queue_ptr 0
		.amdhsa_user_sgpr_kernarg_segment_ptr 1
		.amdhsa_user_sgpr_dispatch_id 0
		.amdhsa_user_sgpr_private_segment_size 0
		.amdhsa_wavefront_size32 1
		.amdhsa_uses_dynamic_stack 0
		.amdhsa_enable_private_segment 0
		.amdhsa_system_sgpr_workgroup_id_x 1
		.amdhsa_system_sgpr_workgroup_id_y 1
		.amdhsa_system_sgpr_workgroup_id_z 1
		.amdhsa_system_sgpr_workgroup_info 0
		.amdhsa_system_vgpr_workitem_id 1
		.amdhsa_next_free_vgpr 20
		.amdhsa_next_free_sgpr 38
		.amdhsa_reserve_vcc 1
		.amdhsa_float_round_mode_32 0
		.amdhsa_float_round_mode_16_64 0
		.amdhsa_float_denorm_mode_32 3
		.amdhsa_float_denorm_mode_16_64 3
		.amdhsa_fp16_overflow 0
		.amdhsa_workgroup_processor_mode 1
		.amdhsa_memory_ordered 1
		.amdhsa_forward_progress 1
		.amdhsa_inst_pref_size 9
		.amdhsa_round_robin_scheduling 0
		.amdhsa_exception_fp_ieee_invalid_op 0
		.amdhsa_exception_fp_denorm_src 0
		.amdhsa_exception_fp_ieee_div_zero 0
		.amdhsa_exception_fp_ieee_overflow 0
		.amdhsa_exception_fp_ieee_underflow 0
		.amdhsa_exception_fp_ieee_inexact 0
		.amdhsa_exception_int_div_zero 0
	.end_amdhsa_kernel
	.section	.text._ZL39rocblas_trsm_block_forward_substitutionI19rocblas_complex_numIfES1_PKPKS1_PKPS1_Lb0ELb0ELb1EEv18rocblas_operation_llT0_T1_lllT2_lllib,"axG",@progbits,_ZL39rocblas_trsm_block_forward_substitutionI19rocblas_complex_numIfES1_PKPKS1_PKPS1_Lb0ELb0ELb1EEv18rocblas_operation_llT0_T1_lllT2_lllib,comdat
.Lfunc_end180:
	.size	_ZL39rocblas_trsm_block_forward_substitutionI19rocblas_complex_numIfES1_PKPKS1_PKPS1_Lb0ELb0ELb1EEv18rocblas_operation_llT0_T1_lllT2_lllib, .Lfunc_end180-_ZL39rocblas_trsm_block_forward_substitutionI19rocblas_complex_numIfES1_PKPKS1_PKPS1_Lb0ELb0ELb1EEv18rocblas_operation_llT0_T1_lllT2_lllib
                                        ; -- End function
	.set _ZL39rocblas_trsm_block_forward_substitutionI19rocblas_complex_numIfES1_PKPKS1_PKPS1_Lb0ELb0ELb1EEv18rocblas_operation_llT0_T1_lllT2_lllib.num_vgpr, 20
	.set _ZL39rocblas_trsm_block_forward_substitutionI19rocblas_complex_numIfES1_PKPKS1_PKPS1_Lb0ELb0ELb1EEv18rocblas_operation_llT0_T1_lllT2_lllib.num_agpr, 0
	.set _ZL39rocblas_trsm_block_forward_substitutionI19rocblas_complex_numIfES1_PKPKS1_PKPS1_Lb0ELb0ELb1EEv18rocblas_operation_llT0_T1_lllT2_lllib.numbered_sgpr, 38
	.set _ZL39rocblas_trsm_block_forward_substitutionI19rocblas_complex_numIfES1_PKPKS1_PKPS1_Lb0ELb0ELb1EEv18rocblas_operation_llT0_T1_lllT2_lllib.num_named_barrier, 0
	.set _ZL39rocblas_trsm_block_forward_substitutionI19rocblas_complex_numIfES1_PKPKS1_PKPS1_Lb0ELb0ELb1EEv18rocblas_operation_llT0_T1_lllT2_lllib.private_seg_size, 0
	.set _ZL39rocblas_trsm_block_forward_substitutionI19rocblas_complex_numIfES1_PKPKS1_PKPS1_Lb0ELb0ELb1EEv18rocblas_operation_llT0_T1_lllT2_lllib.uses_vcc, 1
	.set _ZL39rocblas_trsm_block_forward_substitutionI19rocblas_complex_numIfES1_PKPKS1_PKPS1_Lb0ELb0ELb1EEv18rocblas_operation_llT0_T1_lllT2_lllib.uses_flat_scratch, 0
	.set _ZL39rocblas_trsm_block_forward_substitutionI19rocblas_complex_numIfES1_PKPKS1_PKPS1_Lb0ELb0ELb1EEv18rocblas_operation_llT0_T1_lllT2_lllib.has_dyn_sized_stack, 0
	.set _ZL39rocblas_trsm_block_forward_substitutionI19rocblas_complex_numIfES1_PKPKS1_PKPS1_Lb0ELb0ELb1EEv18rocblas_operation_llT0_T1_lllT2_lllib.has_recursion, 0
	.set _ZL39rocblas_trsm_block_forward_substitutionI19rocblas_complex_numIfES1_PKPKS1_PKPS1_Lb0ELb0ELb1EEv18rocblas_operation_llT0_T1_lllT2_lllib.has_indirect_call, 0
	.section	.AMDGPU.csdata,"",@progbits
; Kernel info:
; codeLenInByte = 1132
; TotalNumSgprs: 40
; NumVgprs: 20
; ScratchSize: 0
; MemoryBound: 0
; FloatMode: 240
; IeeeMode: 1
; LDSByteSize: 0 bytes/workgroup (compile time only)
; SGPRBlocks: 0
; VGPRBlocks: 2
; NumSGPRsForWavesPerEU: 40
; NumVGPRsForWavesPerEU: 20
; Occupancy: 16
; WaveLimiterHint : 1
; COMPUTE_PGM_RSRC2:SCRATCH_EN: 0
; COMPUTE_PGM_RSRC2:USER_SGPR: 2
; COMPUTE_PGM_RSRC2:TRAP_HANDLER: 0
; COMPUTE_PGM_RSRC2:TGID_X_EN: 1
; COMPUTE_PGM_RSRC2:TGID_Y_EN: 1
; COMPUTE_PGM_RSRC2:TGID_Z_EN: 1
; COMPUTE_PGM_RSRC2:TIDIG_COMP_CNT: 1
	.section	.text._ZL40rocblas_trsm_block_backward_substitutionI19rocblas_complex_numIfES1_PKPKS1_PKPS1_Lb0ELb0ELb1EEv18rocblas_operation_llT0_T1_lllT2_lllib,"axG",@progbits,_ZL40rocblas_trsm_block_backward_substitutionI19rocblas_complex_numIfES1_PKPKS1_PKPS1_Lb0ELb0ELb1EEv18rocblas_operation_llT0_T1_lllT2_lllib,comdat
	.globl	_ZL40rocblas_trsm_block_backward_substitutionI19rocblas_complex_numIfES1_PKPKS1_PKPS1_Lb0ELb0ELb1EEv18rocblas_operation_llT0_T1_lllT2_lllib ; -- Begin function _ZL40rocblas_trsm_block_backward_substitutionI19rocblas_complex_numIfES1_PKPKS1_PKPS1_Lb0ELb0ELb1EEv18rocblas_operation_llT0_T1_lllT2_lllib
	.p2align	8
	.type	_ZL40rocblas_trsm_block_backward_substitutionI19rocblas_complex_numIfES1_PKPKS1_PKPS1_Lb0ELb0ELb1EEv18rocblas_operation_llT0_T1_lllT2_lllib,@function
_ZL40rocblas_trsm_block_backward_substitutionI19rocblas_complex_numIfES1_PKPKS1_PKPS1_Lb0ELb0ELb1EEv18rocblas_operation_llT0_T1_lllT2_lllib: ; @_ZL40rocblas_trsm_block_backward_substitutionI19rocblas_complex_numIfES1_PKPKS1_PKPS1_Lb0ELb0ELb1EEv18rocblas_operation_llT0_T1_lllT2_lllib
; %bb.0:
	s_load_b64 s[2:3], s[0:1], 0x60
	s_lshr_b32 s16, ttmp7, 16
	s_wait_kmcnt 0x0
	s_cmp_ge_u32 s16, s2
	s_cbranch_scc1 .LBB181_23
; %bb.1:
	s_mov_b64 s[24:25], src_shared_base
	s_clause 0x7
	s_load_b64 s[18:19], s[0:1], 0x30
	s_load_b64 s[26:27], s[0:1], 0x50
	s_load_b32 s24, s[0:1], 0x0
	s_load_b128 s[4:7], s[0:1], 0x8
	s_load_b64 s[20:21], s[0:1], 0x18
	s_load_b128 s[8:11], s[0:1], 0x20
	s_load_u16 s33, s[0:1], 0x76
	s_load_b128 s[12:15], s[0:1], 0x40
	s_bitcmp1_b32 s3, 0
	v_dual_mov_b32 v3, 0 :: v_dual_and_b32 v2, 0x3ff, v0
	v_bfe_u32 v1, v0, 10, 10
	s_cselect_b32 s3, -1, 0
	s_add_nc_u64 s[22:23], s[0:1], 0x68
	s_delay_alu instid0(VALU_DEP_2)
	v_lshlrev_b32_e32 v0, 3, v2
	s_mov_b32 s17, 0
	v_lshl_add_u32 v18, v1, 3, 0
	s_wait_kmcnt 0x0
	v_mad_co_u64_u32 v[4:5], null, s18, v2, 0
	s_cmp_lg_u32 s24, 0x71
	v_mad_co_u64_u32 v[6:7], null, s26, v2, 0
	s_cselect_b32 s34, -1, 0
	s_and_b32 s0, ttmp7, 0xffff
	s_lshl_b32 s1, s33, 3
	v_mad_co_u64_u32 v[8:9], null, s0, s33, v[1:2]
	v_mov_b32_e32 v9, v3
	v_mad_co_u64_u32 v[10:11], null, s19, v2, v[5:6]
	v_cmp_gt_i64_e64 s0, s[4:5], v[2:3]
	s_add_co_i32 s24, s1, 0
	v_cmp_gt_i64_e64 s36, s[4:5], 0
	v_mad_co_u64_u32 v[11:12], null, s27, v2, v[7:8]
	v_cmp_gt_i64_e32 vcc_lo, s[6:7], v[8:9]
	v_mov_b32_e32 v5, v10
	v_lshlrev_b64_e32 v[8:9], 3, v[8:9]
	v_cmp_gt_i64_e64 s37, s[4:5], 1
	v_add_nc_u32_e32 v19, s24, v0
	s_add_nc_u64 s[6:7], s[4:5], -1
	v_mov_b32_e32 v7, v11
	v_lshlrev_b64_e32 v[4:5], 3, v[4:5]
	s_and_b32 s35, vcc_lo, s0
	s_wait_alu 0xfffe
	s_lshl_b64 s[26:27], s[6:7], 3
	s_lshl_b64 s[10:11], s[10:11], 3
	v_lshlrev_b64_e32 v[6:7], 3, v[6:7]
	s_lshl_b64 s[14:15], s[14:15], 3
	s_branch .LBB181_4
.LBB181_2:                              ;   in Loop: Header=BB181_4 Depth=1
	flat_store_b64 v[10:11], v[12:13]
.LBB181_3:                              ;   in Loop: Header=BB181_4 Depth=1
	s_wait_alu 0xfffe
	s_or_b32 exec_lo, exec_lo, s1
	s_add_co_i32 s16, s16, 0x10000
	s_delay_alu instid0(SALU_CYCLE_1)
	s_cmp_lt_u32 s16, s2
	s_cbranch_scc0 .LBB181_23
.LBB181_4:                              ; =>This Loop Header: Depth=1
                                        ;     Child Loop BB181_9 Depth 2
                                        ;     Child Loop BB181_16 Depth 2
	s_lshl_b64 s[28:29], s[16:17], 3
	s_wait_alu 0xfffe
	s_add_nc_u64 s[30:31], s[8:9], s[28:29]
	s_add_nc_u64 s[28:29], s[12:13], s[28:29]
	global_load_b64 v[12:13], v3, s[30:31]
	s_wait_loadcnt 0x1
	global_load_b64 v[10:11], v3, s[28:29]
	s_mov_b64 s[28:29], 1
	s_mov_b64 s[30:31], s[18:19]
	s_wait_loadcnt 0x1
	v_add_co_u32 v14, vcc_lo, v12, s10
	s_wait_alu 0xfffd
	v_add_co_ci_u32_e64 v15, null, s11, v13, vcc_lo
	s_and_not1_b32 vcc_lo, exec_lo, s3
	s_wait_alu 0xfffe
	s_cbranch_vccz .LBB181_6
; %bb.5:                                ;   in Loop: Header=BB181_4 Depth=1
	s_and_saveexec_b32 s1, s35
	s_cbranch_execz .LBB181_3
	s_branch .LBB181_12
.LBB181_6:                              ;   in Loop: Header=BB181_4 Depth=1
	s_and_not1_b32 vcc_lo, exec_lo, s36
	s_wait_alu 0xfffe
	s_cbranch_vccnz .LBB181_11
; %bb.7:                                ;   in Loop: Header=BB181_4 Depth=1
	v_add_co_u32 v14, vcc_lo, v14, v4
	s_wait_alu 0xfffd
	v_add_co_ci_u32_e64 v15, null, v15, v5, vcc_lo
	s_mov_b32 s28, 0
	s_branch .LBB181_9
.LBB181_8:                              ;   in Loop: Header=BB181_9 Depth=2
	s_wait_alu 0xfffe
	s_or_b32 exec_lo, exec_lo, s1
	s_add_co_i32 s28, s28, s33
	s_wait_alu 0xfffe
	s_ashr_i32 s29, s28, 31
	s_wait_alu 0xfffe
	v_cmp_le_i64_e64 s1, s[4:5], s[28:29]
	s_and_b32 vcc_lo, exec_lo, s1
	s_wait_alu 0xfffe
	s_cbranch_vccnz .LBB181_11
.LBB181_9:                              ;   Parent Loop BB181_4 Depth=1
                                        ; =>  This Inner Loop Header: Depth=2
	s_wait_alu 0xfffe
	v_add_nc_u32_e32 v12, s28, v1
	s_delay_alu instid0(VALU_DEP_1) | instskip(SKIP_1) | instid1(VALU_DEP_2)
	v_ashrrev_i32_e32 v13, 31, v12
	v_cmp_lt_i32_e64 s1, v2, v12
	v_cmp_gt_i64_e32 vcc_lo, s[4:5], v[12:13]
	s_and_b32 s1, s1, vcc_lo
	s_wait_alu 0xfffe
	s_and_b32 s29, s0, s1
	s_wait_alu 0xfffe
	s_and_saveexec_b32 s1, s29
	s_cbranch_execz .LBB181_8
; %bb.10:                               ;   in Loop: Header=BB181_9 Depth=2
	v_lshlrev_b64_e32 v[16:17], 3, v[12:13]
	s_load_b32 s29, s[22:23], 0xc
	s_delay_alu instid0(VALU_DEP_1) | instskip(SKIP_1) | instid1(VALU_DEP_2)
	v_add_co_u32 v16, vcc_lo, v14, v16
	s_wait_alu 0xfffd
	v_add_co_ci_u32_e64 v17, null, v15, v17, vcc_lo
	flat_load_b64 v[16:17], v[16:17]
	s_wait_kmcnt 0x0
	s_and_b32 s29, s29, 0xffff
	s_wait_alu 0xfffe
	v_mul_lo_u32 v12, v12, s29
	s_delay_alu instid0(VALU_DEP_1)
	v_lshl_add_u32 v12, v12, 3, v19
	s_wait_loadcnt_dscnt 0x0
	ds_store_b64 v12, v[16:17]
	s_branch .LBB181_8
.LBB181_11:                             ;   in Loop: Header=BB181_4 Depth=1
	s_load_b32 s1, s[22:23], 0xc
	v_dual_mov_b32 v14, s24 :: v_dual_mov_b32 v15, s25
	s_mov_b32 s29, s17
	s_mov_b64 s[30:31], 1
	s_wait_kmcnt 0x0
	s_and_b32 s28, s1, 0xffff
	s_and_saveexec_b32 s1, s35
	s_cbranch_execz .LBB181_3
.LBB181_12:                             ;   in Loop: Header=BB181_4 Depth=1
	s_wait_loadcnt 0x0
	v_add_co_u32 v10, vcc_lo, v10, s14
	s_wait_alu 0xfffd
	v_add_co_ci_u32_e64 v11, null, s15, v11, vcc_lo
	s_delay_alu instid0(VALU_DEP_2) | instskip(SKIP_1) | instid1(VALU_DEP_2)
	v_add_co_u32 v10, vcc_lo, v10, v6
	s_wait_alu 0xfffd
	v_add_co_ci_u32_e64 v11, null, v11, v7, vcc_lo
	s_delay_alu instid0(VALU_DEP_2) | instskip(SKIP_1) | instid1(VALU_DEP_2)
	v_add_co_u32 v10, vcc_lo, v10, v8
	s_wait_alu 0xfffd
	v_add_co_ci_u32_e64 v11, null, v11, v9, vcc_lo
	s_and_not1_b32 vcc_lo, exec_lo, s37
	flat_load_b64 v[16:17], v[10:11]
	s_wait_loadcnt_dscnt 0x0
	v_mul_f32_e32 v13, s20, v17
	s_delay_alu instid0(VALU_DEP_1) | instskip(NEXT) | instid1(VALU_DEP_1)
	v_dual_mul_f32 v12, s21, v17 :: v_dual_fmac_f32 v13, s21, v16
	v_fma_f32 v12, s20, v16, -v12
	s_wait_alu 0xfffe
	s_cbranch_vccnz .LBB181_2
; %bb.13:                               ;   in Loop: Header=BB181_4 Depth=1
	s_mul_u64 s[38:39], s[26:27], s[28:29]
	s_lshl_b32 s28, s28, 3
	s_wait_alu 0xfffe
	v_add_co_u32 v14, vcc_lo, v14, s38
	s_wait_alu 0xfffd
	v_add_co_ci_u32_e64 v15, null, s39, v15, vcc_lo
	s_mov_b32 s29, s17
	s_wait_alu 0xfffe
	s_sub_nc_u64 s[28:29], 0, s[28:29]
	v_mad_co_u64_u32 v[14:15], null, v0, s30, v[14:15]
	s_delay_alu instid0(VALU_DEP_1) | instskip(NEXT) | instid1(VALU_DEP_2)
	v_mad_co_u64_u32 v[15:16], null, v0, s31, v[15:16]
	v_add_co_u32 v14, vcc_lo, v14, 4
	s_mov_b64 s[30:31], s[6:7]
	s_wait_alu 0xfffd
	v_add_co_ci_u32_e64 v15, null, 0, v15, vcc_lo
	s_branch .LBB181_16
.LBB181_14:                             ;   in Loop: Header=BB181_16 Depth=2
	ds_load_b64 v[20:21], v18
	s_wait_loadcnt_dscnt 0x0
	v_mul_f32_e32 v22, v17, v21
	v_mul_f32_e32 v21, v21, v16
	s_delay_alu instid0(VALU_DEP_2) | instskip(NEXT) | instid1(VALU_DEP_2)
	v_fma_f32 v16, v20, v16, -v22
	v_fmac_f32_e32 v21, v17, v20
	s_delay_alu instid0(VALU_DEP_1)
	v_dual_sub_f32 v12, v12, v16 :: v_dual_sub_f32 v13, v13, v21
.LBB181_15:                             ;   in Loop: Header=BB181_16 Depth=2
	s_wait_alu 0xfffe
	s_or_b32 exec_lo, exec_lo, s38
	s_add_nc_u64 s[38:39], s[30:31], 1
	v_add_co_u32 v14, vcc_lo, v14, s28
	s_wait_alu 0xfffe
	v_cmp_lt_u64_e64 s38, s[38:39], 3
	s_wait_alu 0xfffd
	v_add_co_ci_u32_e64 v15, null, s29, v15, vcc_lo
	s_add_nc_u64 s[30:31], s[30:31], -1
	s_and_b32 vcc_lo, exec_lo, s38
	s_wait_alu 0xfffe
	s_cbranch_vccnz .LBB181_2
.LBB181_16:                             ;   Parent Loop BB181_4 Depth=1
                                        ; =>  This Inner Loop Header: Depth=2
	s_mov_b32 s38, exec_lo
	s_barrier_signal -1
	s_barrier_wait -1
	global_inv scope:SCOPE_SE
	s_wait_alu 0xfffe
	v_cmpx_eq_u64_e64 s[30:31], v[2:3]
; %bb.17:                               ;   in Loop: Header=BB181_16 Depth=2
	ds_store_b64 v18, v[12:13]
; %bb.18:                               ;   in Loop: Header=BB181_16 Depth=2
	s_or_b32 exec_lo, exec_lo, s38
	s_delay_alu instid0(SALU_CYCLE_1)
	s_mov_b32 s38, exec_lo
	s_wait_loadcnt_dscnt 0x0
	s_barrier_signal -1
	s_barrier_wait -1
	global_inv scope:SCOPE_SE
	v_cmpx_gt_i64_e64 s[30:31], v[2:3]
	s_cbranch_execz .LBB181_15
; %bb.19:                               ;   in Loop: Header=BB181_16 Depth=2
	s_and_b32 vcc_lo, exec_lo, s34
	s_mov_b32 s39, -1
                                        ; implicit-def: $vgpr16
	s_wait_alu 0xfffe
	s_cbranch_vccz .LBB181_21
; %bb.20:                               ;   in Loop: Header=BB181_16 Depth=2
	flat_load_b64 v[16:17], v[14:15] offset:-4
	s_mov_b32 s39, 0
.LBB181_21:                             ;   in Loop: Header=BB181_16 Depth=2
	s_wait_alu 0xfffe
	s_and_not1_b32 vcc_lo, exec_lo, s39
	s_wait_alu 0xfffe
	s_cbranch_vccnz .LBB181_14
; %bb.22:                               ;   in Loop: Header=BB181_16 Depth=2
	s_wait_loadcnt_dscnt 0x0
	flat_load_b64 v[16:17], v[14:15] offset:-4
	s_wait_loadcnt_dscnt 0x0
	v_xor_b32_e32 v17, 0x80000000, v17
	s_branch .LBB181_14
.LBB181_23:
	s_endpgm
	.section	.rodata,"a",@progbits
	.p2align	6, 0x0
	.amdhsa_kernel _ZL40rocblas_trsm_block_backward_substitutionI19rocblas_complex_numIfES1_PKPKS1_PKPS1_Lb0ELb0ELb1EEv18rocblas_operation_llT0_T1_lllT2_lllib
		.amdhsa_group_segment_fixed_size 0
		.amdhsa_private_segment_fixed_size 0
		.amdhsa_kernarg_size 360
		.amdhsa_user_sgpr_count 2
		.amdhsa_user_sgpr_dispatch_ptr 0
		.amdhsa_user_sgpr_queue_ptr 0
		.amdhsa_user_sgpr_kernarg_segment_ptr 1
		.amdhsa_user_sgpr_dispatch_id 0
		.amdhsa_user_sgpr_private_segment_size 0
		.amdhsa_wavefront_size32 1
		.amdhsa_uses_dynamic_stack 0
		.amdhsa_enable_private_segment 0
		.amdhsa_system_sgpr_workgroup_id_x 1
		.amdhsa_system_sgpr_workgroup_id_y 1
		.amdhsa_system_sgpr_workgroup_id_z 1
		.amdhsa_system_sgpr_workgroup_info 0
		.amdhsa_system_vgpr_workitem_id 1
		.amdhsa_next_free_vgpr 23
		.amdhsa_next_free_sgpr 40
		.amdhsa_reserve_vcc 1
		.amdhsa_float_round_mode_32 0
		.amdhsa_float_round_mode_16_64 0
		.amdhsa_float_denorm_mode_32 3
		.amdhsa_float_denorm_mode_16_64 3
		.amdhsa_fp16_overflow 0
		.amdhsa_workgroup_processor_mode 1
		.amdhsa_memory_ordered 1
		.amdhsa_forward_progress 1
		.amdhsa_inst_pref_size 10
		.amdhsa_round_robin_scheduling 0
		.amdhsa_exception_fp_ieee_invalid_op 0
		.amdhsa_exception_fp_denorm_src 0
		.amdhsa_exception_fp_ieee_div_zero 0
		.amdhsa_exception_fp_ieee_overflow 0
		.amdhsa_exception_fp_ieee_underflow 0
		.amdhsa_exception_fp_ieee_inexact 0
		.amdhsa_exception_int_div_zero 0
	.end_amdhsa_kernel
	.section	.text._ZL40rocblas_trsm_block_backward_substitutionI19rocblas_complex_numIfES1_PKPKS1_PKPS1_Lb0ELb0ELb1EEv18rocblas_operation_llT0_T1_lllT2_lllib,"axG",@progbits,_ZL40rocblas_trsm_block_backward_substitutionI19rocblas_complex_numIfES1_PKPKS1_PKPS1_Lb0ELb0ELb1EEv18rocblas_operation_llT0_T1_lllT2_lllib,comdat
.Lfunc_end181:
	.size	_ZL40rocblas_trsm_block_backward_substitutionI19rocblas_complex_numIfES1_PKPKS1_PKPS1_Lb0ELb0ELb1EEv18rocblas_operation_llT0_T1_lllT2_lllib, .Lfunc_end181-_ZL40rocblas_trsm_block_backward_substitutionI19rocblas_complex_numIfES1_PKPKS1_PKPS1_Lb0ELb0ELb1EEv18rocblas_operation_llT0_T1_lllT2_lllib
                                        ; -- End function
	.set _ZL40rocblas_trsm_block_backward_substitutionI19rocblas_complex_numIfES1_PKPKS1_PKPS1_Lb0ELb0ELb1EEv18rocblas_operation_llT0_T1_lllT2_lllib.num_vgpr, 23
	.set _ZL40rocblas_trsm_block_backward_substitutionI19rocblas_complex_numIfES1_PKPKS1_PKPS1_Lb0ELb0ELb1EEv18rocblas_operation_llT0_T1_lllT2_lllib.num_agpr, 0
	.set _ZL40rocblas_trsm_block_backward_substitutionI19rocblas_complex_numIfES1_PKPKS1_PKPS1_Lb0ELb0ELb1EEv18rocblas_operation_llT0_T1_lllT2_lllib.numbered_sgpr, 40
	.set _ZL40rocblas_trsm_block_backward_substitutionI19rocblas_complex_numIfES1_PKPKS1_PKPS1_Lb0ELb0ELb1EEv18rocblas_operation_llT0_T1_lllT2_lllib.num_named_barrier, 0
	.set _ZL40rocblas_trsm_block_backward_substitutionI19rocblas_complex_numIfES1_PKPKS1_PKPS1_Lb0ELb0ELb1EEv18rocblas_operation_llT0_T1_lllT2_lllib.private_seg_size, 0
	.set _ZL40rocblas_trsm_block_backward_substitutionI19rocblas_complex_numIfES1_PKPKS1_PKPS1_Lb0ELb0ELb1EEv18rocblas_operation_llT0_T1_lllT2_lllib.uses_vcc, 1
	.set _ZL40rocblas_trsm_block_backward_substitutionI19rocblas_complex_numIfES1_PKPKS1_PKPS1_Lb0ELb0ELb1EEv18rocblas_operation_llT0_T1_lllT2_lllib.uses_flat_scratch, 0
	.set _ZL40rocblas_trsm_block_backward_substitutionI19rocblas_complex_numIfES1_PKPKS1_PKPS1_Lb0ELb0ELb1EEv18rocblas_operation_llT0_T1_lllT2_lllib.has_dyn_sized_stack, 0
	.set _ZL40rocblas_trsm_block_backward_substitutionI19rocblas_complex_numIfES1_PKPKS1_PKPS1_Lb0ELb0ELb1EEv18rocblas_operation_llT0_T1_lllT2_lllib.has_recursion, 0
	.set _ZL40rocblas_trsm_block_backward_substitutionI19rocblas_complex_numIfES1_PKPKS1_PKPS1_Lb0ELb0ELb1EEv18rocblas_operation_llT0_T1_lllT2_lllib.has_indirect_call, 0
	.section	.AMDGPU.csdata,"",@progbits
; Kernel info:
; codeLenInByte = 1228
; TotalNumSgprs: 42
; NumVgprs: 23
; ScratchSize: 0
; MemoryBound: 0
; FloatMode: 240
; IeeeMode: 1
; LDSByteSize: 0 bytes/workgroup (compile time only)
; SGPRBlocks: 0
; VGPRBlocks: 2
; NumSGPRsForWavesPerEU: 42
; NumVGPRsForWavesPerEU: 23
; Occupancy: 16
; WaveLimiterHint : 1
; COMPUTE_PGM_RSRC2:SCRATCH_EN: 0
; COMPUTE_PGM_RSRC2:USER_SGPR: 2
; COMPUTE_PGM_RSRC2:TRAP_HANDLER: 0
; COMPUTE_PGM_RSRC2:TGID_X_EN: 1
; COMPUTE_PGM_RSRC2:TGID_Y_EN: 1
; COMPUTE_PGM_RSRC2:TGID_Z_EN: 1
; COMPUTE_PGM_RSRC2:TIDIG_COMP_CNT: 1
	.section	.text._ZL39rocblas_trsm_block_forward_substitutionI19rocblas_complex_numIfES1_PKPKS1_PKPS1_Lb0ELb1ELb0EEv18rocblas_operation_llT0_T1_lllT2_lllib,"axG",@progbits,_ZL39rocblas_trsm_block_forward_substitutionI19rocblas_complex_numIfES1_PKPKS1_PKPS1_Lb0ELb1ELb0EEv18rocblas_operation_llT0_T1_lllT2_lllib,comdat
	.globl	_ZL39rocblas_trsm_block_forward_substitutionI19rocblas_complex_numIfES1_PKPKS1_PKPS1_Lb0ELb1ELb0EEv18rocblas_operation_llT0_T1_lllT2_lllib ; -- Begin function _ZL39rocblas_trsm_block_forward_substitutionI19rocblas_complex_numIfES1_PKPKS1_PKPS1_Lb0ELb1ELb0EEv18rocblas_operation_llT0_T1_lllT2_lllib
	.p2align	8
	.type	_ZL39rocblas_trsm_block_forward_substitutionI19rocblas_complex_numIfES1_PKPKS1_PKPS1_Lb0ELb1ELb0EEv18rocblas_operation_llT0_T1_lllT2_lllib,@function
_ZL39rocblas_trsm_block_forward_substitutionI19rocblas_complex_numIfES1_PKPKS1_PKPS1_Lb0ELb1ELb0EEv18rocblas_operation_llT0_T1_lllT2_lllib: ; @_ZL39rocblas_trsm_block_forward_substitutionI19rocblas_complex_numIfES1_PKPKS1_PKPS1_Lb0ELb1ELb0EEv18rocblas_operation_llT0_T1_lllT2_lllib
; %bb.0:
	s_load_b64 s[16:17], s[0:1], 0x60
	s_lshr_b32 s18, ttmp7, 16
	s_wait_kmcnt 0x0
	s_cmp_ge_u32 s18, s16
	s_cbranch_scc1 .LBB182_45
; %bb.1:
	s_mov_b64 s[26:27], src_shared_base
	s_clause 0x6
	s_load_b64 s[2:3], s[0:1], 0x50
	s_load_b32 s26, s[0:1], 0x0
	s_load_b128 s[4:7], s[0:1], 0x8
	s_load_b64 s[20:21], s[0:1], 0x18
	s_load_b128 s[8:11], s[0:1], 0x20
	s_load_b64 s[22:23], s[0:1], 0x30
	s_load_b128 s[12:15], s[0:1], 0x40
	v_dual_mov_b32 v3, 0 :: v_dual_and_b32 v2, 0x3ff, v0
	s_bitcmp1_b32 s17, 0
	s_load_u16 s17, s[0:1], 0x76
	s_add_nc_u64 s[24:25], s[0:1], 0x68
	s_cselect_b32 s0, -1, 0
	v_bfe_u32 v1, v0, 10, 10
	s_xor_b32 s30, s0, -1
	v_cndmask_b32_e64 v0, 0, 1, s0
	v_lshlrev_b32_e32 v10, 3, v2
	s_mov_b32 s19, 0
	v_lshl_add_u32 v20, v1, 3, 0
	v_lshlrev_b32_e32 v23, 3, v2
	s_wait_kmcnt 0x0
	v_mad_co_u64_u32 v[6:7], null, s2, v2, 0
	s_cmp_lg_u32 s26, 0x71
	v_cmp_le_i64_e32 vcc_lo, s[4:5], v[2:3]
	s_cselect_b32 s31, -1, 0
	s_and_b32 s0, ttmp7, 0xffff
	v_cmp_gt_i64_e64 s1, s[4:5], v[2:3]
	s_add_nc_u64 s[28:29], s[4:5], -1
	v_mov_b32_e32 v4, v7
	v_cmp_gt_i64_e64 s33, s[4:5], 0
	s_wait_alu 0xfffe
	v_mad_co_u64_u32 v[8:9], null, s0, s17, v[1:2]
	v_mov_b32_e32 v9, v3
	v_mad_co_u64_u32 v[4:5], null, s3, v2, v[4:5]
	s_lshl_b32 s0, s17, 3
	v_cmp_gt_i64_e64 s35, s[4:5], 1
	s_wait_alu 0xfffe
	s_add_co_i32 s26, s0, 0
	v_cmp_gt_i64_e64 s2, s[6:7], v[8:9]
	v_cmp_eq_u64_e64 s0, s[28:29], v[2:3]
	v_or_b32_e32 v21, 4, v10
	v_dual_mov_b32 v7, v4 :: v_dual_add_nc_u32 v22, s26, v10
	v_lshlrev_b64_e32 v[4:5], 3, v[8:9]
	s_and_b32 s34, s2, s1
	s_lshl_b64 s[2:3], s[10:11], 3
	s_delay_alu instid0(VALU_DEP_2)
	v_lshlrev_b64_e32 v[6:7], 3, v[6:7]
	s_lshl_b64 s[6:7], s[14:15], 3
	s_xor_b32 s36, vcc_lo, -1
	s_branch .LBB182_6
.LBB182_2:                              ;   in Loop: Header=BB182_6 Depth=1
	s_wait_alu 0xfffe
	s_or_b32 exec_lo, exec_lo, s11
.LBB182_3:                              ;   in Loop: Header=BB182_6 Depth=1
	s_wait_loadcnt_dscnt 0x0
	v_mul_f32_e32 v14, v11, v13
	v_mul_f32_e32 v11, v11, v12
	s_delay_alu instid0(VALU_DEP_2) | instskip(NEXT) | instid1(VALU_DEP_1)
	v_fma_f32 v12, v10, v12, -v14
	v_dual_fmac_f32 v11, v10, v13 :: v_dual_mov_b32 v10, v12
.LBB182_4:                              ;   in Loop: Header=BB182_6 Depth=1
	s_wait_alu 0xfffe
	s_or_b32 exec_lo, exec_lo, s10
	flat_store_b64 v[8:9], v[10:11]
.LBB182_5:                              ;   in Loop: Header=BB182_6 Depth=1
	s_wait_alu 0xfffe
	s_or_b32 exec_lo, exec_lo, s1
	s_add_co_i32 s18, s18, 0x10000
	s_delay_alu instid0(SALU_CYCLE_1)
	s_cmp_lt_u32 s18, s16
	s_cbranch_scc0 .LBB182_45
.LBB182_6:                              ; =>This Loop Header: Depth=1
                                        ;     Child Loop BB182_13 Depth 2
                                        ;     Child Loop BB182_26 Depth 2
	s_lshl_b64 s[10:11], s[18:19], 3
	v_cmp_ne_u32_e32 vcc_lo, 1, v0
	s_wait_alu 0xfffe
	s_add_nc_u64 s[14:15], s[8:9], s[10:11]
	s_add_nc_u64 s[10:11], s[12:13], s[10:11]
	global_load_b64 v[10:11], v3, s[14:15]
	s_wait_loadcnt 0x1
	global_load_b64 v[8:9], v3, s[10:11]
	s_wait_loadcnt 0x1
	v_add_co_u32 v12, s1, v10, s2
	s_wait_alu 0xf1ff
	v_add_co_ci_u32_e64 v13, null, s3, v11, s1
	s_cbranch_vccz .LBB182_8
; %bb.7:                                ;   in Loop: Header=BB182_6 Depth=1
	s_and_saveexec_b32 s1, s34
	s_cbranch_execz .LBB182_5
	s_branch .LBB182_22
.LBB182_8:                              ;   in Loop: Header=BB182_6 Depth=1
	s_and_not1_b32 vcc_lo, exec_lo, s33
	s_wait_alu 0xfffe
	s_cbranch_vccnz .LBB182_21
; %bb.9:                                ;   in Loop: Header=BB182_6 Depth=1
	v_mad_co_u64_u32 v[10:11], null, s22, v2, 0
	v_add_co_u32 v16, vcc_lo, v12, v23
	s_wait_alu 0xfffd
	v_add_co_ci_u32_e64 v17, null, 0, v13, vcc_lo
	s_mov_b32 s10, s17
	v_mov_b32_e32 v18, v1
	v_mad_co_u64_u32 v[14:15], null, s23, v2, v[11:12]
	s_delay_alu instid0(VALU_DEP_1) | instskip(NEXT) | instid1(VALU_DEP_1)
	v_mov_b32_e32 v11, v14
	v_lshlrev_b64_e32 v[10:11], 3, v[10:11]
	s_delay_alu instid0(VALU_DEP_1) | instskip(SKIP_1) | instid1(VALU_DEP_2)
	v_add_co_u32 v10, vcc_lo, v16, v10
	s_wait_alu 0xfffd
	v_add_co_ci_u32_e64 v11, null, v17, v11, vcc_lo
	s_branch .LBB182_13
.LBB182_10:                             ;   in Loop: Header=BB182_13 Depth=2
	s_wait_alu 0xfffe
	s_or_b32 exec_lo, exec_lo, s14
	s_load_b32 s14, s[24:25], 0xc
	s_wait_kmcnt 0x0
	s_and_b32 s14, s14, 0xffff
	s_wait_alu 0xfffe
	v_mul_u32_u24_e32 v12, s14, v2
	s_delay_alu instid0(VALU_DEP_1)
	v_lshl_add_u32 v12, v12, 3, v22
	ds_store_b64 v12, v[14:15]
.LBB182_11:                             ;   in Loop: Header=BB182_13 Depth=2
	s_wait_alu 0xfffe
	s_or_b32 exec_lo, exec_lo, s11
.LBB182_12:                             ;   in Loop: Header=BB182_13 Depth=2
	s_wait_alu 0xfffe
	s_or_b32 exec_lo, exec_lo, s1
	s_ashr_i32 s11, s10, 31
	v_add_nc_u32_e32 v18, s17, v18
	s_wait_alu 0xfffe
	v_cmp_le_i64_e64 s1, s[4:5], s[10:11]
	s_add_co_i32 s10, s10, s17
	s_and_b32 vcc_lo, exec_lo, s1
	s_wait_alu 0xfffe
	s_cbranch_vccnz .LBB182_21
.LBB182_13:                             ;   Parent Loop BB182_6 Depth=1
                                        ; =>  This Inner Loop Header: Depth=2
	v_cmp_gt_i32_e32 vcc_lo, v2, v18
	s_and_b32 s1, s36, vcc_lo
	s_wait_alu 0xfffe
	s_and_saveexec_b32 s11, s1
	s_wait_alu 0xfffe
	s_xor_b32 s1, exec_lo, s11
	s_cbranch_execz .LBB182_15
; %bb.14:                               ;   in Loop: Header=BB182_13 Depth=2
	v_ashrrev_i32_e32 v14, 31, v18
	v_mul_lo_u32 v15, s23, v18
	v_mad_co_u64_u32 v[12:13], null, s22, v18, 0
	s_load_b32 s11, s[24:25], 0xc
	v_mul_lo_u32 v14, s22, v14
	s_delay_alu instid0(VALU_DEP_1) | instskip(NEXT) | instid1(VALU_DEP_1)
	v_add3_u32 v13, v13, v14, v15
	v_lshlrev_b64_e32 v[12:13], 3, v[12:13]
	s_wait_kmcnt 0x0
	s_and_b32 s11, s11, 0xffff
	s_delay_alu instid0(VALU_DEP_1) | instskip(SKIP_1) | instid1(VALU_DEP_2)
	v_add_co_u32 v12, vcc_lo, v16, v12
	s_wait_alu 0xfffd
	v_add_co_ci_u32_e64 v13, null, v17, v13, vcc_lo
	s_wait_alu 0xfffe
	v_mul_lo_u32 v14, v18, s11
	flat_load_b64 v[12:13], v[12:13]
	v_lshl_add_u32 v14, v14, 3, v22
	s_wait_loadcnt_dscnt 0x0
	ds_store_b64 v14, v[12:13]
.LBB182_15:                             ;   in Loop: Header=BB182_13 Depth=2
	s_wait_alu 0xfffe
	s_and_not1_saveexec_b32 s1, s1
	s_cbranch_execz .LBB182_12
; %bb.16:                               ;   in Loop: Header=BB182_13 Depth=2
	v_cmp_eq_u32_e32 vcc_lo, v2, v18
	s_and_b32 s14, s36, vcc_lo
	s_wait_alu 0xfffe
	s_and_saveexec_b32 s11, s14
	s_cbranch_execz .LBB182_11
; %bb.17:                               ;   in Loop: Header=BB182_13 Depth=2
	flat_load_b64 v[12:13], v[10:11]
                                        ; implicit-def: $vgpr14
	s_wait_loadcnt_dscnt 0x0
	v_cmp_ngt_f32_e64 s14, |v12|, |v13|
	s_and_saveexec_b32 s15, s14
	s_wait_alu 0xfffe
	s_xor_b32 s14, exec_lo, s15
	s_cbranch_execz .LBB182_19
; %bb.18:                               ;   in Loop: Header=BB182_13 Depth=2
	v_div_scale_f32 v14, null, v13, v13, v12
	v_div_scale_f32 v24, vcc_lo, v12, v13, v12
	s_delay_alu instid0(VALU_DEP_2) | instskip(NEXT) | instid1(TRANS32_DEP_1)
	v_rcp_f32_e32 v15, v14
	v_fma_f32 v19, -v14, v15, 1.0
	s_delay_alu instid0(VALU_DEP_1) | instskip(NEXT) | instid1(VALU_DEP_1)
	v_fmac_f32_e32 v15, v19, v15
	v_mul_f32_e32 v19, v24, v15
	s_delay_alu instid0(VALU_DEP_1) | instskip(NEXT) | instid1(VALU_DEP_1)
	v_fma_f32 v25, -v14, v19, v24
	v_fmac_f32_e32 v19, v25, v15
	s_delay_alu instid0(VALU_DEP_1) | instskip(SKIP_1) | instid1(VALU_DEP_1)
	v_fma_f32 v14, -v14, v19, v24
	s_wait_alu 0xfffd
	v_div_fmas_f32 v14, v14, v15, v19
	s_delay_alu instid0(VALU_DEP_1) | instskip(NEXT) | instid1(VALU_DEP_1)
	v_div_fixup_f32 v14, v14, v13, v12
	v_fmac_f32_e32 v13, v12, v14
	s_delay_alu instid0(VALU_DEP_1) | instskip(SKIP_1) | instid1(VALU_DEP_2)
	v_div_scale_f32 v12, null, v13, v13, 1.0
	v_div_scale_f32 v24, vcc_lo, 1.0, v13, 1.0
	v_rcp_f32_e32 v15, v12
	s_delay_alu instid0(TRANS32_DEP_1) | instskip(NEXT) | instid1(VALU_DEP_1)
	v_fma_f32 v19, -v12, v15, 1.0
	v_fmac_f32_e32 v15, v19, v15
	s_delay_alu instid0(VALU_DEP_1) | instskip(NEXT) | instid1(VALU_DEP_1)
	v_mul_f32_e32 v19, v24, v15
	v_fma_f32 v25, -v12, v19, v24
	s_delay_alu instid0(VALU_DEP_1) | instskip(NEXT) | instid1(VALU_DEP_1)
	v_fmac_f32_e32 v19, v25, v15
	v_fma_f32 v12, -v12, v19, v24
	s_wait_alu 0xfffd
	s_delay_alu instid0(VALU_DEP_1) | instskip(NEXT) | instid1(VALU_DEP_1)
	v_div_fmas_f32 v12, v12, v15, v19
	v_div_fixup_f32 v12, v12, v13, 1.0
	s_delay_alu instid0(VALU_DEP_1)
	v_mul_f32_e32 v14, v14, v12
	v_xor_b32_e32 v15, 0x80000000, v12
                                        ; implicit-def: $vgpr12_vgpr13
.LBB182_19:                             ;   in Loop: Header=BB182_13 Depth=2
	s_wait_alu 0xfffe
	s_and_not1_saveexec_b32 s14, s14
	s_cbranch_execz .LBB182_10
; %bb.20:                               ;   in Loop: Header=BB182_13 Depth=2
	v_div_scale_f32 v14, null, v12, v12, v13
	v_div_scale_f32 v24, vcc_lo, v13, v12, v13
	s_delay_alu instid0(VALU_DEP_2) | instskip(NEXT) | instid1(TRANS32_DEP_1)
	v_rcp_f32_e32 v15, v14
	v_fma_f32 v19, -v14, v15, 1.0
	s_delay_alu instid0(VALU_DEP_1) | instskip(NEXT) | instid1(VALU_DEP_1)
	v_fmac_f32_e32 v15, v19, v15
	v_mul_f32_e32 v19, v24, v15
	s_delay_alu instid0(VALU_DEP_1) | instskip(NEXT) | instid1(VALU_DEP_1)
	v_fma_f32 v25, -v14, v19, v24
	v_fmac_f32_e32 v19, v25, v15
	s_delay_alu instid0(VALU_DEP_1) | instskip(SKIP_1) | instid1(VALU_DEP_1)
	v_fma_f32 v14, -v14, v19, v24
	s_wait_alu 0xfffd
	v_div_fmas_f32 v14, v14, v15, v19
	s_delay_alu instid0(VALU_DEP_1) | instskip(NEXT) | instid1(VALU_DEP_1)
	v_div_fixup_f32 v15, v14, v12, v13
	v_fmac_f32_e32 v12, v13, v15
	s_delay_alu instid0(VALU_DEP_1) | instskip(NEXT) | instid1(VALU_DEP_1)
	v_div_scale_f32 v13, null, v12, v12, 1.0
	v_rcp_f32_e32 v14, v13
	s_delay_alu instid0(TRANS32_DEP_1) | instskip(NEXT) | instid1(VALU_DEP_1)
	v_fma_f32 v19, -v13, v14, 1.0
	v_fmac_f32_e32 v14, v19, v14
	v_div_scale_f32 v19, vcc_lo, 1.0, v12, 1.0
	s_delay_alu instid0(VALU_DEP_1) | instskip(NEXT) | instid1(VALU_DEP_1)
	v_mul_f32_e32 v24, v19, v14
	v_fma_f32 v25, -v13, v24, v19
	s_delay_alu instid0(VALU_DEP_1) | instskip(NEXT) | instid1(VALU_DEP_1)
	v_fmac_f32_e32 v24, v25, v14
	v_fma_f32 v13, -v13, v24, v19
	s_wait_alu 0xfffd
	s_delay_alu instid0(VALU_DEP_1) | instskip(NEXT) | instid1(VALU_DEP_1)
	v_div_fmas_f32 v13, v13, v14, v24
	v_div_fixup_f32 v14, v13, v12, 1.0
	s_delay_alu instid0(VALU_DEP_1)
	v_mul_f32_e64 v15, v15, -v14
	s_branch .LBB182_10
.LBB182_21:                             ;   in Loop: Header=BB182_6 Depth=1
	s_load_b32 s1, s[24:25], 0xc
	v_dual_mov_b32 v12, s26 :: v_dual_mov_b32 v13, s27
	s_mov_b32 s23, s19
	s_wait_kmcnt 0x0
	s_and_b32 s22, s1, 0xffff
	s_and_saveexec_b32 s1, s34
	s_cbranch_execz .LBB182_5
.LBB182_22:                             ;   in Loop: Header=BB182_6 Depth=1
	s_wait_loadcnt 0x0
	v_add_co_u32 v8, vcc_lo, v8, s6
	s_wait_alu 0xfffd
	v_add_co_ci_u32_e64 v9, null, s7, v9, vcc_lo
	s_delay_alu instid0(VALU_DEP_2) | instskip(SKIP_1) | instid1(VALU_DEP_2)
	v_add_co_u32 v8, vcc_lo, v8, v6
	s_wait_alu 0xfffd
	v_add_co_ci_u32_e64 v9, null, v9, v7, vcc_lo
	s_delay_alu instid0(VALU_DEP_2) | instskip(SKIP_1) | instid1(VALU_DEP_2)
	v_add_co_u32 v8, vcc_lo, v8, v4
	s_wait_alu 0xfffd
	v_add_co_ci_u32_e64 v9, null, v9, v5, vcc_lo
	s_and_not1_b32 vcc_lo, exec_lo, s35
	flat_load_b64 v[14:15], v[8:9]
	s_wait_loadcnt_dscnt 0x0
	v_mul_f32_e32 v11, s20, v15
	s_delay_alu instid0(VALU_DEP_1) | instskip(NEXT) | instid1(VALU_DEP_1)
	v_dual_mul_f32 v10, s21, v15 :: v_dual_fmac_f32 v11, s21, v14
	v_fma_f32 v10, s20, v14, -v10
	s_wait_alu 0xfffe
	s_cbranch_vccnz .LBB182_39
; %bb.23:                               ;   in Loop: Header=BB182_6 Depth=1
	v_mad_co_u64_u32 v[14:15], null, v2, s22, v[2:3]
	s_lshl_b64 s[10:11], s[22:23], 3
	s_mov_b64 s[14:15], 0
	v_mad_co_u64_u32 v[15:16], null, v2, s23, v[15:16]
	s_delay_alu instid0(VALU_DEP_1) | instskip(NEXT) | instid1(VALU_DEP_1)
	v_lshlrev_b64_e32 v[14:15], 3, v[14:15]
	v_add_co_u32 v14, vcc_lo, v12, v14
	s_wait_alu 0xfffd
	s_delay_alu instid0(VALU_DEP_2)
	v_add_co_ci_u32_e64 v15, null, v13, v15, vcc_lo
	v_add_co_u32 v16, vcc_lo, v12, v21
	s_wait_alu 0xfffd
	v_add_co_ci_u32_e64 v17, null, 0, v13, vcc_lo
	s_branch .LBB182_26
.LBB182_24:                             ;   in Loop: Header=BB182_26 Depth=2
	ds_load_b64 v[24:25], v20
	s_wait_loadcnt_dscnt 0x0
	v_dual_mul_f32 v26, v19, v25 :: v_dual_mul_f32 v25, v25, v18
	s_delay_alu instid0(VALU_DEP_1) | instskip(NEXT) | instid1(VALU_DEP_1)
	v_fma_f32 v18, v24, v18, -v26
	v_dual_fmac_f32 v25, v19, v24 :: v_dual_sub_f32 v10, v10, v18
	s_delay_alu instid0(VALU_DEP_1)
	v_sub_f32_e32 v11, v11, v25
.LBB182_25:                             ;   in Loop: Header=BB182_26 Depth=2
	s_or_b32 exec_lo, exec_lo, s37
	v_add_co_u32 v16, vcc_lo, v16, s10
	s_wait_alu 0xfffd
	v_add_co_ci_u32_e64 v17, null, s11, v17, vcc_lo
	s_add_nc_u64 s[14:15], s[14:15], 1
	s_wait_alu 0xfffe
	s_cmp_eq_u64 s[28:29], s[14:15]
	s_cbranch_scc1 .LBB182_39
.LBB182_26:                             ;   Parent Loop BB182_6 Depth=1
                                        ; =>  This Inner Loop Header: Depth=2
	s_mov_b32 s37, exec_lo
	s_barrier_signal -1
	s_barrier_wait -1
	global_inv scope:SCOPE_SE
	s_wait_alu 0xfffe
	v_cmpx_eq_u64_e64 s[14:15], v[2:3]
	s_cbranch_execz .LBB182_34
; %bb.27:                               ;   in Loop: Header=BB182_26 Depth=2
	flat_load_b64 v[18:19], v[14:15]
	s_and_not1_b32 vcc_lo, exec_lo, s30
	s_wait_alu 0xfffe
	s_cbranch_vccnz .LBB182_33
; %bb.28:                               ;   in Loop: Header=BB182_26 Depth=2
	s_wait_loadcnt_dscnt 0x0
	v_cmp_ngt_f32_e64 s38, |v18|, |v19|
	s_and_saveexec_b32 s39, s38
	s_delay_alu instid0(SALU_CYCLE_1)
	s_xor_b32 s38, exec_lo, s39
	s_cbranch_execz .LBB182_30
; %bb.29:                               ;   in Loop: Header=BB182_26 Depth=2
	v_div_scale_f32 v24, null, v19, v19, v18
	v_div_scale_f32 v27, vcc_lo, v18, v19, v18
	s_delay_alu instid0(VALU_DEP_2) | instskip(NEXT) | instid1(TRANS32_DEP_1)
	v_rcp_f32_e32 v25, v24
	v_fma_f32 v26, -v24, v25, 1.0
	s_delay_alu instid0(VALU_DEP_1) | instskip(NEXT) | instid1(VALU_DEP_1)
	v_fmac_f32_e32 v25, v26, v25
	v_mul_f32_e32 v26, v27, v25
	s_delay_alu instid0(VALU_DEP_1) | instskip(NEXT) | instid1(VALU_DEP_1)
	v_fma_f32 v28, -v24, v26, v27
	v_fmac_f32_e32 v26, v28, v25
	s_delay_alu instid0(VALU_DEP_1) | instskip(SKIP_1) | instid1(VALU_DEP_1)
	v_fma_f32 v24, -v24, v26, v27
	s_wait_alu 0xfffd
	v_div_fmas_f32 v24, v24, v25, v26
	s_delay_alu instid0(VALU_DEP_1) | instskip(NEXT) | instid1(VALU_DEP_1)
	v_div_fixup_f32 v24, v24, v19, v18
	v_fmac_f32_e32 v19, v18, v24
	s_delay_alu instid0(VALU_DEP_1) | instskip(SKIP_1) | instid1(VALU_DEP_2)
	v_div_scale_f32 v18, null, v19, v19, 1.0
	v_div_scale_f32 v27, vcc_lo, 1.0, v19, 1.0
	v_rcp_f32_e32 v25, v18
	s_delay_alu instid0(TRANS32_DEP_1) | instskip(NEXT) | instid1(VALU_DEP_1)
	v_fma_f32 v26, -v18, v25, 1.0
	v_fmac_f32_e32 v25, v26, v25
	s_delay_alu instid0(VALU_DEP_1) | instskip(NEXT) | instid1(VALU_DEP_1)
	v_mul_f32_e32 v26, v27, v25
	v_fma_f32 v28, -v18, v26, v27
	s_delay_alu instid0(VALU_DEP_1) | instskip(NEXT) | instid1(VALU_DEP_1)
	v_fmac_f32_e32 v26, v28, v25
	v_fma_f32 v18, -v18, v26, v27
	s_wait_alu 0xfffd
	s_delay_alu instid0(VALU_DEP_1) | instskip(NEXT) | instid1(VALU_DEP_1)
	v_div_fmas_f32 v18, v18, v25, v26
	v_div_fixup_f32 v19, v18, v19, 1.0
	s_delay_alu instid0(VALU_DEP_1)
	v_mul_f32_e32 v18, v24, v19
	v_xor_b32_e32 v19, 0x80000000, v19
.LBB182_30:                             ;   in Loop: Header=BB182_26 Depth=2
	s_and_not1_saveexec_b32 s38, s38
	s_cbranch_execz .LBB182_32
; %bb.31:                               ;   in Loop: Header=BB182_26 Depth=2
	s_delay_alu instid0(VALU_DEP_1) | instskip(SKIP_1) | instid1(VALU_DEP_2)
	v_div_scale_f32 v24, null, v18, v18, v19
	v_div_scale_f32 v27, vcc_lo, v19, v18, v19
	v_rcp_f32_e32 v25, v24
	s_delay_alu instid0(TRANS32_DEP_1) | instskip(NEXT) | instid1(VALU_DEP_1)
	v_fma_f32 v26, -v24, v25, 1.0
	v_fmac_f32_e32 v25, v26, v25
	s_delay_alu instid0(VALU_DEP_1) | instskip(NEXT) | instid1(VALU_DEP_1)
	v_mul_f32_e32 v26, v27, v25
	v_fma_f32 v28, -v24, v26, v27
	s_delay_alu instid0(VALU_DEP_1) | instskip(NEXT) | instid1(VALU_DEP_1)
	v_fmac_f32_e32 v26, v28, v25
	v_fma_f32 v24, -v24, v26, v27
	s_wait_alu 0xfffd
	s_delay_alu instid0(VALU_DEP_1) | instskip(NEXT) | instid1(VALU_DEP_1)
	v_div_fmas_f32 v24, v24, v25, v26
	v_div_fixup_f32 v24, v24, v18, v19
	s_delay_alu instid0(VALU_DEP_1) | instskip(NEXT) | instid1(VALU_DEP_1)
	v_fmac_f32_e32 v18, v19, v24
	v_div_scale_f32 v19, null, v18, v18, 1.0
	s_delay_alu instid0(VALU_DEP_1) | instskip(NEXT) | instid1(TRANS32_DEP_1)
	v_rcp_f32_e32 v25, v19
	v_fma_f32 v26, -v19, v25, 1.0
	s_delay_alu instid0(VALU_DEP_1) | instskip(SKIP_1) | instid1(VALU_DEP_1)
	v_fmac_f32_e32 v25, v26, v25
	v_div_scale_f32 v26, vcc_lo, 1.0, v18, 1.0
	v_mul_f32_e32 v27, v26, v25
	s_delay_alu instid0(VALU_DEP_1) | instskip(NEXT) | instid1(VALU_DEP_1)
	v_fma_f32 v28, -v19, v27, v26
	v_fmac_f32_e32 v27, v28, v25
	s_delay_alu instid0(VALU_DEP_1) | instskip(SKIP_1) | instid1(VALU_DEP_1)
	v_fma_f32 v19, -v19, v27, v26
	s_wait_alu 0xfffd
	v_div_fmas_f32 v19, v19, v25, v27
	s_delay_alu instid0(VALU_DEP_1) | instskip(NEXT) | instid1(VALU_DEP_1)
	v_div_fixup_f32 v18, v19, v18, 1.0
	v_mul_f32_e64 v19, v24, -v18
.LBB182_32:                             ;   in Loop: Header=BB182_26 Depth=2
	s_or_b32 exec_lo, exec_lo, s38
.LBB182_33:                             ;   in Loop: Header=BB182_26 Depth=2
	s_wait_loadcnt_dscnt 0x0
	s_delay_alu instid0(VALU_DEP_1) | instskip(SKIP_1) | instid1(VALU_DEP_1)
	v_mul_f32_e32 v25, v10, v19
	v_mul_f32_e32 v19, v11, v19
	v_fma_f32 v24, v10, v18, -v19
	s_delay_alu instid0(VALU_DEP_1) | instskip(NEXT) | instid1(VALU_DEP_1)
	v_dual_mov_b32 v10, v24 :: v_dual_fmac_f32 v25, v11, v18
	v_mov_b32_e32 v11, v25
	ds_store_b64 v20, v[24:25]
.LBB182_34:                             ;   in Loop: Header=BB182_26 Depth=2
	s_or_b32 exec_lo, exec_lo, s37
	s_delay_alu instid0(SALU_CYCLE_1)
	s_mov_b32 s37, exec_lo
	s_wait_loadcnt_dscnt 0x0
	s_barrier_signal -1
	s_barrier_wait -1
	global_inv scope:SCOPE_SE
	v_cmpx_lt_u64_e64 s[14:15], v[2:3]
	s_cbranch_execz .LBB182_25
; %bb.35:                               ;   in Loop: Header=BB182_26 Depth=2
	s_and_b32 vcc_lo, exec_lo, s31
	s_mov_b32 s38, -1
                                        ; implicit-def: $vgpr18
	s_wait_alu 0xfffe
	s_cbranch_vccz .LBB182_37
; %bb.36:                               ;   in Loop: Header=BB182_26 Depth=2
	flat_load_b64 v[18:19], v[16:17] offset:-4
	s_mov_b32 s38, 0
.LBB182_37:                             ;   in Loop: Header=BB182_26 Depth=2
	s_delay_alu instid0(SALU_CYCLE_1)
	s_and_not1_b32 vcc_lo, exec_lo, s38
	s_wait_alu 0xfffe
	s_cbranch_vccnz .LBB182_24
; %bb.38:                               ;   in Loop: Header=BB182_26 Depth=2
	s_wait_loadcnt_dscnt 0x0
	flat_load_b64 v[18:19], v[16:17] offset:-4
	s_wait_loadcnt_dscnt 0x0
	v_xor_b32_e32 v19, 0x80000000, v19
	s_branch .LBB182_24
.LBB182_39:                             ;   in Loop: Header=BB182_6 Depth=1
	s_and_saveexec_b32 s10, s0
	s_cbranch_execz .LBB182_4
; %bb.40:                               ;   in Loop: Header=BB182_6 Depth=1
	v_mad_co_u64_u32 v[14:15], null, v2, s22, v[2:3]
	s_delay_alu instid0(VALU_DEP_1) | instskip(NEXT) | instid1(VALU_DEP_1)
	v_mad_co_u64_u32 v[15:16], null, v2, s23, v[15:16]
	v_lshlrev_b64_e32 v[14:15], 3, v[14:15]
	s_delay_alu instid0(VALU_DEP_1) | instskip(SKIP_1) | instid1(VALU_DEP_2)
	v_add_co_u32 v12, vcc_lo, v12, v14
	s_wait_alu 0xfffd
	v_add_co_ci_u32_e64 v13, null, v13, v15, vcc_lo
	s_and_not1_b32 vcc_lo, exec_lo, s30
	flat_load_b64 v[12:13], v[12:13]
	s_wait_alu 0xfffe
	s_cbranch_vccnz .LBB182_3
; %bb.41:                               ;   in Loop: Header=BB182_6 Depth=1
	s_wait_loadcnt_dscnt 0x0
	v_cmp_ngt_f32_e64 s11, |v12|, |v13|
	s_and_saveexec_b32 s14, s11
	s_wait_alu 0xfffe
	s_xor_b32 s11, exec_lo, s14
	s_cbranch_execz .LBB182_43
; %bb.42:                               ;   in Loop: Header=BB182_6 Depth=1
	v_div_scale_f32 v14, null, v13, v13, v12
	v_div_scale_f32 v17, vcc_lo, v12, v13, v12
	s_delay_alu instid0(VALU_DEP_2) | instskip(NEXT) | instid1(TRANS32_DEP_1)
	v_rcp_f32_e32 v15, v14
	v_fma_f32 v16, -v14, v15, 1.0
	s_delay_alu instid0(VALU_DEP_1) | instskip(NEXT) | instid1(VALU_DEP_1)
	v_fmac_f32_e32 v15, v16, v15
	v_mul_f32_e32 v16, v17, v15
	s_delay_alu instid0(VALU_DEP_1) | instskip(NEXT) | instid1(VALU_DEP_1)
	v_fma_f32 v18, -v14, v16, v17
	v_fmac_f32_e32 v16, v18, v15
	s_delay_alu instid0(VALU_DEP_1) | instskip(SKIP_1) | instid1(VALU_DEP_1)
	v_fma_f32 v14, -v14, v16, v17
	s_wait_alu 0xfffd
	v_div_fmas_f32 v14, v14, v15, v16
	s_delay_alu instid0(VALU_DEP_1) | instskip(NEXT) | instid1(VALU_DEP_1)
	v_div_fixup_f32 v14, v14, v13, v12
	v_fmac_f32_e32 v13, v12, v14
	s_delay_alu instid0(VALU_DEP_1) | instskip(SKIP_1) | instid1(VALU_DEP_2)
	v_div_scale_f32 v12, null, v13, v13, 1.0
	v_div_scale_f32 v17, vcc_lo, 1.0, v13, 1.0
	v_rcp_f32_e32 v15, v12
	s_delay_alu instid0(TRANS32_DEP_1) | instskip(NEXT) | instid1(VALU_DEP_1)
	v_fma_f32 v16, -v12, v15, 1.0
	v_fmac_f32_e32 v15, v16, v15
	s_delay_alu instid0(VALU_DEP_1) | instskip(NEXT) | instid1(VALU_DEP_1)
	v_mul_f32_e32 v16, v17, v15
	v_fma_f32 v18, -v12, v16, v17
	s_delay_alu instid0(VALU_DEP_1) | instskip(NEXT) | instid1(VALU_DEP_1)
	v_fmac_f32_e32 v16, v18, v15
	v_fma_f32 v12, -v12, v16, v17
	s_wait_alu 0xfffd
	s_delay_alu instid0(VALU_DEP_1) | instskip(NEXT) | instid1(VALU_DEP_1)
	v_div_fmas_f32 v12, v12, v15, v16
	v_div_fixup_f32 v13, v12, v13, 1.0
	s_delay_alu instid0(VALU_DEP_1)
	v_mul_f32_e32 v12, v14, v13
	v_xor_b32_e32 v13, 0x80000000, v13
.LBB182_43:                             ;   in Loop: Header=BB182_6 Depth=1
	s_wait_alu 0xfffe
	s_and_not1_saveexec_b32 s11, s11
	s_cbranch_execz .LBB182_2
; %bb.44:                               ;   in Loop: Header=BB182_6 Depth=1
	s_delay_alu instid0(VALU_DEP_1) | instskip(SKIP_1) | instid1(VALU_DEP_2)
	v_div_scale_f32 v14, null, v12, v12, v13
	v_div_scale_f32 v17, vcc_lo, v13, v12, v13
	v_rcp_f32_e32 v15, v14
	s_delay_alu instid0(TRANS32_DEP_1) | instskip(NEXT) | instid1(VALU_DEP_1)
	v_fma_f32 v16, -v14, v15, 1.0
	v_fmac_f32_e32 v15, v16, v15
	s_delay_alu instid0(VALU_DEP_1) | instskip(NEXT) | instid1(VALU_DEP_1)
	v_mul_f32_e32 v16, v17, v15
	v_fma_f32 v18, -v14, v16, v17
	s_delay_alu instid0(VALU_DEP_1) | instskip(NEXT) | instid1(VALU_DEP_1)
	v_fmac_f32_e32 v16, v18, v15
	v_fma_f32 v14, -v14, v16, v17
	s_wait_alu 0xfffd
	s_delay_alu instid0(VALU_DEP_1) | instskip(NEXT) | instid1(VALU_DEP_1)
	v_div_fmas_f32 v14, v14, v15, v16
	v_div_fixup_f32 v14, v14, v12, v13
	s_delay_alu instid0(VALU_DEP_1) | instskip(NEXT) | instid1(VALU_DEP_1)
	v_fmac_f32_e32 v12, v13, v14
	v_div_scale_f32 v13, null, v12, v12, 1.0
	s_delay_alu instid0(VALU_DEP_1) | instskip(NEXT) | instid1(TRANS32_DEP_1)
	v_rcp_f32_e32 v15, v13
	v_fma_f32 v16, -v13, v15, 1.0
	s_delay_alu instid0(VALU_DEP_1) | instskip(SKIP_1) | instid1(VALU_DEP_1)
	v_fmac_f32_e32 v15, v16, v15
	v_div_scale_f32 v16, vcc_lo, 1.0, v12, 1.0
	v_mul_f32_e32 v17, v16, v15
	s_delay_alu instid0(VALU_DEP_1) | instskip(NEXT) | instid1(VALU_DEP_1)
	v_fma_f32 v18, -v13, v17, v16
	v_fmac_f32_e32 v17, v18, v15
	s_delay_alu instid0(VALU_DEP_1) | instskip(SKIP_1) | instid1(VALU_DEP_1)
	v_fma_f32 v13, -v13, v17, v16
	s_wait_alu 0xfffd
	v_div_fmas_f32 v13, v13, v15, v17
	s_delay_alu instid0(VALU_DEP_1) | instskip(NEXT) | instid1(VALU_DEP_1)
	v_div_fixup_f32 v12, v13, v12, 1.0
	v_mul_f32_e64 v13, v14, -v12
	s_branch .LBB182_2
.LBB182_45:
	s_endpgm
	.section	.rodata,"a",@progbits
	.p2align	6, 0x0
	.amdhsa_kernel _ZL39rocblas_trsm_block_forward_substitutionI19rocblas_complex_numIfES1_PKPKS1_PKPS1_Lb0ELb1ELb0EEv18rocblas_operation_llT0_T1_lllT2_lllib
		.amdhsa_group_segment_fixed_size 0
		.amdhsa_private_segment_fixed_size 0
		.amdhsa_kernarg_size 360
		.amdhsa_user_sgpr_count 2
		.amdhsa_user_sgpr_dispatch_ptr 0
		.amdhsa_user_sgpr_queue_ptr 0
		.amdhsa_user_sgpr_kernarg_segment_ptr 1
		.amdhsa_user_sgpr_dispatch_id 0
		.amdhsa_user_sgpr_private_segment_size 0
		.amdhsa_wavefront_size32 1
		.amdhsa_uses_dynamic_stack 0
		.amdhsa_enable_private_segment 0
		.amdhsa_system_sgpr_workgroup_id_x 1
		.amdhsa_system_sgpr_workgroup_id_y 1
		.amdhsa_system_sgpr_workgroup_id_z 1
		.amdhsa_system_sgpr_workgroup_info 0
		.amdhsa_system_vgpr_workitem_id 1
		.amdhsa_next_free_vgpr 29
		.amdhsa_next_free_sgpr 40
		.amdhsa_reserve_vcc 1
		.amdhsa_float_round_mode_32 0
		.amdhsa_float_round_mode_16_64 0
		.amdhsa_float_denorm_mode_32 3
		.amdhsa_float_denorm_mode_16_64 3
		.amdhsa_fp16_overflow 0
		.amdhsa_workgroup_processor_mode 1
		.amdhsa_memory_ordered 1
		.amdhsa_forward_progress 1
		.amdhsa_inst_pref_size 24
		.amdhsa_round_robin_scheduling 0
		.amdhsa_exception_fp_ieee_invalid_op 0
		.amdhsa_exception_fp_denorm_src 0
		.amdhsa_exception_fp_ieee_div_zero 0
		.amdhsa_exception_fp_ieee_overflow 0
		.amdhsa_exception_fp_ieee_underflow 0
		.amdhsa_exception_fp_ieee_inexact 0
		.amdhsa_exception_int_div_zero 0
	.end_amdhsa_kernel
	.section	.text._ZL39rocblas_trsm_block_forward_substitutionI19rocblas_complex_numIfES1_PKPKS1_PKPS1_Lb0ELb1ELb0EEv18rocblas_operation_llT0_T1_lllT2_lllib,"axG",@progbits,_ZL39rocblas_trsm_block_forward_substitutionI19rocblas_complex_numIfES1_PKPKS1_PKPS1_Lb0ELb1ELb0EEv18rocblas_operation_llT0_T1_lllT2_lllib,comdat
.Lfunc_end182:
	.size	_ZL39rocblas_trsm_block_forward_substitutionI19rocblas_complex_numIfES1_PKPKS1_PKPS1_Lb0ELb1ELb0EEv18rocblas_operation_llT0_T1_lllT2_lllib, .Lfunc_end182-_ZL39rocblas_trsm_block_forward_substitutionI19rocblas_complex_numIfES1_PKPKS1_PKPS1_Lb0ELb1ELb0EEv18rocblas_operation_llT0_T1_lllT2_lllib
                                        ; -- End function
	.set _ZL39rocblas_trsm_block_forward_substitutionI19rocblas_complex_numIfES1_PKPKS1_PKPS1_Lb0ELb1ELb0EEv18rocblas_operation_llT0_T1_lllT2_lllib.num_vgpr, 29
	.set _ZL39rocblas_trsm_block_forward_substitutionI19rocblas_complex_numIfES1_PKPKS1_PKPS1_Lb0ELb1ELb0EEv18rocblas_operation_llT0_T1_lllT2_lllib.num_agpr, 0
	.set _ZL39rocblas_trsm_block_forward_substitutionI19rocblas_complex_numIfES1_PKPKS1_PKPS1_Lb0ELb1ELb0EEv18rocblas_operation_llT0_T1_lllT2_lllib.numbered_sgpr, 40
	.set _ZL39rocblas_trsm_block_forward_substitutionI19rocblas_complex_numIfES1_PKPKS1_PKPS1_Lb0ELb1ELb0EEv18rocblas_operation_llT0_T1_lllT2_lllib.num_named_barrier, 0
	.set _ZL39rocblas_trsm_block_forward_substitutionI19rocblas_complex_numIfES1_PKPKS1_PKPS1_Lb0ELb1ELb0EEv18rocblas_operation_llT0_T1_lllT2_lllib.private_seg_size, 0
	.set _ZL39rocblas_trsm_block_forward_substitutionI19rocblas_complex_numIfES1_PKPKS1_PKPS1_Lb0ELb1ELb0EEv18rocblas_operation_llT0_T1_lllT2_lllib.uses_vcc, 1
	.set _ZL39rocblas_trsm_block_forward_substitutionI19rocblas_complex_numIfES1_PKPKS1_PKPS1_Lb0ELb1ELb0EEv18rocblas_operation_llT0_T1_lllT2_lllib.uses_flat_scratch, 0
	.set _ZL39rocblas_trsm_block_forward_substitutionI19rocblas_complex_numIfES1_PKPKS1_PKPS1_Lb0ELb1ELb0EEv18rocblas_operation_llT0_T1_lllT2_lllib.has_dyn_sized_stack, 0
	.set _ZL39rocblas_trsm_block_forward_substitutionI19rocblas_complex_numIfES1_PKPKS1_PKPS1_Lb0ELb1ELb0EEv18rocblas_operation_llT0_T1_lllT2_lllib.has_recursion, 0
	.set _ZL39rocblas_trsm_block_forward_substitutionI19rocblas_complex_numIfES1_PKPKS1_PKPS1_Lb0ELb1ELb0EEv18rocblas_operation_llT0_T1_lllT2_lllib.has_indirect_call, 0
	.section	.AMDGPU.csdata,"",@progbits
; Kernel info:
; codeLenInByte = 2956
; TotalNumSgprs: 42
; NumVgprs: 29
; ScratchSize: 0
; MemoryBound: 0
; FloatMode: 240
; IeeeMode: 1
; LDSByteSize: 0 bytes/workgroup (compile time only)
; SGPRBlocks: 0
; VGPRBlocks: 3
; NumSGPRsForWavesPerEU: 42
; NumVGPRsForWavesPerEU: 29
; Occupancy: 16
; WaveLimiterHint : 1
; COMPUTE_PGM_RSRC2:SCRATCH_EN: 0
; COMPUTE_PGM_RSRC2:USER_SGPR: 2
; COMPUTE_PGM_RSRC2:TRAP_HANDLER: 0
; COMPUTE_PGM_RSRC2:TGID_X_EN: 1
; COMPUTE_PGM_RSRC2:TGID_Y_EN: 1
; COMPUTE_PGM_RSRC2:TGID_Z_EN: 1
; COMPUTE_PGM_RSRC2:TIDIG_COMP_CNT: 1
	.section	.text._ZL40rocblas_trsm_block_backward_substitutionI19rocblas_complex_numIfES1_PKPKS1_PKPS1_Lb0ELb1ELb0EEv18rocblas_operation_llT0_T1_lllT2_lllib,"axG",@progbits,_ZL40rocblas_trsm_block_backward_substitutionI19rocblas_complex_numIfES1_PKPKS1_PKPS1_Lb0ELb1ELb0EEv18rocblas_operation_llT0_T1_lllT2_lllib,comdat
	.globl	_ZL40rocblas_trsm_block_backward_substitutionI19rocblas_complex_numIfES1_PKPKS1_PKPS1_Lb0ELb1ELb0EEv18rocblas_operation_llT0_T1_lllT2_lllib ; -- Begin function _ZL40rocblas_trsm_block_backward_substitutionI19rocblas_complex_numIfES1_PKPKS1_PKPS1_Lb0ELb1ELb0EEv18rocblas_operation_llT0_T1_lllT2_lllib
	.p2align	8
	.type	_ZL40rocblas_trsm_block_backward_substitutionI19rocblas_complex_numIfES1_PKPKS1_PKPS1_Lb0ELb1ELb0EEv18rocblas_operation_llT0_T1_lllT2_lllib,@function
_ZL40rocblas_trsm_block_backward_substitutionI19rocblas_complex_numIfES1_PKPKS1_PKPS1_Lb0ELb1ELb0EEv18rocblas_operation_llT0_T1_lllT2_lllib: ; @_ZL40rocblas_trsm_block_backward_substitutionI19rocblas_complex_numIfES1_PKPKS1_PKPS1_Lb0ELb1ELb0EEv18rocblas_operation_llT0_T1_lllT2_lllib
; %bb.0:
	s_load_b64 s[16:17], s[0:1], 0x60
	s_lshr_b32 s18, ttmp7, 16
	s_wait_kmcnt 0x0
	s_cmp_ge_u32 s18, s16
	s_cbranch_scc1 .LBB183_46
; %bb.1:
	s_clause 0x6
	s_load_b32 s12, s[0:1], 0x0
	s_load_u16 s33, s[0:1], 0x76
	s_load_b64 s[2:3], s[0:1], 0x50
	s_load_b64 s[20:21], s[0:1], 0x30
	s_load_b128 s[4:7], s[0:1], 0x8
	s_load_b64 s[22:23], s[0:1], 0x18
	s_load_b128 s[8:11], s[0:1], 0x20
	s_bitcmp1_b32 s17, 0
	v_bfe_u32 v1, v0, 10, 10
	s_cselect_b32 s13, -1, 0
	s_mov_b64 s[26:27], src_shared_base
	s_xor_b32 s17, s13, -1
	v_cndmask_b32_e64 v20, 0, 1, s13
	s_add_nc_u64 s[24:25], s[0:1], 0x68
	v_lshl_add_u32 v21, v1, 3, 0
	v_mov_b32_e32 v3, 0
	s_wait_kmcnt 0x0
	s_cmp_lg_u32 s12, 0x71
	s_load_b128 s[12:15], s[0:1], 0x40
	s_cselect_b32 s38, -1, 0
	s_and_b32 s19, ttmp7, 0xffff
	v_cmp_gt_i64_e64 s40, s[4:5], 0
	v_mad_co_u64_u32 v[4:5], null, s19, s33, v[1:2]
	v_and_b32_e32 v2, 0x3ff, v0
	v_cmp_gt_i64_e64 s42, s[4:5], 1
	v_mov_b32_e32 v5, v3
	s_add_nc_u64 s[28:29], s[4:5], -1
	s_mov_b32 s19, 0
	v_mad_co_u64_u32 v[6:7], null, s20, v2, 0
	v_mad_co_u64_u32 v[8:9], null, s2, v4, 0
	v_lshlrev_b32_e32 v0, 3, v2
	s_lshl_b32 s2, s33, 3
	v_cmp_le_i64_e64 s39, s[4:5], v[2:3]
	s_wait_alu 0xfffe
	s_add_co_i32 s26, s2, 0
	v_cmp_gt_i64_e64 s1, s[4:5], v[2:3]
	v_cmp_gt_i64_e32 vcc_lo, s[6:7], v[4:5]
	v_mad_co_u64_u32 v[10:11], null, s21, v2, v[7:8]
	v_cmp_eq_u32_e64 s0, 0, v2
	v_lshlrev_b32_e32 v23, 3, v2
	s_lshl_b64 s[6:7], s[28:29], 3
	s_and_b32 s41, vcc_lo, s1
	v_add_nc_u32_e32 v22, s26, v0
	s_lshl_b64 s[10:11], s[10:11], 3
	v_mad_co_u64_u32 v[11:12], null, s3, v4, v[9:10]
	v_mov_b32_e32 v7, v10
	s_xor_b32 s43, s39, -1
	s_wait_kmcnt 0x0
	s_lshl_b64 s[14:15], s[14:15], 3
	s_delay_alu instid0(VALU_DEP_1) | instskip(NEXT) | instid1(VALU_DEP_3)
	v_lshlrev_b64_e32 v[4:5], 3, v[6:7]
	v_mov_b32_e32 v9, v11
	s_delay_alu instid0(VALU_DEP_1)
	v_lshlrev_b64_e32 v[6:7], 3, v[8:9]
	s_branch .LBB183_6
.LBB183_2:                              ;   in Loop: Header=BB183_6 Depth=1
	s_wait_alu 0xfffe
	s_or_b32 exec_lo, exec_lo, s2
.LBB183_3:                              ;   in Loop: Header=BB183_6 Depth=1
	s_wait_loadcnt_dscnt 0x0
	v_mul_f32_e32 v14, v11, v13
	v_mul_f32_e32 v11, v11, v12
	s_delay_alu instid0(VALU_DEP_2) | instskip(NEXT) | instid1(VALU_DEP_1)
	v_fma_f32 v12, v10, v12, -v14
	v_dual_fmac_f32 v11, v10, v13 :: v_dual_mov_b32 v10, v12
.LBB183_4:                              ;   in Loop: Header=BB183_6 Depth=1
	s_wait_alu 0xfffe
	s_or_b32 exec_lo, exec_lo, s34
	flat_store_b64 v[8:9], v[10:11]
.LBB183_5:                              ;   in Loop: Header=BB183_6 Depth=1
	s_or_b32 exec_lo, exec_lo, s44
	s_add_co_i32 s18, s18, 0x10000
	s_wait_alu 0xfffe
	s_cmp_lt_u32 s18, s16
	s_cbranch_scc0 .LBB183_46
.LBB183_6:                              ; =>This Loop Header: Depth=1
                                        ;     Child Loop BB183_12 Depth 2
                                        ;     Child Loop BB183_27 Depth 2
	s_lshl_b64 s[2:3], s[18:19], 3
	v_cmp_ne_u32_e32 vcc_lo, 1, v20
	s_wait_alu 0xfffe
	s_add_nc_u64 s[30:31], s[8:9], s[2:3]
	s_add_nc_u64 s[2:3], s[12:13], s[2:3]
	global_load_b64 v[10:11], v3, s[30:31]
	s_wait_loadcnt 0x1
	global_load_b64 v[8:9], v3, s[2:3]
	s_and_b32 vcc_lo, exec_lo, vcc_lo
	s_mov_b64 s[30:31], s[20:21]
	s_wait_loadcnt 0x1
	v_add_co_u32 v12, s2, v10, s10
	s_wait_alu 0xf1fe
	v_add_co_ci_u32_e64 v13, null, s11, v11, s2
	s_mov_b64 s[2:3], 1
	s_cbranch_vccz .LBB183_8
; %bb.7:                                ;   in Loop: Header=BB183_6 Depth=1
	s_and_saveexec_b32 s44, s41
	s_cbranch_execz .LBB183_5
	s_branch .LBB183_23
.LBB183_8:                              ;   in Loop: Header=BB183_6 Depth=1
	s_and_not1_b32 vcc_lo, exec_lo, s40
	s_wait_alu 0xfffe
	s_cbranch_vccnz .LBB183_22
; %bb.9:                                ;   in Loop: Header=BB183_6 Depth=1
	v_add_co_u32 v17, vcc_lo, v12, v4
	s_wait_alu 0xfffd
	v_add_co_ci_u32_e64 v18, null, v13, v5, vcc_lo
	v_mov_b32_e32 v12, v1
	s_delay_alu instid0(VALU_DEP_3) | instskip(SKIP_1) | instid1(VALU_DEP_3)
	v_add_co_u32 v10, vcc_lo, v17, v23
	s_wait_alu 0xfffd
	v_add_co_ci_u32_e64 v11, null, 0, v18, vcc_lo
	s_mov_b32 s30, s33
	s_branch .LBB183_12
.LBB183_10:                             ;   in Loop: Header=BB183_12 Depth=2
	s_wait_alu 0xfffe
	s_or_b32 exec_lo, exec_lo, s3
	s_load_b32 s3, s[24:25], 0xc
	s_wait_kmcnt 0x0
	s_and_b32 s3, s3, 0xffff
	s_wait_alu 0xfffe
	v_mul_u32_u24_e32 v13, s3, v2
	s_delay_alu instid0(VALU_DEP_1)
	v_lshl_add_u32 v13, v13, 3, v22
	ds_store_b64 v13, v[15:16]
.LBB183_11:                             ;   in Loop: Header=BB183_12 Depth=2
	s_wait_alu 0xfffe
	s_or_b32 exec_lo, exec_lo, s2
	s_ashr_i32 s31, s30, 31
	v_add_nc_u32_e32 v12, s33, v12
	s_wait_alu 0xfffe
	v_cmp_le_i64_e64 s2, s[4:5], s[30:31]
	s_add_co_i32 s30, s30, s33
	s_and_b32 vcc_lo, exec_lo, s2
	s_wait_alu 0xfffe
	s_cbranch_vccnz .LBB183_22
.LBB183_12:                             ;   Parent Loop BB183_6 Depth=1
                                        ; =>  This Inner Loop Header: Depth=2
	s_mov_b32 s31, s39
	s_and_saveexec_b32 s3, s1
	s_cbranch_execz .LBB183_16
; %bb.13:                               ;   in Loop: Header=BB183_12 Depth=2
	v_ashrrev_i32_e32 v13, 31, v12
	v_cmp_lt_i32_e64 s2, v2, v12
	s_mov_b32 s31, -1
	v_cmp_gt_i64_e32 vcc_lo, s[4:5], v[12:13]
	s_wait_alu 0xfffe
	s_and_b32 s34, s2, vcc_lo
	s_wait_alu 0xfffe
	s_and_saveexec_b32 s2, s34
	s_cbranch_execz .LBB183_15
; %bb.14:                               ;   in Loop: Header=BB183_12 Depth=2
	v_lshlrev_b64_e32 v[13:14], 3, v[12:13]
	s_load_b32 s31, s[24:25], 0xc
	s_delay_alu instid0(VALU_DEP_1) | instskip(SKIP_1) | instid1(VALU_DEP_2)
	v_add_co_u32 v13, vcc_lo, v17, v13
	s_wait_alu 0xfffd
	v_add_co_ci_u32_e64 v14, null, v18, v14, vcc_lo
	flat_load_b64 v[13:14], v[13:14]
	s_wait_kmcnt 0x0
	s_and_b32 s31, s31, 0xffff
	s_wait_alu 0xfffe
	v_mul_lo_u32 v15, v12, s31
	s_xor_b32 s31, exec_lo, -1
	s_delay_alu instid0(VALU_DEP_1)
	v_lshl_add_u32 v15, v15, 3, v22
	s_wait_loadcnt_dscnt 0x0
	ds_store_b64 v15, v[13:14]
.LBB183_15:                             ;   in Loop: Header=BB183_12 Depth=2
	s_wait_alu 0xfffe
	s_or_b32 exec_lo, exec_lo, s2
	s_delay_alu instid0(SALU_CYCLE_1)
	s_and_not1_b32 s2, s39, exec_lo
	s_and_b32 s31, s31, exec_lo
	s_wait_alu 0xfffe
	s_or_b32 s31, s2, s31
.LBB183_16:                             ;   in Loop: Header=BB183_12 Depth=2
	s_wait_alu 0xfffe
	s_or_b32 exec_lo, exec_lo, s3
	s_and_saveexec_b32 s2, s31
	s_cbranch_execz .LBB183_11
; %bb.17:                               ;   in Loop: Header=BB183_12 Depth=2
	v_cmp_eq_u32_e32 vcc_lo, v2, v12
	s_and_b32 s3, s43, vcc_lo
	s_wait_alu 0xfffe
	s_and_b32 exec_lo, exec_lo, s3
	s_cbranch_execz .LBB183_11
; %bb.18:                               ;   in Loop: Header=BB183_12 Depth=2
	flat_load_b64 v[13:14], v[10:11]
                                        ; implicit-def: $vgpr15
	s_wait_loadcnt_dscnt 0x0
	v_cmp_ngt_f32_e64 s3, |v13|, |v14|
	s_and_saveexec_b32 s31, s3
	s_wait_alu 0xfffe
	s_xor_b32 s3, exec_lo, s31
	s_cbranch_execz .LBB183_20
; %bb.19:                               ;   in Loop: Header=BB183_12 Depth=2
	v_div_scale_f32 v15, null, v14, v14, v13
	v_div_scale_f32 v24, vcc_lo, v13, v14, v13
	s_delay_alu instid0(VALU_DEP_2) | instskip(NEXT) | instid1(TRANS32_DEP_1)
	v_rcp_f32_e32 v16, v15
	v_fma_f32 v19, -v15, v16, 1.0
	s_delay_alu instid0(VALU_DEP_1) | instskip(NEXT) | instid1(VALU_DEP_1)
	v_fmac_f32_e32 v16, v19, v16
	v_mul_f32_e32 v19, v24, v16
	s_delay_alu instid0(VALU_DEP_1) | instskip(NEXT) | instid1(VALU_DEP_1)
	v_fma_f32 v25, -v15, v19, v24
	v_fmac_f32_e32 v19, v25, v16
	s_delay_alu instid0(VALU_DEP_1) | instskip(SKIP_1) | instid1(VALU_DEP_1)
	v_fma_f32 v15, -v15, v19, v24
	s_wait_alu 0xfffd
	v_div_fmas_f32 v15, v15, v16, v19
	s_delay_alu instid0(VALU_DEP_1) | instskip(NEXT) | instid1(VALU_DEP_1)
	v_div_fixup_f32 v15, v15, v14, v13
	v_fmac_f32_e32 v14, v13, v15
	s_delay_alu instid0(VALU_DEP_1) | instskip(SKIP_1) | instid1(VALU_DEP_2)
	v_div_scale_f32 v13, null, v14, v14, 1.0
	v_div_scale_f32 v24, vcc_lo, 1.0, v14, 1.0
	v_rcp_f32_e32 v16, v13
	s_delay_alu instid0(TRANS32_DEP_1) | instskip(NEXT) | instid1(VALU_DEP_1)
	v_fma_f32 v19, -v13, v16, 1.0
	v_fmac_f32_e32 v16, v19, v16
	s_delay_alu instid0(VALU_DEP_1) | instskip(NEXT) | instid1(VALU_DEP_1)
	v_mul_f32_e32 v19, v24, v16
	v_fma_f32 v25, -v13, v19, v24
	s_delay_alu instid0(VALU_DEP_1) | instskip(NEXT) | instid1(VALU_DEP_1)
	v_fmac_f32_e32 v19, v25, v16
	v_fma_f32 v13, -v13, v19, v24
	s_wait_alu 0xfffd
	s_delay_alu instid0(VALU_DEP_1) | instskip(NEXT) | instid1(VALU_DEP_1)
	v_div_fmas_f32 v13, v13, v16, v19
	v_div_fixup_f32 v13, v13, v14, 1.0
	s_delay_alu instid0(VALU_DEP_1)
	v_mul_f32_e32 v15, v15, v13
	v_xor_b32_e32 v16, 0x80000000, v13
                                        ; implicit-def: $vgpr13_vgpr14
.LBB183_20:                             ;   in Loop: Header=BB183_12 Depth=2
	s_wait_alu 0xfffe
	s_and_not1_saveexec_b32 s3, s3
	s_cbranch_execz .LBB183_10
; %bb.21:                               ;   in Loop: Header=BB183_12 Depth=2
	v_div_scale_f32 v15, null, v13, v13, v14
	v_div_scale_f32 v24, vcc_lo, v14, v13, v14
	s_delay_alu instid0(VALU_DEP_2) | instskip(NEXT) | instid1(TRANS32_DEP_1)
	v_rcp_f32_e32 v16, v15
	v_fma_f32 v19, -v15, v16, 1.0
	s_delay_alu instid0(VALU_DEP_1) | instskip(NEXT) | instid1(VALU_DEP_1)
	v_fmac_f32_e32 v16, v19, v16
	v_mul_f32_e32 v19, v24, v16
	s_delay_alu instid0(VALU_DEP_1) | instskip(NEXT) | instid1(VALU_DEP_1)
	v_fma_f32 v25, -v15, v19, v24
	v_fmac_f32_e32 v19, v25, v16
	s_delay_alu instid0(VALU_DEP_1) | instskip(SKIP_1) | instid1(VALU_DEP_1)
	v_fma_f32 v15, -v15, v19, v24
	s_wait_alu 0xfffd
	v_div_fmas_f32 v15, v15, v16, v19
	s_delay_alu instid0(VALU_DEP_1) | instskip(NEXT) | instid1(VALU_DEP_1)
	v_div_fixup_f32 v16, v15, v13, v14
	v_fmac_f32_e32 v13, v14, v16
	s_delay_alu instid0(VALU_DEP_1) | instskip(NEXT) | instid1(VALU_DEP_1)
	v_div_scale_f32 v14, null, v13, v13, 1.0
	v_rcp_f32_e32 v15, v14
	s_delay_alu instid0(TRANS32_DEP_1) | instskip(NEXT) | instid1(VALU_DEP_1)
	v_fma_f32 v19, -v14, v15, 1.0
	v_fmac_f32_e32 v15, v19, v15
	v_div_scale_f32 v19, vcc_lo, 1.0, v13, 1.0
	s_delay_alu instid0(VALU_DEP_1) | instskip(NEXT) | instid1(VALU_DEP_1)
	v_mul_f32_e32 v24, v19, v15
	v_fma_f32 v25, -v14, v24, v19
	s_delay_alu instid0(VALU_DEP_1) | instskip(NEXT) | instid1(VALU_DEP_1)
	v_fmac_f32_e32 v24, v25, v15
	v_fma_f32 v14, -v14, v24, v19
	s_wait_alu 0xfffd
	s_delay_alu instid0(VALU_DEP_1) | instskip(NEXT) | instid1(VALU_DEP_1)
	v_div_fmas_f32 v14, v14, v15, v24
	v_div_fixup_f32 v15, v14, v13, 1.0
	s_delay_alu instid0(VALU_DEP_1)
	v_mul_f32_e64 v16, v16, -v15
	s_branch .LBB183_10
.LBB183_22:                             ;   in Loop: Header=BB183_6 Depth=1
	s_load_b32 s2, s[24:25], 0xc
	v_dual_mov_b32 v12, s26 :: v_dual_mov_b32 v13, s27
	s_mov_b32 s3, s19
	s_mov_b64 s[30:31], 1
	s_wait_kmcnt 0x0
	s_and_b32 s2, s2, 0xffff
	s_and_saveexec_b32 s44, s41
	s_cbranch_execz .LBB183_5
.LBB183_23:                             ;   in Loop: Header=BB183_6 Depth=1
	s_wait_loadcnt 0x0
	v_add_co_u32 v8, vcc_lo, v8, s14
	s_wait_alu 0xfffd
	v_add_co_ci_u32_e64 v9, null, s15, v9, vcc_lo
	s_delay_alu instid0(VALU_DEP_2) | instskip(SKIP_1) | instid1(VALU_DEP_2)
	v_add_co_u32 v8, vcc_lo, v8, v6
	s_wait_alu 0xfffd
	v_add_co_ci_u32_e64 v9, null, v9, v7, vcc_lo
	s_delay_alu instid0(VALU_DEP_2) | instskip(SKIP_1) | instid1(VALU_DEP_2)
	v_add_co_u32 v8, vcc_lo, v8, v23
	s_wait_alu 0xfffd
	v_add_co_ci_u32_e64 v9, null, 0, v9, vcc_lo
	s_and_not1_b32 vcc_lo, exec_lo, s42
	flat_load_b64 v[14:15], v[8:9]
	s_wait_loadcnt_dscnt 0x0
	v_mul_f32_e32 v11, s22, v15
	s_delay_alu instid0(VALU_DEP_1) | instskip(NEXT) | instid1(VALU_DEP_1)
	v_dual_mul_f32 v10, s23, v15 :: v_dual_fmac_f32 v11, s23, v14
	v_fma_f32 v10, s22, v14, -v10
	s_wait_alu 0xfffe
	s_cbranch_vccnz .LBB183_40
; %bb.24:                               ;   in Loop: Header=BB183_6 Depth=1
	s_mul_u64 s[36:37], s[6:7], s[2:3]
	s_add_nc_u64 s[34:35], s[2:3], s[30:31]
	s_wait_alu 0xfffe
	v_add_co_u32 v16, vcc_lo, v12, s36
	s_wait_alu 0xfffd
	v_add_co_ci_u32_e64 v17, null, s37, v13, vcc_lo
	v_mad_co_u64_u32 v[14:15], null, s34, v2, 0
	s_lshl_b32 s34, s2, 3
	v_mad_co_u64_u32 v[16:17], null, v0, s30, v[16:17]
	s_mov_b64 s[36:37], s[28:29]
	v_mad_co_u64_u32 v[18:19], null, s35, v2, v[15:16]
	s_mov_b32 s35, s19
	s_wait_alu 0xfffe
	s_sub_nc_u64 s[34:35], 0, s[34:35]
	v_mov_b32_e32 v15, v18
	v_mad_co_u64_u32 v[17:18], null, v0, s31, v[17:18]
	s_delay_alu instid0(VALU_DEP_2) | instskip(SKIP_2) | instid1(VALU_DEP_3)
	v_lshlrev_b64_e32 v[18:19], 3, v[14:15]
	v_add_co_u32 v14, vcc_lo, v16, 4
	s_wait_alu 0xfffd
	v_add_co_ci_u32_e64 v15, null, 0, v17, vcc_lo
	s_delay_alu instid0(VALU_DEP_3)
	v_add_co_u32 v16, vcc_lo, v12, v18
	s_wait_alu 0xfffd
	v_add_co_ci_u32_e64 v17, null, v13, v19, vcc_lo
	s_branch .LBB183_27
.LBB183_25:                             ;   in Loop: Header=BB183_27 Depth=2
	ds_load_b64 v[24:25], v21
	s_wait_loadcnt_dscnt 0x0
	v_dual_mul_f32 v26, v19, v25 :: v_dual_mul_f32 v25, v25, v18
	s_delay_alu instid0(VALU_DEP_1) | instskip(NEXT) | instid1(VALU_DEP_1)
	v_fma_f32 v18, v24, v18, -v26
	v_dual_fmac_f32 v25, v19, v24 :: v_dual_sub_f32 v10, v10, v18
	s_delay_alu instid0(VALU_DEP_1)
	v_sub_f32_e32 v11, v11, v25
.LBB183_26:                             ;   in Loop: Header=BB183_27 Depth=2
	s_or_b32 exec_lo, exec_lo, s45
	s_add_nc_u64 s[46:47], s[36:37], 1
	s_wait_alu 0xfffe
	v_add_co_u32 v14, vcc_lo, v14, s34
	v_cmp_lt_u64_e64 s45, s[46:47], 3
	s_wait_alu 0xfffd
	v_add_co_ci_u32_e64 v15, null, s35, v15, vcc_lo
	s_add_nc_u64 s[36:37], s[36:37], -1
	s_and_b32 vcc_lo, exec_lo, s45
	s_wait_alu 0xfffe
	s_cbranch_vccnz .LBB183_40
.LBB183_27:                             ;   Parent Loop BB183_6 Depth=1
                                        ; =>  This Inner Loop Header: Depth=2
	s_mov_b32 s45, exec_lo
	s_barrier_signal -1
	s_barrier_wait -1
	global_inv scope:SCOPE_SE
	v_cmpx_eq_u64_e64 s[36:37], v[2:3]
	s_cbranch_execz .LBB183_35
; %bb.28:                               ;   in Loop: Header=BB183_27 Depth=2
	flat_load_b64 v[18:19], v[16:17]
	s_and_not1_b32 vcc_lo, exec_lo, s17
	s_wait_alu 0xfffe
	s_cbranch_vccnz .LBB183_34
; %bb.29:                               ;   in Loop: Header=BB183_27 Depth=2
	s_wait_loadcnt_dscnt 0x0
	v_cmp_ngt_f32_e64 s46, |v18|, |v19|
	s_and_saveexec_b32 s47, s46
	s_wait_alu 0xfffe
	s_xor_b32 s46, exec_lo, s47
	s_cbranch_execz .LBB183_31
; %bb.30:                               ;   in Loop: Header=BB183_27 Depth=2
	v_div_scale_f32 v24, null, v19, v19, v18
	v_div_scale_f32 v27, vcc_lo, v18, v19, v18
	s_delay_alu instid0(VALU_DEP_2) | instskip(NEXT) | instid1(TRANS32_DEP_1)
	v_rcp_f32_e32 v25, v24
	v_fma_f32 v26, -v24, v25, 1.0
	s_delay_alu instid0(VALU_DEP_1) | instskip(NEXT) | instid1(VALU_DEP_1)
	v_fmac_f32_e32 v25, v26, v25
	v_mul_f32_e32 v26, v27, v25
	s_delay_alu instid0(VALU_DEP_1) | instskip(NEXT) | instid1(VALU_DEP_1)
	v_fma_f32 v28, -v24, v26, v27
	v_fmac_f32_e32 v26, v28, v25
	s_delay_alu instid0(VALU_DEP_1) | instskip(SKIP_1) | instid1(VALU_DEP_1)
	v_fma_f32 v24, -v24, v26, v27
	s_wait_alu 0xfffd
	v_div_fmas_f32 v24, v24, v25, v26
	s_delay_alu instid0(VALU_DEP_1) | instskip(NEXT) | instid1(VALU_DEP_1)
	v_div_fixup_f32 v24, v24, v19, v18
	v_fmac_f32_e32 v19, v18, v24
	s_delay_alu instid0(VALU_DEP_1) | instskip(SKIP_1) | instid1(VALU_DEP_2)
	v_div_scale_f32 v18, null, v19, v19, 1.0
	v_div_scale_f32 v27, vcc_lo, 1.0, v19, 1.0
	v_rcp_f32_e32 v25, v18
	s_delay_alu instid0(TRANS32_DEP_1) | instskip(NEXT) | instid1(VALU_DEP_1)
	v_fma_f32 v26, -v18, v25, 1.0
	v_fmac_f32_e32 v25, v26, v25
	s_delay_alu instid0(VALU_DEP_1) | instskip(NEXT) | instid1(VALU_DEP_1)
	v_mul_f32_e32 v26, v27, v25
	v_fma_f32 v28, -v18, v26, v27
	s_delay_alu instid0(VALU_DEP_1) | instskip(NEXT) | instid1(VALU_DEP_1)
	v_fmac_f32_e32 v26, v28, v25
	v_fma_f32 v18, -v18, v26, v27
	s_wait_alu 0xfffd
	s_delay_alu instid0(VALU_DEP_1) | instskip(NEXT) | instid1(VALU_DEP_1)
	v_div_fmas_f32 v18, v18, v25, v26
	v_div_fixup_f32 v19, v18, v19, 1.0
	s_delay_alu instid0(VALU_DEP_1)
	v_mul_f32_e32 v18, v24, v19
	v_xor_b32_e32 v19, 0x80000000, v19
.LBB183_31:                             ;   in Loop: Header=BB183_27 Depth=2
	s_wait_alu 0xfffe
	s_and_not1_saveexec_b32 s46, s46
	s_cbranch_execz .LBB183_33
; %bb.32:                               ;   in Loop: Header=BB183_27 Depth=2
	s_delay_alu instid0(VALU_DEP_1) | instskip(SKIP_1) | instid1(VALU_DEP_2)
	v_div_scale_f32 v24, null, v18, v18, v19
	v_div_scale_f32 v27, vcc_lo, v19, v18, v19
	v_rcp_f32_e32 v25, v24
	s_delay_alu instid0(TRANS32_DEP_1) | instskip(NEXT) | instid1(VALU_DEP_1)
	v_fma_f32 v26, -v24, v25, 1.0
	v_fmac_f32_e32 v25, v26, v25
	s_delay_alu instid0(VALU_DEP_1) | instskip(NEXT) | instid1(VALU_DEP_1)
	v_mul_f32_e32 v26, v27, v25
	v_fma_f32 v28, -v24, v26, v27
	s_delay_alu instid0(VALU_DEP_1) | instskip(NEXT) | instid1(VALU_DEP_1)
	v_fmac_f32_e32 v26, v28, v25
	v_fma_f32 v24, -v24, v26, v27
	s_wait_alu 0xfffd
	s_delay_alu instid0(VALU_DEP_1) | instskip(NEXT) | instid1(VALU_DEP_1)
	v_div_fmas_f32 v24, v24, v25, v26
	v_div_fixup_f32 v24, v24, v18, v19
	s_delay_alu instid0(VALU_DEP_1) | instskip(NEXT) | instid1(VALU_DEP_1)
	v_fmac_f32_e32 v18, v19, v24
	v_div_scale_f32 v19, null, v18, v18, 1.0
	s_delay_alu instid0(VALU_DEP_1) | instskip(NEXT) | instid1(TRANS32_DEP_1)
	v_rcp_f32_e32 v25, v19
	v_fma_f32 v26, -v19, v25, 1.0
	s_delay_alu instid0(VALU_DEP_1) | instskip(SKIP_1) | instid1(VALU_DEP_1)
	v_fmac_f32_e32 v25, v26, v25
	v_div_scale_f32 v26, vcc_lo, 1.0, v18, 1.0
	v_mul_f32_e32 v27, v26, v25
	s_delay_alu instid0(VALU_DEP_1) | instskip(NEXT) | instid1(VALU_DEP_1)
	v_fma_f32 v28, -v19, v27, v26
	v_fmac_f32_e32 v27, v28, v25
	s_delay_alu instid0(VALU_DEP_1) | instskip(SKIP_1) | instid1(VALU_DEP_1)
	v_fma_f32 v19, -v19, v27, v26
	s_wait_alu 0xfffd
	v_div_fmas_f32 v19, v19, v25, v27
	s_delay_alu instid0(VALU_DEP_1) | instskip(NEXT) | instid1(VALU_DEP_1)
	v_div_fixup_f32 v18, v19, v18, 1.0
	v_mul_f32_e64 v19, v24, -v18
.LBB183_33:                             ;   in Loop: Header=BB183_27 Depth=2
	s_wait_alu 0xfffe
	s_or_b32 exec_lo, exec_lo, s46
.LBB183_34:                             ;   in Loop: Header=BB183_27 Depth=2
	s_wait_loadcnt_dscnt 0x0
	s_delay_alu instid0(VALU_DEP_1) | instskip(SKIP_1) | instid1(VALU_DEP_1)
	v_mul_f32_e32 v25, v10, v19
	v_mul_f32_e32 v19, v11, v19
	v_fma_f32 v24, v10, v18, -v19
	s_delay_alu instid0(VALU_DEP_1) | instskip(NEXT) | instid1(VALU_DEP_1)
	v_dual_mov_b32 v10, v24 :: v_dual_fmac_f32 v25, v11, v18
	v_mov_b32_e32 v11, v25
	ds_store_b64 v21, v[24:25]
.LBB183_35:                             ;   in Loop: Header=BB183_27 Depth=2
	s_or_b32 exec_lo, exec_lo, s45
	s_delay_alu instid0(SALU_CYCLE_1)
	s_mov_b32 s45, exec_lo
	s_wait_loadcnt_dscnt 0x0
	s_barrier_signal -1
	s_barrier_wait -1
	global_inv scope:SCOPE_SE
	v_cmpx_gt_i64_e64 s[36:37], v[2:3]
	s_cbranch_execz .LBB183_26
; %bb.36:                               ;   in Loop: Header=BB183_27 Depth=2
	s_and_b32 vcc_lo, exec_lo, s38
	s_mov_b32 s46, -1
                                        ; implicit-def: $vgpr18
	s_wait_alu 0xfffe
	s_cbranch_vccz .LBB183_38
; %bb.37:                               ;   in Loop: Header=BB183_27 Depth=2
	flat_load_b64 v[18:19], v[14:15] offset:-4
	s_mov_b32 s46, 0
.LBB183_38:                             ;   in Loop: Header=BB183_27 Depth=2
	s_wait_alu 0xfffe
	s_and_not1_b32 vcc_lo, exec_lo, s46
	s_wait_alu 0xfffe
	s_cbranch_vccnz .LBB183_25
; %bb.39:                               ;   in Loop: Header=BB183_27 Depth=2
	s_wait_loadcnt_dscnt 0x0
	flat_load_b64 v[18:19], v[14:15] offset:-4
	s_wait_loadcnt_dscnt 0x0
	v_xor_b32_e32 v19, 0x80000000, v19
	s_branch .LBB183_25
.LBB183_40:                             ;   in Loop: Header=BB183_6 Depth=1
	s_and_saveexec_b32 s34, s0
	s_cbranch_execz .LBB183_4
; %bb.41:                               ;   in Loop: Header=BB183_6 Depth=1
	s_add_nc_u64 s[2:3], s[2:3], s[30:31]
	s_wait_alu 0xfffe
	v_mad_co_u64_u32 v[14:15], null, s2, v2, 0
	s_delay_alu instid0(VALU_DEP_1) | instskip(NEXT) | instid1(VALU_DEP_1)
	v_mad_co_u64_u32 v[15:16], null, s3, v2, v[15:16]
	v_lshlrev_b64_e32 v[14:15], 3, v[14:15]
	s_delay_alu instid0(VALU_DEP_1) | instskip(SKIP_1) | instid1(VALU_DEP_2)
	v_add_co_u32 v12, vcc_lo, v12, v14
	s_wait_alu 0xfffd
	v_add_co_ci_u32_e64 v13, null, v13, v15, vcc_lo
	s_and_not1_b32 vcc_lo, exec_lo, s17
	flat_load_b64 v[12:13], v[12:13]
	s_wait_alu 0xfffe
	s_cbranch_vccnz .LBB183_3
; %bb.42:                               ;   in Loop: Header=BB183_6 Depth=1
	s_wait_loadcnt_dscnt 0x0
	v_cmp_ngt_f32_e64 s2, |v12|, |v13|
	s_and_saveexec_b32 s3, s2
	s_wait_alu 0xfffe
	s_xor_b32 s2, exec_lo, s3
	s_cbranch_execz .LBB183_44
; %bb.43:                               ;   in Loop: Header=BB183_6 Depth=1
	v_div_scale_f32 v14, null, v13, v13, v12
	v_div_scale_f32 v17, vcc_lo, v12, v13, v12
	s_delay_alu instid0(VALU_DEP_2) | instskip(NEXT) | instid1(TRANS32_DEP_1)
	v_rcp_f32_e32 v15, v14
	v_fma_f32 v16, -v14, v15, 1.0
	s_delay_alu instid0(VALU_DEP_1) | instskip(NEXT) | instid1(VALU_DEP_1)
	v_fmac_f32_e32 v15, v16, v15
	v_mul_f32_e32 v16, v17, v15
	s_delay_alu instid0(VALU_DEP_1) | instskip(NEXT) | instid1(VALU_DEP_1)
	v_fma_f32 v18, -v14, v16, v17
	v_fmac_f32_e32 v16, v18, v15
	s_delay_alu instid0(VALU_DEP_1) | instskip(SKIP_1) | instid1(VALU_DEP_1)
	v_fma_f32 v14, -v14, v16, v17
	s_wait_alu 0xfffd
	v_div_fmas_f32 v14, v14, v15, v16
	s_delay_alu instid0(VALU_DEP_1) | instskip(NEXT) | instid1(VALU_DEP_1)
	v_div_fixup_f32 v14, v14, v13, v12
	v_fmac_f32_e32 v13, v12, v14
	s_delay_alu instid0(VALU_DEP_1) | instskip(SKIP_1) | instid1(VALU_DEP_2)
	v_div_scale_f32 v12, null, v13, v13, 1.0
	v_div_scale_f32 v17, vcc_lo, 1.0, v13, 1.0
	v_rcp_f32_e32 v15, v12
	s_delay_alu instid0(TRANS32_DEP_1) | instskip(NEXT) | instid1(VALU_DEP_1)
	v_fma_f32 v16, -v12, v15, 1.0
	v_fmac_f32_e32 v15, v16, v15
	s_delay_alu instid0(VALU_DEP_1) | instskip(NEXT) | instid1(VALU_DEP_1)
	v_mul_f32_e32 v16, v17, v15
	v_fma_f32 v18, -v12, v16, v17
	s_delay_alu instid0(VALU_DEP_1) | instskip(NEXT) | instid1(VALU_DEP_1)
	v_fmac_f32_e32 v16, v18, v15
	v_fma_f32 v12, -v12, v16, v17
	s_wait_alu 0xfffd
	s_delay_alu instid0(VALU_DEP_1) | instskip(NEXT) | instid1(VALU_DEP_1)
	v_div_fmas_f32 v12, v12, v15, v16
	v_div_fixup_f32 v13, v12, v13, 1.0
	s_delay_alu instid0(VALU_DEP_1)
	v_mul_f32_e32 v12, v14, v13
	v_xor_b32_e32 v13, 0x80000000, v13
.LBB183_44:                             ;   in Loop: Header=BB183_6 Depth=1
	s_wait_alu 0xfffe
	s_and_not1_saveexec_b32 s2, s2
	s_cbranch_execz .LBB183_2
; %bb.45:                               ;   in Loop: Header=BB183_6 Depth=1
	s_delay_alu instid0(VALU_DEP_1) | instskip(SKIP_1) | instid1(VALU_DEP_2)
	v_div_scale_f32 v14, null, v12, v12, v13
	v_div_scale_f32 v17, vcc_lo, v13, v12, v13
	v_rcp_f32_e32 v15, v14
	s_delay_alu instid0(TRANS32_DEP_1) | instskip(NEXT) | instid1(VALU_DEP_1)
	v_fma_f32 v16, -v14, v15, 1.0
	v_fmac_f32_e32 v15, v16, v15
	s_delay_alu instid0(VALU_DEP_1) | instskip(NEXT) | instid1(VALU_DEP_1)
	v_mul_f32_e32 v16, v17, v15
	v_fma_f32 v18, -v14, v16, v17
	s_delay_alu instid0(VALU_DEP_1) | instskip(NEXT) | instid1(VALU_DEP_1)
	v_fmac_f32_e32 v16, v18, v15
	v_fma_f32 v14, -v14, v16, v17
	s_wait_alu 0xfffd
	s_delay_alu instid0(VALU_DEP_1) | instskip(NEXT) | instid1(VALU_DEP_1)
	v_div_fmas_f32 v14, v14, v15, v16
	v_div_fixup_f32 v14, v14, v12, v13
	s_delay_alu instid0(VALU_DEP_1) | instskip(NEXT) | instid1(VALU_DEP_1)
	v_fmac_f32_e32 v12, v13, v14
	v_div_scale_f32 v13, null, v12, v12, 1.0
	s_delay_alu instid0(VALU_DEP_1) | instskip(NEXT) | instid1(TRANS32_DEP_1)
	v_rcp_f32_e32 v15, v13
	v_fma_f32 v16, -v13, v15, 1.0
	s_delay_alu instid0(VALU_DEP_1) | instskip(SKIP_1) | instid1(VALU_DEP_1)
	v_fmac_f32_e32 v15, v16, v15
	v_div_scale_f32 v16, vcc_lo, 1.0, v12, 1.0
	v_mul_f32_e32 v17, v16, v15
	s_delay_alu instid0(VALU_DEP_1) | instskip(NEXT) | instid1(VALU_DEP_1)
	v_fma_f32 v18, -v13, v17, v16
	v_fmac_f32_e32 v17, v18, v15
	s_delay_alu instid0(VALU_DEP_1) | instskip(SKIP_1) | instid1(VALU_DEP_1)
	v_fma_f32 v13, -v13, v17, v16
	s_wait_alu 0xfffd
	v_div_fmas_f32 v13, v13, v15, v17
	s_delay_alu instid0(VALU_DEP_1) | instskip(NEXT) | instid1(VALU_DEP_1)
	v_div_fixup_f32 v12, v13, v12, 1.0
	v_mul_f32_e64 v13, v14, -v12
	s_branch .LBB183_2
.LBB183_46:
	s_endpgm
	.section	.rodata,"a",@progbits
	.p2align	6, 0x0
	.amdhsa_kernel _ZL40rocblas_trsm_block_backward_substitutionI19rocblas_complex_numIfES1_PKPKS1_PKPS1_Lb0ELb1ELb0EEv18rocblas_operation_llT0_T1_lllT2_lllib
		.amdhsa_group_segment_fixed_size 0
		.amdhsa_private_segment_fixed_size 0
		.amdhsa_kernarg_size 360
		.amdhsa_user_sgpr_count 2
		.amdhsa_user_sgpr_dispatch_ptr 0
		.amdhsa_user_sgpr_queue_ptr 0
		.amdhsa_user_sgpr_kernarg_segment_ptr 1
		.amdhsa_user_sgpr_dispatch_id 0
		.amdhsa_user_sgpr_private_segment_size 0
		.amdhsa_wavefront_size32 1
		.amdhsa_uses_dynamic_stack 0
		.amdhsa_enable_private_segment 0
		.amdhsa_system_sgpr_workgroup_id_x 1
		.amdhsa_system_sgpr_workgroup_id_y 1
		.amdhsa_system_sgpr_workgroup_id_z 1
		.amdhsa_system_sgpr_workgroup_info 0
		.amdhsa_system_vgpr_workitem_id 1
		.amdhsa_next_free_vgpr 29
		.amdhsa_next_free_sgpr 48
		.amdhsa_reserve_vcc 1
		.amdhsa_float_round_mode_32 0
		.amdhsa_float_round_mode_16_64 0
		.amdhsa_float_denorm_mode_32 3
		.amdhsa_float_denorm_mode_16_64 3
		.amdhsa_fp16_overflow 0
		.amdhsa_workgroup_processor_mode 1
		.amdhsa_memory_ordered 1
		.amdhsa_forward_progress 1
		.amdhsa_inst_pref_size 24
		.amdhsa_round_robin_scheduling 0
		.amdhsa_exception_fp_ieee_invalid_op 0
		.amdhsa_exception_fp_denorm_src 0
		.amdhsa_exception_fp_ieee_div_zero 0
		.amdhsa_exception_fp_ieee_overflow 0
		.amdhsa_exception_fp_ieee_underflow 0
		.amdhsa_exception_fp_ieee_inexact 0
		.amdhsa_exception_int_div_zero 0
	.end_amdhsa_kernel
	.section	.text._ZL40rocblas_trsm_block_backward_substitutionI19rocblas_complex_numIfES1_PKPKS1_PKPS1_Lb0ELb1ELb0EEv18rocblas_operation_llT0_T1_lllT2_lllib,"axG",@progbits,_ZL40rocblas_trsm_block_backward_substitutionI19rocblas_complex_numIfES1_PKPKS1_PKPS1_Lb0ELb1ELb0EEv18rocblas_operation_llT0_T1_lllT2_lllib,comdat
.Lfunc_end183:
	.size	_ZL40rocblas_trsm_block_backward_substitutionI19rocblas_complex_numIfES1_PKPKS1_PKPS1_Lb0ELb1ELb0EEv18rocblas_operation_llT0_T1_lllT2_lllib, .Lfunc_end183-_ZL40rocblas_trsm_block_backward_substitutionI19rocblas_complex_numIfES1_PKPKS1_PKPS1_Lb0ELb1ELb0EEv18rocblas_operation_llT0_T1_lllT2_lllib
                                        ; -- End function
	.set _ZL40rocblas_trsm_block_backward_substitutionI19rocblas_complex_numIfES1_PKPKS1_PKPS1_Lb0ELb1ELb0EEv18rocblas_operation_llT0_T1_lllT2_lllib.num_vgpr, 29
	.set _ZL40rocblas_trsm_block_backward_substitutionI19rocblas_complex_numIfES1_PKPKS1_PKPS1_Lb0ELb1ELb0EEv18rocblas_operation_llT0_T1_lllT2_lllib.num_agpr, 0
	.set _ZL40rocblas_trsm_block_backward_substitutionI19rocblas_complex_numIfES1_PKPKS1_PKPS1_Lb0ELb1ELb0EEv18rocblas_operation_llT0_T1_lllT2_lllib.numbered_sgpr, 48
	.set _ZL40rocblas_trsm_block_backward_substitutionI19rocblas_complex_numIfES1_PKPKS1_PKPS1_Lb0ELb1ELb0EEv18rocblas_operation_llT0_T1_lllT2_lllib.num_named_barrier, 0
	.set _ZL40rocblas_trsm_block_backward_substitutionI19rocblas_complex_numIfES1_PKPKS1_PKPS1_Lb0ELb1ELb0EEv18rocblas_operation_llT0_T1_lllT2_lllib.private_seg_size, 0
	.set _ZL40rocblas_trsm_block_backward_substitutionI19rocblas_complex_numIfES1_PKPKS1_PKPS1_Lb0ELb1ELb0EEv18rocblas_operation_llT0_T1_lllT2_lllib.uses_vcc, 1
	.set _ZL40rocblas_trsm_block_backward_substitutionI19rocblas_complex_numIfES1_PKPKS1_PKPS1_Lb0ELb1ELb0EEv18rocblas_operation_llT0_T1_lllT2_lllib.uses_flat_scratch, 0
	.set _ZL40rocblas_trsm_block_backward_substitutionI19rocblas_complex_numIfES1_PKPKS1_PKPS1_Lb0ELb1ELb0EEv18rocblas_operation_llT0_T1_lllT2_lllib.has_dyn_sized_stack, 0
	.set _ZL40rocblas_trsm_block_backward_substitutionI19rocblas_complex_numIfES1_PKPKS1_PKPS1_Lb0ELb1ELb0EEv18rocblas_operation_llT0_T1_lllT2_lllib.has_recursion, 0
	.set _ZL40rocblas_trsm_block_backward_substitutionI19rocblas_complex_numIfES1_PKPKS1_PKPS1_Lb0ELb1ELb0EEv18rocblas_operation_llT0_T1_lllT2_lllib.has_indirect_call, 0
	.section	.AMDGPU.csdata,"",@progbits
; Kernel info:
; codeLenInByte = 3068
; TotalNumSgprs: 50
; NumVgprs: 29
; ScratchSize: 0
; MemoryBound: 0
; FloatMode: 240
; IeeeMode: 1
; LDSByteSize: 0 bytes/workgroup (compile time only)
; SGPRBlocks: 0
; VGPRBlocks: 3
; NumSGPRsForWavesPerEU: 50
; NumVGPRsForWavesPerEU: 29
; Occupancy: 16
; WaveLimiterHint : 1
; COMPUTE_PGM_RSRC2:SCRATCH_EN: 0
; COMPUTE_PGM_RSRC2:USER_SGPR: 2
; COMPUTE_PGM_RSRC2:TRAP_HANDLER: 0
; COMPUTE_PGM_RSRC2:TGID_X_EN: 1
; COMPUTE_PGM_RSRC2:TGID_Y_EN: 1
; COMPUTE_PGM_RSRC2:TGID_Z_EN: 1
; COMPUTE_PGM_RSRC2:TIDIG_COMP_CNT: 1
	.section	.text._ZL39rocblas_trsm_block_forward_substitutionI19rocblas_complex_numIfES1_PKPKS1_PKPS1_Lb0ELb1ELb1EEv18rocblas_operation_llT0_T1_lllT2_lllib,"axG",@progbits,_ZL39rocblas_trsm_block_forward_substitutionI19rocblas_complex_numIfES1_PKPKS1_PKPS1_Lb0ELb1ELb1EEv18rocblas_operation_llT0_T1_lllT2_lllib,comdat
	.globl	_ZL39rocblas_trsm_block_forward_substitutionI19rocblas_complex_numIfES1_PKPKS1_PKPS1_Lb0ELb1ELb1EEv18rocblas_operation_llT0_T1_lllT2_lllib ; -- Begin function _ZL39rocblas_trsm_block_forward_substitutionI19rocblas_complex_numIfES1_PKPKS1_PKPS1_Lb0ELb1ELb1EEv18rocblas_operation_llT0_T1_lllT2_lllib
	.p2align	8
	.type	_ZL39rocblas_trsm_block_forward_substitutionI19rocblas_complex_numIfES1_PKPKS1_PKPS1_Lb0ELb1ELb1EEv18rocblas_operation_llT0_T1_lllT2_lllib,@function
_ZL39rocblas_trsm_block_forward_substitutionI19rocblas_complex_numIfES1_PKPKS1_PKPS1_Lb0ELb1ELb1EEv18rocblas_operation_llT0_T1_lllT2_lllib: ; @_ZL39rocblas_trsm_block_forward_substitutionI19rocblas_complex_numIfES1_PKPKS1_PKPS1_Lb0ELb1ELb1EEv18rocblas_operation_llT0_T1_lllT2_lllib
; %bb.0:
	s_load_b64 s[2:3], s[0:1], 0x60
	s_lshr_b32 s16, ttmp7, 16
	s_wait_kmcnt 0x0
	s_cmp_ge_u32 s16, s2
	s_cbranch_scc1 .LBB184_23
; %bb.1:
	s_mov_b64 s[24:25], src_shared_base
	s_clause 0x7
	s_load_b64 s[26:27], s[0:1], 0x50
	s_load_b32 s24, s[0:1], 0x0
	s_load_b128 s[4:7], s[0:1], 0x8
	s_load_b64 s[18:19], s[0:1], 0x18
	s_load_b128 s[8:11], s[0:1], 0x20
	s_load_u16 s30, s[0:1], 0x76
	s_load_b64 s[20:21], s[0:1], 0x30
	s_load_b128 s[12:15], s[0:1], 0x40
	v_dual_mov_b32 v2, 0 :: v_dual_and_b32 v1, 0x3ff, v0
	s_bitcmp1_b32 s3, 0
	v_bfe_u32 v0, v0, 10, 10
	s_add_nc_u64 s[22:23], s[0:1], 0x68
	s_cselect_b32 s1, -1, 0
	v_lshlrev_b32_e32 v9, 3, v1
	s_mov_b32 s17, 0
	v_lshl_add_u32 v15, v0, 3, 0
	v_lshlrev_b32_e32 v18, 3, v1
	s_wait_kmcnt 0x0
	v_mad_co_u64_u32 v[5:6], null, s26, v1, 0
	s_cmp_lg_u32 s24, 0x71
	v_cmp_gt_i64_e64 s31, s[4:5], 0
	s_cselect_b32 s3, -1, 0
	s_and_b32 s0, ttmp7, 0xffff
	s_lshl_b32 s24, s30, 3
	v_mad_co_u64_u32 v[7:8], null, s0, s30, v[0:1]
	v_dual_mov_b32 v3, v6 :: v_dual_mov_b32 v8, v2
	s_add_co_i32 s24, s24, 0
	v_cmp_gt_i64_e64 s0, s[4:5], v[1:2]
	v_cmp_gt_i64_e64 s34, s[4:5], 1
	s_delay_alu instid0(VALU_DEP_3)
	v_mad_co_u64_u32 v[3:4], null, s27, v1, v[3:4]
	v_cmp_gt_i64_e32 vcc_lo, s[6:7], v[7:8]
	v_or_b32_e32 v16, 4, v9
	s_add_nc_u64 s[6:7], s[4:5], -1
	s_lshl_b64 s[10:11], s[10:11], 3
	s_lshl_b64 s[14:15], s[14:15], 3
	s_delay_alu instid0(VALU_DEP_3) | instskip(SKIP_2) | instid1(VALU_DEP_2)
	v_dual_mov_b32 v6, v3 :: v_dual_add_nc_u32 v17, s24, v9
	v_lshlrev_b64_e32 v[3:4], 3, v[7:8]
	s_and_b32 s33, vcc_lo, s0
	v_lshlrev_b64_e32 v[5:6], 3, v[5:6]
	s_branch .LBB184_4
.LBB184_2:                              ;   in Loop: Header=BB184_4 Depth=1
	flat_store_b64 v[7:8], v[9:10]
.LBB184_3:                              ;   in Loop: Header=BB184_4 Depth=1
	s_or_b32 exec_lo, exec_lo, s35
	s_add_co_i32 s16, s16, 0x10000
	s_delay_alu instid0(SALU_CYCLE_1)
	s_cmp_lt_u32 s16, s2
	s_cbranch_scc0 .LBB184_23
.LBB184_4:                              ; =>This Loop Header: Depth=1
                                        ;     Child Loop BB184_9 Depth 2
                                        ;     Child Loop BB184_16 Depth 2
	s_lshl_b64 s[26:27], s[16:17], 3
	s_wait_alu 0xfffe
	s_add_nc_u64 s[28:29], s[8:9], s[26:27]
	s_add_nc_u64 s[26:27], s[12:13], s[26:27]
	global_load_b64 v[9:10], v2, s[28:29]
	s_wait_loadcnt 0x1
	global_load_b64 v[7:8], v2, s[26:27]
	s_wait_loadcnt 0x1
	v_add_co_u32 v11, vcc_lo, v9, s10
	s_wait_alu 0xfffd
	v_add_co_ci_u32_e64 v12, null, s11, v10, vcc_lo
	s_and_not1_b32 vcc_lo, exec_lo, s1
	s_wait_alu 0xfffe
	s_cbranch_vccz .LBB184_6
; %bb.5:                                ;   in Loop: Header=BB184_4 Depth=1
	s_and_saveexec_b32 s35, s33
	s_cbranch_execz .LBB184_3
	s_branch .LBB184_12
.LBB184_6:                              ;   in Loop: Header=BB184_4 Depth=1
	s_and_not1_b32 vcc_lo, exec_lo, s31
	s_wait_alu 0xfffe
	s_cbranch_vccnz .LBB184_11
; %bb.7:                                ;   in Loop: Header=BB184_4 Depth=1
	v_add_co_u32 v9, vcc_lo, v11, v18
	s_wait_alu 0xfffd
	v_add_co_ci_u32_e64 v10, null, 0, v12, vcc_lo
	s_mov_b32 s26, 0
	s_branch .LBB184_9
.LBB184_8:                              ;   in Loop: Header=BB184_9 Depth=2
	s_wait_alu 0xfffe
	s_or_b32 exec_lo, exec_lo, s27
	s_add_co_i32 s26, s26, s30
	s_wait_alu 0xfffe
	s_ashr_i32 s27, s26, 31
	s_wait_alu 0xfffe
	v_cmp_le_i64_e64 s27, s[4:5], s[26:27]
	s_and_b32 vcc_lo, exec_lo, s27
	s_wait_alu 0xfffe
	s_cbranch_vccnz .LBB184_11
.LBB184_9:                              ;   Parent Loop BB184_4 Depth=1
                                        ; =>  This Inner Loop Header: Depth=2
	s_wait_alu 0xfffe
	v_add_nc_u32_e32 v11, s26, v0
	s_delay_alu instid0(VALU_DEP_1)
	v_cmp_gt_i32_e32 vcc_lo, v1, v11
	s_and_b32 s28, s0, vcc_lo
	s_wait_alu 0xfffe
	s_and_saveexec_b32 s27, s28
	s_cbranch_execz .LBB184_8
; %bb.10:                               ;   in Loop: Header=BB184_9 Depth=2
	v_ashrrev_i32_e32 v14, 31, v11
	v_mul_lo_u32 v19, s21, v11
	v_mad_co_u64_u32 v[12:13], null, s20, v11, 0
	s_load_b32 s28, s[22:23], 0xc
	v_mul_lo_u32 v14, s20, v14
	s_delay_alu instid0(VALU_DEP_1) | instskip(NEXT) | instid1(VALU_DEP_1)
	v_add3_u32 v13, v13, v14, v19
	v_lshlrev_b64_e32 v[12:13], 3, v[12:13]
	s_wait_kmcnt 0x0
	s_and_b32 s28, s28, 0xffff
	s_delay_alu instid0(VALU_DEP_1) | instskip(SKIP_1) | instid1(VALU_DEP_2)
	v_add_co_u32 v12, vcc_lo, v9, v12
	s_wait_alu 0xfffd
	v_add_co_ci_u32_e64 v13, null, v10, v13, vcc_lo
	s_wait_alu 0xfffe
	v_mul_lo_u32 v11, v11, s28
	flat_load_b64 v[12:13], v[12:13]
	v_lshl_add_u32 v11, v11, 3, v17
	s_wait_loadcnt_dscnt 0x0
	ds_store_b64 v11, v[12:13]
	s_branch .LBB184_8
.LBB184_11:                             ;   in Loop: Header=BB184_4 Depth=1
	s_load_b32 s20, s[22:23], 0xc
	v_dual_mov_b32 v11, s24 :: v_dual_mov_b32 v12, s25
	s_mov_b32 s21, s17
	s_wait_kmcnt 0x0
	s_and_b32 s20, s20, 0xffff
	s_and_saveexec_b32 s35, s33
	s_cbranch_execz .LBB184_3
.LBB184_12:                             ;   in Loop: Header=BB184_4 Depth=1
	s_wait_loadcnt 0x0
	v_add_co_u32 v7, vcc_lo, v7, s14
	s_wait_alu 0xfffd
	v_add_co_ci_u32_e64 v8, null, s15, v8, vcc_lo
	s_delay_alu instid0(VALU_DEP_2) | instskip(SKIP_1) | instid1(VALU_DEP_2)
	v_add_co_u32 v7, vcc_lo, v7, v5
	s_wait_alu 0xfffd
	v_add_co_ci_u32_e64 v8, null, v8, v6, vcc_lo
	s_delay_alu instid0(VALU_DEP_2) | instskip(SKIP_1) | instid1(VALU_DEP_2)
	v_add_co_u32 v7, vcc_lo, v7, v3
	s_wait_alu 0xfffd
	v_add_co_ci_u32_e64 v8, null, v8, v4, vcc_lo
	s_and_not1_b32 vcc_lo, exec_lo, s34
	flat_load_b64 v[13:14], v[7:8]
	s_wait_loadcnt_dscnt 0x0
	v_mul_f32_e32 v10, s18, v14
	s_delay_alu instid0(VALU_DEP_1) | instskip(NEXT) | instid1(VALU_DEP_1)
	v_dual_mul_f32 v9, s19, v14 :: v_dual_fmac_f32 v10, s19, v13
	v_fma_f32 v9, s18, v13, -v9
	s_wait_alu 0xfffe
	s_cbranch_vccnz .LBB184_2
; %bb.13:                               ;   in Loop: Header=BB184_4 Depth=1
	v_add_co_u32 v11, vcc_lo, v11, v16
	s_wait_alu 0xfffd
	v_add_co_ci_u32_e64 v12, null, 0, v12, vcc_lo
	s_lshl_b64 s[26:27], s[20:21], 3
	s_mov_b64 s[28:29], 0
	s_branch .LBB184_16
.LBB184_14:                             ;   in Loop: Header=BB184_16 Depth=2
	ds_load_b64 v[19:20], v15
	s_wait_loadcnt_dscnt 0x0
	v_dual_mul_f32 v21, v14, v20 :: v_dual_mul_f32 v20, v20, v13
	s_delay_alu instid0(VALU_DEP_1) | instskip(NEXT) | instid1(VALU_DEP_1)
	v_fma_f32 v13, v19, v13, -v21
	v_dual_fmac_f32 v20, v14, v19 :: v_dual_sub_f32 v9, v9, v13
	s_delay_alu instid0(VALU_DEP_1)
	v_sub_f32_e32 v10, v10, v20
.LBB184_15:                             ;   in Loop: Header=BB184_16 Depth=2
	s_or_b32 exec_lo, exec_lo, s36
	v_add_co_u32 v11, vcc_lo, v11, s26
	s_wait_alu 0xfffd
	v_add_co_ci_u32_e64 v12, null, s27, v12, vcc_lo
	s_add_nc_u64 s[28:29], s[28:29], 1
	s_wait_alu 0xfffe
	s_cmp_eq_u64 s[6:7], s[28:29]
	s_cbranch_scc1 .LBB184_2
.LBB184_16:                             ;   Parent Loop BB184_4 Depth=1
                                        ; =>  This Inner Loop Header: Depth=2
	s_mov_b32 s36, exec_lo
	s_barrier_signal -1
	s_barrier_wait -1
	global_inv scope:SCOPE_SE
	s_wait_alu 0xfffe
	v_cmpx_eq_u64_e64 s[28:29], v[1:2]
; %bb.17:                               ;   in Loop: Header=BB184_16 Depth=2
	ds_store_b64 v15, v[9:10]
; %bb.18:                               ;   in Loop: Header=BB184_16 Depth=2
	s_or_b32 exec_lo, exec_lo, s36
	s_delay_alu instid0(SALU_CYCLE_1)
	s_mov_b32 s36, exec_lo
	s_wait_loadcnt_dscnt 0x0
	s_barrier_signal -1
	s_barrier_wait -1
	global_inv scope:SCOPE_SE
	v_cmpx_lt_u64_e64 s[28:29], v[1:2]
	s_cbranch_execz .LBB184_15
; %bb.19:                               ;   in Loop: Header=BB184_16 Depth=2
	s_and_b32 vcc_lo, exec_lo, s3
	s_mov_b32 s37, -1
                                        ; implicit-def: $vgpr13
	s_wait_alu 0xfffe
	s_cbranch_vccz .LBB184_21
; %bb.20:                               ;   in Loop: Header=BB184_16 Depth=2
	flat_load_b64 v[13:14], v[11:12] offset:-4
	s_mov_b32 s37, 0
.LBB184_21:                             ;   in Loop: Header=BB184_16 Depth=2
	s_delay_alu instid0(SALU_CYCLE_1)
	s_and_not1_b32 vcc_lo, exec_lo, s37
	s_wait_alu 0xfffe
	s_cbranch_vccnz .LBB184_14
; %bb.22:                               ;   in Loop: Header=BB184_16 Depth=2
	s_wait_loadcnt_dscnt 0x0
	flat_load_b64 v[13:14], v[11:12] offset:-4
	s_wait_loadcnt_dscnt 0x0
	v_xor_b32_e32 v14, 0x80000000, v14
	s_branch .LBB184_14
.LBB184_23:
	s_endpgm
	.section	.rodata,"a",@progbits
	.p2align	6, 0x0
	.amdhsa_kernel _ZL39rocblas_trsm_block_forward_substitutionI19rocblas_complex_numIfES1_PKPKS1_PKPS1_Lb0ELb1ELb1EEv18rocblas_operation_llT0_T1_lllT2_lllib
		.amdhsa_group_segment_fixed_size 0
		.amdhsa_private_segment_fixed_size 0
		.amdhsa_kernarg_size 360
		.amdhsa_user_sgpr_count 2
		.amdhsa_user_sgpr_dispatch_ptr 0
		.amdhsa_user_sgpr_queue_ptr 0
		.amdhsa_user_sgpr_kernarg_segment_ptr 1
		.amdhsa_user_sgpr_dispatch_id 0
		.amdhsa_user_sgpr_private_segment_size 0
		.amdhsa_wavefront_size32 1
		.amdhsa_uses_dynamic_stack 0
		.amdhsa_enable_private_segment 0
		.amdhsa_system_sgpr_workgroup_id_x 1
		.amdhsa_system_sgpr_workgroup_id_y 1
		.amdhsa_system_sgpr_workgroup_id_z 1
		.amdhsa_system_sgpr_workgroup_info 0
		.amdhsa_system_vgpr_workitem_id 1
		.amdhsa_next_free_vgpr 22
		.amdhsa_next_free_sgpr 38
		.amdhsa_reserve_vcc 1
		.amdhsa_float_round_mode_32 0
		.amdhsa_float_round_mode_16_64 0
		.amdhsa_float_denorm_mode_32 3
		.amdhsa_float_denorm_mode_16_64 3
		.amdhsa_fp16_overflow 0
		.amdhsa_workgroup_processor_mode 1
		.amdhsa_memory_ordered 1
		.amdhsa_forward_progress 1
		.amdhsa_inst_pref_size 9
		.amdhsa_round_robin_scheduling 0
		.amdhsa_exception_fp_ieee_invalid_op 0
		.amdhsa_exception_fp_denorm_src 0
		.amdhsa_exception_fp_ieee_div_zero 0
		.amdhsa_exception_fp_ieee_overflow 0
		.amdhsa_exception_fp_ieee_underflow 0
		.amdhsa_exception_fp_ieee_inexact 0
		.amdhsa_exception_int_div_zero 0
	.end_amdhsa_kernel
	.section	.text._ZL39rocblas_trsm_block_forward_substitutionI19rocblas_complex_numIfES1_PKPKS1_PKPS1_Lb0ELb1ELb1EEv18rocblas_operation_llT0_T1_lllT2_lllib,"axG",@progbits,_ZL39rocblas_trsm_block_forward_substitutionI19rocblas_complex_numIfES1_PKPKS1_PKPS1_Lb0ELb1ELb1EEv18rocblas_operation_llT0_T1_lllT2_lllib,comdat
.Lfunc_end184:
	.size	_ZL39rocblas_trsm_block_forward_substitutionI19rocblas_complex_numIfES1_PKPKS1_PKPS1_Lb0ELb1ELb1EEv18rocblas_operation_llT0_T1_lllT2_lllib, .Lfunc_end184-_ZL39rocblas_trsm_block_forward_substitutionI19rocblas_complex_numIfES1_PKPKS1_PKPS1_Lb0ELb1ELb1EEv18rocblas_operation_llT0_T1_lllT2_lllib
                                        ; -- End function
	.set _ZL39rocblas_trsm_block_forward_substitutionI19rocblas_complex_numIfES1_PKPKS1_PKPS1_Lb0ELb1ELb1EEv18rocblas_operation_llT0_T1_lllT2_lllib.num_vgpr, 22
	.set _ZL39rocblas_trsm_block_forward_substitutionI19rocblas_complex_numIfES1_PKPKS1_PKPS1_Lb0ELb1ELb1EEv18rocblas_operation_llT0_T1_lllT2_lllib.num_agpr, 0
	.set _ZL39rocblas_trsm_block_forward_substitutionI19rocblas_complex_numIfES1_PKPKS1_PKPS1_Lb0ELb1ELb1EEv18rocblas_operation_llT0_T1_lllT2_lllib.numbered_sgpr, 38
	.set _ZL39rocblas_trsm_block_forward_substitutionI19rocblas_complex_numIfES1_PKPKS1_PKPS1_Lb0ELb1ELb1EEv18rocblas_operation_llT0_T1_lllT2_lllib.num_named_barrier, 0
	.set _ZL39rocblas_trsm_block_forward_substitutionI19rocblas_complex_numIfES1_PKPKS1_PKPS1_Lb0ELb1ELb1EEv18rocblas_operation_llT0_T1_lllT2_lllib.private_seg_size, 0
	.set _ZL39rocblas_trsm_block_forward_substitutionI19rocblas_complex_numIfES1_PKPKS1_PKPS1_Lb0ELb1ELb1EEv18rocblas_operation_llT0_T1_lllT2_lllib.uses_vcc, 1
	.set _ZL39rocblas_trsm_block_forward_substitutionI19rocblas_complex_numIfES1_PKPKS1_PKPS1_Lb0ELb1ELb1EEv18rocblas_operation_llT0_T1_lllT2_lllib.uses_flat_scratch, 0
	.set _ZL39rocblas_trsm_block_forward_substitutionI19rocblas_complex_numIfES1_PKPKS1_PKPS1_Lb0ELb1ELb1EEv18rocblas_operation_llT0_T1_lllT2_lllib.has_dyn_sized_stack, 0
	.set _ZL39rocblas_trsm_block_forward_substitutionI19rocblas_complex_numIfES1_PKPKS1_PKPS1_Lb0ELb1ELb1EEv18rocblas_operation_llT0_T1_lllT2_lllib.has_recursion, 0
	.set _ZL39rocblas_trsm_block_forward_substitutionI19rocblas_complex_numIfES1_PKPKS1_PKPS1_Lb0ELb1ELb1EEv18rocblas_operation_llT0_T1_lllT2_lllib.has_indirect_call, 0
	.section	.AMDGPU.csdata,"",@progbits
; Kernel info:
; codeLenInByte = 1132
; TotalNumSgprs: 40
; NumVgprs: 22
; ScratchSize: 0
; MemoryBound: 0
; FloatMode: 240
; IeeeMode: 1
; LDSByteSize: 0 bytes/workgroup (compile time only)
; SGPRBlocks: 0
; VGPRBlocks: 2
; NumSGPRsForWavesPerEU: 40
; NumVGPRsForWavesPerEU: 22
; Occupancy: 16
; WaveLimiterHint : 1
; COMPUTE_PGM_RSRC2:SCRATCH_EN: 0
; COMPUTE_PGM_RSRC2:USER_SGPR: 2
; COMPUTE_PGM_RSRC2:TRAP_HANDLER: 0
; COMPUTE_PGM_RSRC2:TGID_X_EN: 1
; COMPUTE_PGM_RSRC2:TGID_Y_EN: 1
; COMPUTE_PGM_RSRC2:TGID_Z_EN: 1
; COMPUTE_PGM_RSRC2:TIDIG_COMP_CNT: 1
	.section	.text._ZL40rocblas_trsm_block_backward_substitutionI19rocblas_complex_numIfES1_PKPKS1_PKPS1_Lb0ELb1ELb1EEv18rocblas_operation_llT0_T1_lllT2_lllib,"axG",@progbits,_ZL40rocblas_trsm_block_backward_substitutionI19rocblas_complex_numIfES1_PKPKS1_PKPS1_Lb0ELb1ELb1EEv18rocblas_operation_llT0_T1_lllT2_lllib,comdat
	.globl	_ZL40rocblas_trsm_block_backward_substitutionI19rocblas_complex_numIfES1_PKPKS1_PKPS1_Lb0ELb1ELb1EEv18rocblas_operation_llT0_T1_lllT2_lllib ; -- Begin function _ZL40rocblas_trsm_block_backward_substitutionI19rocblas_complex_numIfES1_PKPKS1_PKPS1_Lb0ELb1ELb1EEv18rocblas_operation_llT0_T1_lllT2_lllib
	.p2align	8
	.type	_ZL40rocblas_trsm_block_backward_substitutionI19rocblas_complex_numIfES1_PKPKS1_PKPS1_Lb0ELb1ELb1EEv18rocblas_operation_llT0_T1_lllT2_lllib,@function
_ZL40rocblas_trsm_block_backward_substitutionI19rocblas_complex_numIfES1_PKPKS1_PKPS1_Lb0ELb1ELb1EEv18rocblas_operation_llT0_T1_lllT2_lllib: ; @_ZL40rocblas_trsm_block_backward_substitutionI19rocblas_complex_numIfES1_PKPKS1_PKPS1_Lb0ELb1ELb1EEv18rocblas_operation_llT0_T1_lllT2_lllib
; %bb.0:
	s_load_b64 s[2:3], s[0:1], 0x60
	s_lshr_b32 s16, ttmp7, 16
	s_wait_kmcnt 0x0
	s_cmp_ge_u32 s16, s2
	s_cbranch_scc1 .LBB185_23
; %bb.1:
	s_clause 0x4
	s_load_b32 s8, s[0:1], 0x0
	s_load_u16 s33, s[0:1], 0x76
	s_load_b64 s[18:19], s[0:1], 0x30
	s_load_b64 s[26:27], s[0:1], 0x50
	s_load_b128 s[4:7], s[0:1], 0x8
	s_bitcmp1_b32 s3, 0
	v_bfe_u32 v1, v0, 10, 10
	s_cselect_b32 s3, -1, 0
	s_add_nc_u64 s[22:23], s[0:1], 0x68
	s_mov_b64 s[24:25], src_shared_base
	s_mov_b32 s17, 0
	v_lshl_add_u32 v16, v1, 3, 0
	v_mov_b32_e32 v3, 0
	s_wait_kmcnt 0x0
	s_cmp_lg_u32 s8, 0x71
	s_cselect_b32 s34, -1, 0
	s_and_b32 s8, ttmp7, 0xffff
	v_cmp_gt_i64_e64 s35, s[4:5], 0
	v_mad_co_u64_u32 v[4:5], null, s8, s33, v[1:2]
	v_and_b32_e32 v2, 0x3ff, v0
	s_clause 0x2
	s_load_b64 s[20:21], s[0:1], 0x18
	s_load_b128 s[8:11], s[0:1], 0x20
	s_load_b128 s[12:15], s[0:1], 0x40
	s_lshl_b32 s1, s33, 3
	v_cmp_gt_i64_e64 s37, s[4:5], 1
	s_add_co_i32 s24, s1, 0
	v_mad_co_u64_u32 v[6:7], null, s18, v2, 0
	v_mad_co_u64_u32 v[8:9], null, s26, v4, 0
	v_cmp_gt_i64_e64 s0, s[4:5], v[2:3]
	v_lshlrev_b32_e32 v0, 3, v2
	s_delay_alu instid0(VALU_DEP_4) | instskip(NEXT) | instid1(VALU_DEP_4)
	v_dual_mov_b32 v5, v7 :: v_dual_lshlrev_b32 v18, 3, v2
	v_mov_b32_e32 v7, v9
	s_delay_alu instid0(VALU_DEP_3) | instskip(NEXT) | instid1(VALU_DEP_3)
	v_add_nc_u32_e32 v17, s24, v0
	v_mad_co_u64_u32 v[9:10], null, s19, v2, v[5:6]
	s_delay_alu instid0(VALU_DEP_3)
	v_mad_co_u64_u32 v[10:11], null, s27, v4, v[7:8]
	v_mov_b32_e32 v5, v3
	s_add_nc_u64 s[26:27], s[4:5], -1
	s_wait_kmcnt 0x0
	s_lshl_b64 s[10:11], s[10:11], 3
	s_lshl_b64 s[14:15], s[14:15], 3
	s_delay_alu instid0(VALU_DEP_3)
	v_mov_b32_e32 v7, v9
	v_cmp_gt_i64_e32 vcc_lo, s[6:7], v[4:5]
	v_mov_b32_e32 v9, v10
	s_wait_alu 0xfffe
	s_lshl_b64 s[6:7], s[26:27], 3
	v_lshlrev_b64_e32 v[4:5], 3, v[6:7]
	s_delay_alu instid0(VALU_DEP_2)
	v_lshlrev_b64_e32 v[6:7], 3, v[8:9]
	s_and_b32 s36, vcc_lo, s0
	s_branch .LBB185_4
.LBB185_2:                              ;   in Loop: Header=BB185_4 Depth=1
	flat_store_b64 v[8:9], v[10:11]
.LBB185_3:                              ;   in Loop: Header=BB185_4 Depth=1
	s_or_b32 exec_lo, exec_lo, s1
	s_add_co_i32 s16, s16, 0x10000
	s_delay_alu instid0(SALU_CYCLE_1)
	s_cmp_lt_u32 s16, s2
	s_cbranch_scc0 .LBB185_23
.LBB185_4:                              ; =>This Loop Header: Depth=1
                                        ;     Child Loop BB185_9 Depth 2
                                        ;     Child Loop BB185_16 Depth 2
	s_lshl_b64 s[28:29], s[16:17], 3
	s_wait_alu 0xfffe
	s_add_nc_u64 s[30:31], s[8:9], s[28:29]
	s_add_nc_u64 s[28:29], s[12:13], s[28:29]
	global_load_b64 v[10:11], v3, s[30:31]
	s_wait_loadcnt 0x1
	global_load_b64 v[8:9], v3, s[28:29]
	s_mov_b64 s[28:29], 1
	s_mov_b64 s[30:31], s[18:19]
	s_wait_loadcnt 0x1
	v_add_co_u32 v12, vcc_lo, v10, s10
	s_wait_alu 0xfffd
	v_add_co_ci_u32_e64 v13, null, s11, v11, vcc_lo
	s_and_not1_b32 vcc_lo, exec_lo, s3
	s_wait_alu 0xfffe
	s_cbranch_vccz .LBB185_6
; %bb.5:                                ;   in Loop: Header=BB185_4 Depth=1
	s_and_saveexec_b32 s1, s36
	s_cbranch_execz .LBB185_3
	s_branch .LBB185_12
.LBB185_6:                              ;   in Loop: Header=BB185_4 Depth=1
	s_and_not1_b32 vcc_lo, exec_lo, s35
	s_wait_alu 0xfffe
	s_cbranch_vccnz .LBB185_11
; %bb.7:                                ;   in Loop: Header=BB185_4 Depth=1
	v_add_co_u32 v12, vcc_lo, v12, v4
	s_wait_alu 0xfffd
	v_add_co_ci_u32_e64 v13, null, v13, v5, vcc_lo
	s_mov_b32 s28, 0
	s_branch .LBB185_9
.LBB185_8:                              ;   in Loop: Header=BB185_9 Depth=2
	s_or_b32 exec_lo, exec_lo, s1
	s_add_co_i32 s28, s28, s33
	s_wait_alu 0xfffe
	s_ashr_i32 s29, s28, 31
	s_wait_alu 0xfffe
	v_cmp_le_i64_e64 s1, s[4:5], s[28:29]
	s_and_b32 vcc_lo, exec_lo, s1
	s_wait_alu 0xfffe
	s_cbranch_vccnz .LBB185_11
.LBB185_9:                              ;   Parent Loop BB185_4 Depth=1
                                        ; =>  This Inner Loop Header: Depth=2
	s_wait_alu 0xfffe
	v_add_nc_u32_e32 v10, s28, v1
	s_delay_alu instid0(VALU_DEP_1) | instskip(SKIP_1) | instid1(VALU_DEP_2)
	v_ashrrev_i32_e32 v11, 31, v10
	v_cmp_lt_i32_e64 s1, v2, v10
	v_cmp_gt_i64_e32 vcc_lo, s[4:5], v[10:11]
	s_and_b32 s1, s1, vcc_lo
	s_delay_alu instid0(SALU_CYCLE_1)
	s_and_b32 s29, s0, s1
	s_wait_alu 0xfffe
	s_and_saveexec_b32 s1, s29
	s_cbranch_execz .LBB185_8
; %bb.10:                               ;   in Loop: Header=BB185_9 Depth=2
	v_lshlrev_b64_e32 v[14:15], 3, v[10:11]
	s_load_b32 s29, s[22:23], 0xc
	s_delay_alu instid0(VALU_DEP_1) | instskip(SKIP_1) | instid1(VALU_DEP_2)
	v_add_co_u32 v14, vcc_lo, v12, v14
	s_wait_alu 0xfffd
	v_add_co_ci_u32_e64 v15, null, v13, v15, vcc_lo
	flat_load_b64 v[14:15], v[14:15]
	s_wait_kmcnt 0x0
	s_and_b32 s29, s29, 0xffff
	s_wait_alu 0xfffe
	v_mul_lo_u32 v10, v10, s29
	s_delay_alu instid0(VALU_DEP_1)
	v_lshl_add_u32 v10, v10, 3, v17
	s_wait_loadcnt_dscnt 0x0
	ds_store_b64 v10, v[14:15]
	s_branch .LBB185_8
.LBB185_11:                             ;   in Loop: Header=BB185_4 Depth=1
	s_load_b32 s1, s[22:23], 0xc
	v_dual_mov_b32 v12, s24 :: v_dual_mov_b32 v13, s25
	s_mov_b32 s29, s17
	s_mov_b64 s[30:31], 1
	s_wait_kmcnt 0x0
	s_and_b32 s28, s1, 0xffff
	s_and_saveexec_b32 s1, s36
	s_cbranch_execz .LBB185_3
.LBB185_12:                             ;   in Loop: Header=BB185_4 Depth=1
	s_wait_loadcnt 0x0
	v_add_co_u32 v8, vcc_lo, v8, s14
	s_wait_alu 0xfffd
	v_add_co_ci_u32_e64 v9, null, s15, v9, vcc_lo
	s_delay_alu instid0(VALU_DEP_2) | instskip(SKIP_1) | instid1(VALU_DEP_2)
	v_add_co_u32 v8, vcc_lo, v8, v6
	s_wait_alu 0xfffd
	v_add_co_ci_u32_e64 v9, null, v9, v7, vcc_lo
	s_delay_alu instid0(VALU_DEP_2) | instskip(SKIP_1) | instid1(VALU_DEP_2)
	v_add_co_u32 v8, vcc_lo, v8, v18
	s_wait_alu 0xfffd
	v_add_co_ci_u32_e64 v9, null, 0, v9, vcc_lo
	s_and_not1_b32 vcc_lo, exec_lo, s37
	flat_load_b64 v[14:15], v[8:9]
	s_wait_loadcnt_dscnt 0x0
	v_mul_f32_e32 v11, s20, v15
	s_delay_alu instid0(VALU_DEP_1) | instskip(NEXT) | instid1(VALU_DEP_1)
	v_dual_mul_f32 v10, s21, v15 :: v_dual_fmac_f32 v11, s21, v14
	v_fma_f32 v10, s20, v14, -v10
	s_wait_alu 0xfffe
	s_cbranch_vccnz .LBB185_2
; %bb.13:                               ;   in Loop: Header=BB185_4 Depth=1
	s_mul_u64 s[38:39], s[6:7], s[28:29]
	s_lshl_b32 s28, s28, 3
	s_wait_alu 0xfffe
	v_add_co_u32 v12, vcc_lo, v12, s38
	s_wait_alu 0xfffd
	v_add_co_ci_u32_e64 v13, null, s39, v13, vcc_lo
	s_mov_b32 s29, s17
	s_wait_alu 0xfffe
	s_sub_nc_u64 s[28:29], 0, s[28:29]
	v_mad_co_u64_u32 v[12:13], null, v0, s30, v[12:13]
	s_delay_alu instid0(VALU_DEP_1) | instskip(NEXT) | instid1(VALU_DEP_2)
	v_mad_co_u64_u32 v[13:14], null, v0, s31, v[13:14]
	v_add_co_u32 v12, vcc_lo, v12, 4
	s_mov_b64 s[30:31], s[26:27]
	s_wait_alu 0xfffd
	v_add_co_ci_u32_e64 v13, null, 0, v13, vcc_lo
	s_branch .LBB185_16
.LBB185_14:                             ;   in Loop: Header=BB185_16 Depth=2
	ds_load_b64 v[19:20], v16
	s_wait_loadcnt_dscnt 0x0
	v_dual_mul_f32 v21, v15, v20 :: v_dual_mul_f32 v20, v20, v14
	s_delay_alu instid0(VALU_DEP_1) | instskip(NEXT) | instid1(VALU_DEP_2)
	v_fma_f32 v14, v19, v14, -v21
	v_fmac_f32_e32 v20, v15, v19
	s_delay_alu instid0(VALU_DEP_1)
	v_dual_sub_f32 v10, v10, v14 :: v_dual_sub_f32 v11, v11, v20
.LBB185_15:                             ;   in Loop: Header=BB185_16 Depth=2
	s_wait_alu 0xfffe
	s_or_b32 exec_lo, exec_lo, s38
	s_add_nc_u64 s[38:39], s[30:31], 1
	v_add_co_u32 v12, vcc_lo, v12, s28
	s_wait_alu 0xfffe
	v_cmp_lt_u64_e64 s38, s[38:39], 3
	s_wait_alu 0xfffd
	v_add_co_ci_u32_e64 v13, null, s29, v13, vcc_lo
	s_add_nc_u64 s[30:31], s[30:31], -1
	s_and_b32 vcc_lo, exec_lo, s38
	s_wait_alu 0xfffe
	s_cbranch_vccnz .LBB185_2
.LBB185_16:                             ;   Parent Loop BB185_4 Depth=1
                                        ; =>  This Inner Loop Header: Depth=2
	s_mov_b32 s38, exec_lo
	s_barrier_signal -1
	s_barrier_wait -1
	global_inv scope:SCOPE_SE
	s_wait_alu 0xfffe
	v_cmpx_eq_u64_e64 s[30:31], v[2:3]
; %bb.17:                               ;   in Loop: Header=BB185_16 Depth=2
	ds_store_b64 v16, v[10:11]
; %bb.18:                               ;   in Loop: Header=BB185_16 Depth=2
	s_or_b32 exec_lo, exec_lo, s38
	s_delay_alu instid0(SALU_CYCLE_1)
	s_mov_b32 s38, exec_lo
	s_wait_loadcnt_dscnt 0x0
	s_barrier_signal -1
	s_barrier_wait -1
	global_inv scope:SCOPE_SE
	v_cmpx_gt_i64_e64 s[30:31], v[2:3]
	s_cbranch_execz .LBB185_15
; %bb.19:                               ;   in Loop: Header=BB185_16 Depth=2
	s_and_b32 vcc_lo, exec_lo, s34
	s_mov_b32 s39, -1
                                        ; implicit-def: $vgpr14
	s_wait_alu 0xfffe
	s_cbranch_vccz .LBB185_21
; %bb.20:                               ;   in Loop: Header=BB185_16 Depth=2
	flat_load_b64 v[14:15], v[12:13] offset:-4
	s_mov_b32 s39, 0
.LBB185_21:                             ;   in Loop: Header=BB185_16 Depth=2
	s_wait_alu 0xfffe
	s_and_not1_b32 vcc_lo, exec_lo, s39
	s_wait_alu 0xfffe
	s_cbranch_vccnz .LBB185_14
; %bb.22:                               ;   in Loop: Header=BB185_16 Depth=2
	s_wait_loadcnt_dscnt 0x0
	flat_load_b64 v[14:15], v[12:13] offset:-4
	s_wait_loadcnt_dscnt 0x0
	v_xor_b32_e32 v15, 0x80000000, v15
	s_branch .LBB185_14
.LBB185_23:
	s_endpgm
	.section	.rodata,"a",@progbits
	.p2align	6, 0x0
	.amdhsa_kernel _ZL40rocblas_trsm_block_backward_substitutionI19rocblas_complex_numIfES1_PKPKS1_PKPS1_Lb0ELb1ELb1EEv18rocblas_operation_llT0_T1_lllT2_lllib
		.amdhsa_group_segment_fixed_size 0
		.amdhsa_private_segment_fixed_size 0
		.amdhsa_kernarg_size 360
		.amdhsa_user_sgpr_count 2
		.amdhsa_user_sgpr_dispatch_ptr 0
		.amdhsa_user_sgpr_queue_ptr 0
		.amdhsa_user_sgpr_kernarg_segment_ptr 1
		.amdhsa_user_sgpr_dispatch_id 0
		.amdhsa_user_sgpr_private_segment_size 0
		.amdhsa_wavefront_size32 1
		.amdhsa_uses_dynamic_stack 0
		.amdhsa_enable_private_segment 0
		.amdhsa_system_sgpr_workgroup_id_x 1
		.amdhsa_system_sgpr_workgroup_id_y 1
		.amdhsa_system_sgpr_workgroup_id_z 1
		.amdhsa_system_sgpr_workgroup_info 0
		.amdhsa_system_vgpr_workitem_id 1
		.amdhsa_next_free_vgpr 22
		.amdhsa_next_free_sgpr 40
		.amdhsa_reserve_vcc 1
		.amdhsa_float_round_mode_32 0
		.amdhsa_float_round_mode_16_64 0
		.amdhsa_float_denorm_mode_32 3
		.amdhsa_float_denorm_mode_16_64 3
		.amdhsa_fp16_overflow 0
		.amdhsa_workgroup_processor_mode 1
		.amdhsa_memory_ordered 1
		.amdhsa_forward_progress 1
		.amdhsa_inst_pref_size 10
		.amdhsa_round_robin_scheduling 0
		.amdhsa_exception_fp_ieee_invalid_op 0
		.amdhsa_exception_fp_denorm_src 0
		.amdhsa_exception_fp_ieee_div_zero 0
		.amdhsa_exception_fp_ieee_overflow 0
		.amdhsa_exception_fp_ieee_underflow 0
		.amdhsa_exception_fp_ieee_inexact 0
		.amdhsa_exception_int_div_zero 0
	.end_amdhsa_kernel
	.section	.text._ZL40rocblas_trsm_block_backward_substitutionI19rocblas_complex_numIfES1_PKPKS1_PKPS1_Lb0ELb1ELb1EEv18rocblas_operation_llT0_T1_lllT2_lllib,"axG",@progbits,_ZL40rocblas_trsm_block_backward_substitutionI19rocblas_complex_numIfES1_PKPKS1_PKPS1_Lb0ELb1ELb1EEv18rocblas_operation_llT0_T1_lllT2_lllib,comdat
.Lfunc_end185:
	.size	_ZL40rocblas_trsm_block_backward_substitutionI19rocblas_complex_numIfES1_PKPKS1_PKPS1_Lb0ELb1ELb1EEv18rocblas_operation_llT0_T1_lllT2_lllib, .Lfunc_end185-_ZL40rocblas_trsm_block_backward_substitutionI19rocblas_complex_numIfES1_PKPKS1_PKPS1_Lb0ELb1ELb1EEv18rocblas_operation_llT0_T1_lllT2_lllib
                                        ; -- End function
	.set _ZL40rocblas_trsm_block_backward_substitutionI19rocblas_complex_numIfES1_PKPKS1_PKPS1_Lb0ELb1ELb1EEv18rocblas_operation_llT0_T1_lllT2_lllib.num_vgpr, 22
	.set _ZL40rocblas_trsm_block_backward_substitutionI19rocblas_complex_numIfES1_PKPKS1_PKPS1_Lb0ELb1ELb1EEv18rocblas_operation_llT0_T1_lllT2_lllib.num_agpr, 0
	.set _ZL40rocblas_trsm_block_backward_substitutionI19rocblas_complex_numIfES1_PKPKS1_PKPS1_Lb0ELb1ELb1EEv18rocblas_operation_llT0_T1_lllT2_lllib.numbered_sgpr, 40
	.set _ZL40rocblas_trsm_block_backward_substitutionI19rocblas_complex_numIfES1_PKPKS1_PKPS1_Lb0ELb1ELb1EEv18rocblas_operation_llT0_T1_lllT2_lllib.num_named_barrier, 0
	.set _ZL40rocblas_trsm_block_backward_substitutionI19rocblas_complex_numIfES1_PKPKS1_PKPS1_Lb0ELb1ELb1EEv18rocblas_operation_llT0_T1_lllT2_lllib.private_seg_size, 0
	.set _ZL40rocblas_trsm_block_backward_substitutionI19rocblas_complex_numIfES1_PKPKS1_PKPS1_Lb0ELb1ELb1EEv18rocblas_operation_llT0_T1_lllT2_lllib.uses_vcc, 1
	.set _ZL40rocblas_trsm_block_backward_substitutionI19rocblas_complex_numIfES1_PKPKS1_PKPS1_Lb0ELb1ELb1EEv18rocblas_operation_llT0_T1_lllT2_lllib.uses_flat_scratch, 0
	.set _ZL40rocblas_trsm_block_backward_substitutionI19rocblas_complex_numIfES1_PKPKS1_PKPS1_Lb0ELb1ELb1EEv18rocblas_operation_llT0_T1_lllT2_lllib.has_dyn_sized_stack, 0
	.set _ZL40rocblas_trsm_block_backward_substitutionI19rocblas_complex_numIfES1_PKPKS1_PKPS1_Lb0ELb1ELb1EEv18rocblas_operation_llT0_T1_lllT2_lllib.has_recursion, 0
	.set _ZL40rocblas_trsm_block_backward_substitutionI19rocblas_complex_numIfES1_PKPKS1_PKPS1_Lb0ELb1ELb1EEv18rocblas_operation_llT0_T1_lllT2_lllib.has_indirect_call, 0
	.section	.AMDGPU.csdata,"",@progbits
; Kernel info:
; codeLenInByte = 1252
; TotalNumSgprs: 42
; NumVgprs: 22
; ScratchSize: 0
; MemoryBound: 0
; FloatMode: 240
; IeeeMode: 1
; LDSByteSize: 0 bytes/workgroup (compile time only)
; SGPRBlocks: 0
; VGPRBlocks: 2
; NumSGPRsForWavesPerEU: 42
; NumVGPRsForWavesPerEU: 22
; Occupancy: 16
; WaveLimiterHint : 1
; COMPUTE_PGM_RSRC2:SCRATCH_EN: 0
; COMPUTE_PGM_RSRC2:USER_SGPR: 2
; COMPUTE_PGM_RSRC2:TRAP_HANDLER: 0
; COMPUTE_PGM_RSRC2:TGID_X_EN: 1
; COMPUTE_PGM_RSRC2:TGID_Y_EN: 1
; COMPUTE_PGM_RSRC2:TGID_Z_EN: 1
; COMPUTE_PGM_RSRC2:TIDIG_COMP_CNT: 1
	.section	.text._ZL39rocblas_trsm_block_forward_substitutionI19rocblas_complex_numIfES1_PKPKS1_PKPS1_Lb1ELb1ELb0EEv18rocblas_operation_llT0_T1_lllT2_lllib,"axG",@progbits,_ZL39rocblas_trsm_block_forward_substitutionI19rocblas_complex_numIfES1_PKPKS1_PKPS1_Lb1ELb1ELb0EEv18rocblas_operation_llT0_T1_lllT2_lllib,comdat
	.globl	_ZL39rocblas_trsm_block_forward_substitutionI19rocblas_complex_numIfES1_PKPKS1_PKPS1_Lb1ELb1ELb0EEv18rocblas_operation_llT0_T1_lllT2_lllib ; -- Begin function _ZL39rocblas_trsm_block_forward_substitutionI19rocblas_complex_numIfES1_PKPKS1_PKPS1_Lb1ELb1ELb0EEv18rocblas_operation_llT0_T1_lllT2_lllib
	.p2align	8
	.type	_ZL39rocblas_trsm_block_forward_substitutionI19rocblas_complex_numIfES1_PKPKS1_PKPS1_Lb1ELb1ELb0EEv18rocblas_operation_llT0_T1_lllT2_lllib,@function
_ZL39rocblas_trsm_block_forward_substitutionI19rocblas_complex_numIfES1_PKPKS1_PKPS1_Lb1ELb1ELb0EEv18rocblas_operation_llT0_T1_lllT2_lllib: ; @_ZL39rocblas_trsm_block_forward_substitutionI19rocblas_complex_numIfES1_PKPKS1_PKPS1_Lb1ELb1ELb0EEv18rocblas_operation_llT0_T1_lllT2_lllib
; %bb.0:
	s_load_b64 s[16:17], s[0:1], 0x60
	s_lshr_b32 s18, ttmp7, 16
	s_wait_kmcnt 0x0
	s_cmp_ge_u32 s18, s16
	s_cbranch_scc1 .LBB186_45
; %bb.1:
	s_mov_b64 s[24:25], src_shared_base
	s_clause 0x6
	s_load_b64 s[2:3], s[0:1], 0x50
	s_load_b32 s24, s[0:1], 0x0
	s_load_b128 s[4:7], s[0:1], 0x8
	s_load_b64 s[20:21], s[0:1], 0x18
	s_load_b128 s[8:11], s[0:1], 0x20
	s_load_b64 s[30:31], s[0:1], 0x30
	s_load_b128 s[12:15], s[0:1], 0x40
	v_dual_mov_b32 v3, 0 :: v_dual_and_b32 v2, 0x3ff, v0
	s_bitcmp1_b32 s17, 0
	s_load_u16 s17, s[0:1], 0x76
	s_add_nc_u64 s[22:23], s[0:1], 0x68
	s_cselect_b32 s0, -1, 0
	v_bfe_u32 v1, v0, 10, 10
	s_xor_b32 s33, s0, -1
	v_cndmask_b32_e64 v0, 0, 1, s0
	v_lshlrev_b32_e32 v20, 3, v2
	s_mov_b32 s19, 0
	v_lshl_add_u32 v21, v1, 3, 0
	s_mov_b64 s[26:27], 1
	s_wait_kmcnt 0x0
	v_mad_co_u64_u32 v[6:7], null, s2, v2, 0
	s_cmp_lg_u32 s24, 0x71
	v_cmp_le_i64_e32 vcc_lo, s[4:5], v[2:3]
	s_cselect_b32 s34, -1, 0
	s_and_b32 s0, ttmp7, 0xffff
	v_cmp_gt_i64_e64 s1, s[4:5], v[2:3]
	s_add_nc_u64 s[28:29], s[4:5], -1
	v_mov_b32_e32 v4, v7
	v_cmp_gt_i64_e64 s35, s[4:5], 0
	s_wait_alu 0xfffe
	v_mad_co_u64_u32 v[8:9], null, s0, s17, v[1:2]
	v_mov_b32_e32 v9, v3
	v_mad_co_u64_u32 v[4:5], null, s3, v2, v[4:5]
	s_lshl_b32 s0, s17, 3
	v_cmp_gt_i64_e64 s37, s[4:5], 1
	s_wait_alu 0xfffe
	s_add_co_i32 s24, s0, 0
	v_cmp_gt_i64_e64 s2, s[6:7], v[8:9]
	v_cmp_eq_u64_e64 s0, s[28:29], v[2:3]
	s_lshl_b64 s[6:7], s[14:15], 3
	v_dual_mov_b32 v7, v4 :: v_dual_add_nc_u32 v22, s24, v20
	v_lshlrev_b64_e32 v[4:5], 3, v[8:9]
	s_and_b32 s36, s2, s1
	s_lshl_b64 s[2:3], s[10:11], 3
	s_delay_alu instid0(VALU_DEP_2)
	v_lshlrev_b64_e32 v[6:7], 3, v[6:7]
	s_xor_b32 s38, vcc_lo, -1
	s_branch .LBB186_6
.LBB186_2:                              ;   in Loop: Header=BB186_6 Depth=1
	s_wait_alu 0xfffe
	s_or_b32 exec_lo, exec_lo, s11
.LBB186_3:                              ;   in Loop: Header=BB186_6 Depth=1
	s_wait_loadcnt_dscnt 0x0
	v_mul_f32_e32 v14, v11, v13
	v_mul_f32_e32 v11, v11, v12
	s_delay_alu instid0(VALU_DEP_2) | instskip(NEXT) | instid1(VALU_DEP_1)
	v_fma_f32 v12, v10, v12, -v14
	v_dual_fmac_f32 v11, v10, v13 :: v_dual_mov_b32 v10, v12
.LBB186_4:                              ;   in Loop: Header=BB186_6 Depth=1
	s_wait_alu 0xfffe
	s_or_b32 exec_lo, exec_lo, s10
	flat_store_b64 v[8:9], v[10:11]
.LBB186_5:                              ;   in Loop: Header=BB186_6 Depth=1
	s_wait_alu 0xfffe
	s_or_b32 exec_lo, exec_lo, s1
	s_add_co_i32 s18, s18, 0x10000
	s_delay_alu instid0(SALU_CYCLE_1)
	s_cmp_lt_u32 s18, s16
	s_cbranch_scc0 .LBB186_45
.LBB186_6:                              ; =>This Loop Header: Depth=1
                                        ;     Child Loop BB186_13 Depth 2
                                        ;     Child Loop BB186_26 Depth 2
	s_lshl_b64 s[10:11], s[18:19], 3
	v_cmp_ne_u32_e32 vcc_lo, 1, v0
	s_wait_alu 0xfffe
	s_add_nc_u64 s[14:15], s[8:9], s[10:11]
	s_add_nc_u64 s[10:11], s[12:13], s[10:11]
	global_load_b64 v[10:11], v3, s[14:15]
	s_wait_loadcnt 0x1
	global_load_b64 v[8:9], v3, s[10:11]
	s_wait_loadcnt 0x1
	v_add_co_u32 v12, s1, v10, s2
	s_wait_alu 0xf1ff
	v_add_co_ci_u32_e64 v13, null, s3, v11, s1
	s_cbranch_vccz .LBB186_8
; %bb.7:                                ;   in Loop: Header=BB186_6 Depth=1
	s_and_saveexec_b32 s1, s36
	s_cbranch_execz .LBB186_5
	s_branch .LBB186_22
.LBB186_8:                              ;   in Loop: Header=BB186_6 Depth=1
	s_and_not1_b32 vcc_lo, exec_lo, s35
	s_wait_alu 0xfffe
	s_cbranch_vccnz .LBB186_21
; %bb.9:                                ;   in Loop: Header=BB186_6 Depth=1
	v_mad_co_u64_u32 v[10:11], null, s30, v2, 0
	s_mov_b32 s10, s17
	v_mov_b32_e32 v18, v1
	v_mad_co_u64_u32 v[14:15], null, s31, v2, v[11:12]
	v_mul_hi_u32_u24_e32 v15, s26, v2
	s_delay_alu instid0(VALU_DEP_2) | instskip(SKIP_1) | instid1(VALU_DEP_2)
	v_mov_b32_e32 v11, v14
	v_mul_u32_u24_e32 v14, s26, v2
	v_lshlrev_b64_e32 v[10:11], 3, v[10:11]
	s_delay_alu instid0(VALU_DEP_2) | instskip(NEXT) | instid1(VALU_DEP_2)
	v_lshlrev_b64_e32 v[14:15], 3, v[14:15]
	v_add_co_u32 v16, vcc_lo, v12, v10
	s_wait_alu 0xfffd
	s_delay_alu instid0(VALU_DEP_3) | instskip(NEXT) | instid1(VALU_DEP_2)
	v_add_co_ci_u32_e64 v17, null, v13, v11, vcc_lo
	v_add_co_u32 v10, vcc_lo, v16, v14
	s_wait_alu 0xfffd
	s_delay_alu instid0(VALU_DEP_2)
	v_add_co_ci_u32_e64 v11, null, v17, v15, vcc_lo
	s_branch .LBB186_13
.LBB186_10:                             ;   in Loop: Header=BB186_13 Depth=2
	s_wait_alu 0xfffe
	s_or_b32 exec_lo, exec_lo, s14
	s_load_b32 s14, s[22:23], 0xc
	s_wait_kmcnt 0x0
	s_and_b32 s14, s14, 0xffff
	s_wait_alu 0xfffe
	v_mul_u32_u24_e32 v12, s14, v2
	s_delay_alu instid0(VALU_DEP_1)
	v_lshl_add_u32 v12, v12, 3, v22
	ds_store_b64 v12, v[14:15]
.LBB186_11:                             ;   in Loop: Header=BB186_13 Depth=2
	s_wait_alu 0xfffe
	s_or_b32 exec_lo, exec_lo, s11
.LBB186_12:                             ;   in Loop: Header=BB186_13 Depth=2
	s_wait_alu 0xfffe
	s_or_b32 exec_lo, exec_lo, s1
	s_ashr_i32 s11, s10, 31
	v_add_nc_u32_e32 v18, s17, v18
	s_wait_alu 0xfffe
	v_cmp_le_i64_e64 s1, s[4:5], s[10:11]
	s_add_co_i32 s10, s10, s17
	s_and_b32 vcc_lo, exec_lo, s1
	s_wait_alu 0xfffe
	s_cbranch_vccnz .LBB186_21
.LBB186_13:                             ;   Parent Loop BB186_6 Depth=1
                                        ; =>  This Inner Loop Header: Depth=2
	v_cmp_gt_i32_e32 vcc_lo, v2, v18
	s_and_b32 s1, s38, vcc_lo
	s_wait_alu 0xfffe
	s_and_saveexec_b32 s11, s1
	s_wait_alu 0xfffe
	s_xor_b32 s1, exec_lo, s11
	s_cbranch_execz .LBB186_15
; %bb.14:                               ;   in Loop: Header=BB186_13 Depth=2
	v_ashrrev_i32_e32 v14, 31, v18
	v_mul_lo_u32 v15, s27, v18
	v_mad_co_u64_u32 v[12:13], null, s26, v18, 0
	s_load_b32 s11, s[22:23], 0xc
	v_mul_lo_u32 v14, s26, v14
	s_delay_alu instid0(VALU_DEP_1) | instskip(NEXT) | instid1(VALU_DEP_1)
	v_add3_u32 v13, v13, v14, v15
	v_lshlrev_b64_e32 v[12:13], 3, v[12:13]
	s_wait_kmcnt 0x0
	s_and_b32 s11, s11, 0xffff
	s_delay_alu instid0(VALU_DEP_1) | instskip(SKIP_1) | instid1(VALU_DEP_2)
	v_add_co_u32 v12, vcc_lo, v16, v12
	s_wait_alu 0xfffd
	v_add_co_ci_u32_e64 v13, null, v17, v13, vcc_lo
	s_wait_alu 0xfffe
	v_mul_lo_u32 v14, v18, s11
	flat_load_b64 v[12:13], v[12:13]
	v_lshl_add_u32 v14, v14, 3, v22
	s_wait_loadcnt_dscnt 0x0
	ds_store_b64 v14, v[12:13]
.LBB186_15:                             ;   in Loop: Header=BB186_13 Depth=2
	s_wait_alu 0xfffe
	s_and_not1_saveexec_b32 s1, s1
	s_cbranch_execz .LBB186_12
; %bb.16:                               ;   in Loop: Header=BB186_13 Depth=2
	v_cmp_eq_u32_e32 vcc_lo, v2, v18
	s_and_b32 s14, s38, vcc_lo
	s_wait_alu 0xfffe
	s_and_saveexec_b32 s11, s14
	s_cbranch_execz .LBB186_11
; %bb.17:                               ;   in Loop: Header=BB186_13 Depth=2
	flat_load_b64 v[12:13], v[10:11]
                                        ; implicit-def: $vgpr14
	s_wait_loadcnt_dscnt 0x0
	v_cmp_ngt_f32_e64 s14, |v12|, |v13|
	s_and_saveexec_b32 s15, s14
	s_wait_alu 0xfffe
	s_xor_b32 s14, exec_lo, s15
	s_cbranch_execz .LBB186_19
; %bb.18:                               ;   in Loop: Header=BB186_13 Depth=2
	v_div_scale_f32 v14, null, v13, v13, v12
	v_div_scale_f32 v23, vcc_lo, v12, v13, v12
	s_delay_alu instid0(VALU_DEP_2) | instskip(NEXT) | instid1(TRANS32_DEP_1)
	v_rcp_f32_e32 v15, v14
	v_fma_f32 v19, -v14, v15, 1.0
	s_delay_alu instid0(VALU_DEP_1) | instskip(NEXT) | instid1(VALU_DEP_1)
	v_fmac_f32_e32 v15, v19, v15
	v_mul_f32_e32 v19, v23, v15
	s_delay_alu instid0(VALU_DEP_1) | instskip(NEXT) | instid1(VALU_DEP_1)
	v_fma_f32 v24, -v14, v19, v23
	v_fmac_f32_e32 v19, v24, v15
	s_delay_alu instid0(VALU_DEP_1) | instskip(SKIP_1) | instid1(VALU_DEP_1)
	v_fma_f32 v14, -v14, v19, v23
	s_wait_alu 0xfffd
	v_div_fmas_f32 v14, v14, v15, v19
	s_delay_alu instid0(VALU_DEP_1) | instskip(NEXT) | instid1(VALU_DEP_1)
	v_div_fixup_f32 v14, v14, v13, v12
	v_fmac_f32_e32 v13, v12, v14
	s_delay_alu instid0(VALU_DEP_1) | instskip(SKIP_1) | instid1(VALU_DEP_2)
	v_div_scale_f32 v12, null, v13, v13, 1.0
	v_div_scale_f32 v23, vcc_lo, 1.0, v13, 1.0
	v_rcp_f32_e32 v15, v12
	s_delay_alu instid0(TRANS32_DEP_1) | instskip(NEXT) | instid1(VALU_DEP_1)
	v_fma_f32 v19, -v12, v15, 1.0
	v_fmac_f32_e32 v15, v19, v15
	s_delay_alu instid0(VALU_DEP_1) | instskip(NEXT) | instid1(VALU_DEP_1)
	v_mul_f32_e32 v19, v23, v15
	v_fma_f32 v24, -v12, v19, v23
	s_delay_alu instid0(VALU_DEP_1) | instskip(NEXT) | instid1(VALU_DEP_1)
	v_fmac_f32_e32 v19, v24, v15
	v_fma_f32 v12, -v12, v19, v23
	s_wait_alu 0xfffd
	s_delay_alu instid0(VALU_DEP_1) | instskip(NEXT) | instid1(VALU_DEP_1)
	v_div_fmas_f32 v12, v12, v15, v19
	v_div_fixup_f32 v12, v12, v13, 1.0
	s_delay_alu instid0(VALU_DEP_1)
	v_mul_f32_e32 v14, v14, v12
	v_xor_b32_e32 v15, 0x80000000, v12
                                        ; implicit-def: $vgpr12_vgpr13
.LBB186_19:                             ;   in Loop: Header=BB186_13 Depth=2
	s_wait_alu 0xfffe
	s_and_not1_saveexec_b32 s14, s14
	s_cbranch_execz .LBB186_10
; %bb.20:                               ;   in Loop: Header=BB186_13 Depth=2
	v_div_scale_f32 v14, null, v12, v12, v13
	v_div_scale_f32 v23, vcc_lo, v13, v12, v13
	s_delay_alu instid0(VALU_DEP_2) | instskip(NEXT) | instid1(TRANS32_DEP_1)
	v_rcp_f32_e32 v15, v14
	v_fma_f32 v19, -v14, v15, 1.0
	s_delay_alu instid0(VALU_DEP_1) | instskip(NEXT) | instid1(VALU_DEP_1)
	v_fmac_f32_e32 v15, v19, v15
	v_mul_f32_e32 v19, v23, v15
	s_delay_alu instid0(VALU_DEP_1) | instskip(NEXT) | instid1(VALU_DEP_1)
	v_fma_f32 v24, -v14, v19, v23
	v_fmac_f32_e32 v19, v24, v15
	s_delay_alu instid0(VALU_DEP_1) | instskip(SKIP_1) | instid1(VALU_DEP_1)
	v_fma_f32 v14, -v14, v19, v23
	s_wait_alu 0xfffd
	v_div_fmas_f32 v14, v14, v15, v19
	s_delay_alu instid0(VALU_DEP_1) | instskip(NEXT) | instid1(VALU_DEP_1)
	v_div_fixup_f32 v15, v14, v12, v13
	v_fmac_f32_e32 v12, v13, v15
	s_delay_alu instid0(VALU_DEP_1) | instskip(NEXT) | instid1(VALU_DEP_1)
	v_div_scale_f32 v13, null, v12, v12, 1.0
	v_rcp_f32_e32 v14, v13
	s_delay_alu instid0(TRANS32_DEP_1) | instskip(NEXT) | instid1(VALU_DEP_1)
	v_fma_f32 v19, -v13, v14, 1.0
	v_fmac_f32_e32 v14, v19, v14
	v_div_scale_f32 v19, vcc_lo, 1.0, v12, 1.0
	s_delay_alu instid0(VALU_DEP_1) | instskip(NEXT) | instid1(VALU_DEP_1)
	v_mul_f32_e32 v23, v19, v14
	v_fma_f32 v24, -v13, v23, v19
	s_delay_alu instid0(VALU_DEP_1) | instskip(NEXT) | instid1(VALU_DEP_1)
	v_fmac_f32_e32 v23, v24, v14
	v_fma_f32 v13, -v13, v23, v19
	s_wait_alu 0xfffd
	s_delay_alu instid0(VALU_DEP_1) | instskip(NEXT) | instid1(VALU_DEP_1)
	v_div_fmas_f32 v13, v13, v14, v23
	v_div_fixup_f32 v14, v13, v12, 1.0
	s_delay_alu instid0(VALU_DEP_1)
	v_mul_f32_e64 v15, v15, -v14
	s_branch .LBB186_10
.LBB186_21:                             ;   in Loop: Header=BB186_6 Depth=1
	s_load_b32 s1, s[22:23], 0xc
	v_dual_mov_b32 v12, s24 :: v_dual_mov_b32 v13, s25
	s_mov_b32 s27, s19
	s_mov_b64 s[30:31], 1
	s_wait_kmcnt 0x0
	s_and_b32 s26, s1, 0xffff
	s_and_saveexec_b32 s1, s36
	s_cbranch_execz .LBB186_5
.LBB186_22:                             ;   in Loop: Header=BB186_6 Depth=1
	s_wait_loadcnt 0x0
	v_add_co_u32 v8, vcc_lo, v8, s6
	s_wait_alu 0xfffd
	v_add_co_ci_u32_e64 v9, null, s7, v9, vcc_lo
	s_delay_alu instid0(VALU_DEP_2) | instskip(SKIP_1) | instid1(VALU_DEP_2)
	v_add_co_u32 v8, vcc_lo, v8, v6
	s_wait_alu 0xfffd
	v_add_co_ci_u32_e64 v9, null, v9, v7, vcc_lo
	s_delay_alu instid0(VALU_DEP_2) | instskip(SKIP_1) | instid1(VALU_DEP_2)
	v_add_co_u32 v8, vcc_lo, v8, v4
	s_wait_alu 0xfffd
	v_add_co_ci_u32_e64 v9, null, v9, v5, vcc_lo
	s_and_not1_b32 vcc_lo, exec_lo, s37
	flat_load_b64 v[14:15], v[8:9]
	s_wait_loadcnt_dscnt 0x0
	v_mul_f32_e32 v11, s20, v15
	s_delay_alu instid0(VALU_DEP_1) | instskip(NEXT) | instid1(VALU_DEP_1)
	v_dual_mul_f32 v10, s21, v15 :: v_dual_fmac_f32 v11, s21, v14
	v_fma_f32 v10, s20, v14, -v10
	s_wait_alu 0xfffe
	s_cbranch_vccnz .LBB186_39
; %bb.23:                               ;   in Loop: Header=BB186_6 Depth=1
	s_add_nc_u64 s[10:11], s[26:27], s[30:31]
	s_mov_b64 s[14:15], 0
	s_wait_alu 0xfffe
	v_mad_co_u64_u32 v[14:15], null, s10, v2, 0
	s_delay_alu instid0(VALU_DEP_1) | instskip(SKIP_4) | instid1(VALU_DEP_2)
	v_mad_co_u64_u32 v[15:16], null, s11, v2, v[15:16]
	v_mad_co_u64_u32 v[16:17], null, v20, s30, v[12:13]
	s_lshl_b64 s[10:11], s[26:27], 3
	v_lshlrev_b64_e32 v[14:15], 3, v[14:15]
	v_mad_co_u64_u32 v[17:18], null, v20, s31, v[17:18]
	v_add_co_u32 v14, vcc_lo, v12, v14
	s_wait_alu 0xfffd
	s_delay_alu instid0(VALU_DEP_3) | instskip(SKIP_2) | instid1(VALU_DEP_4)
	v_add_co_ci_u32_e64 v15, null, v13, v15, vcc_lo
	v_add_co_u32 v16, vcc_lo, v16, 4
	s_wait_alu 0xfffd
	v_add_co_ci_u32_e64 v17, null, 0, v17, vcc_lo
	s_branch .LBB186_26
.LBB186_24:                             ;   in Loop: Header=BB186_26 Depth=2
	ds_load_b64 v[23:24], v21
	s_wait_loadcnt_dscnt 0x0
	v_dual_mul_f32 v25, v19, v24 :: v_dual_mul_f32 v24, v24, v18
	s_delay_alu instid0(VALU_DEP_1) | instskip(NEXT) | instid1(VALU_DEP_2)
	v_fma_f32 v18, v23, v18, -v25
	v_fmac_f32_e32 v24, v19, v23
	s_delay_alu instid0(VALU_DEP_1)
	v_dual_sub_f32 v10, v10, v18 :: v_dual_sub_f32 v11, v11, v24
.LBB186_25:                             ;   in Loop: Header=BB186_26 Depth=2
	s_or_b32 exec_lo, exec_lo, s39
	s_wait_alu 0xfffe
	v_add_co_u32 v16, vcc_lo, v16, s10
	s_wait_alu 0xfffd
	v_add_co_ci_u32_e64 v17, null, s11, v17, vcc_lo
	s_add_nc_u64 s[14:15], s[14:15], 1
	s_wait_alu 0xfffe
	s_cmp_eq_u64 s[28:29], s[14:15]
	s_cbranch_scc1 .LBB186_39
.LBB186_26:                             ;   Parent Loop BB186_6 Depth=1
                                        ; =>  This Inner Loop Header: Depth=2
	s_mov_b32 s39, exec_lo
	s_barrier_signal -1
	s_barrier_wait -1
	global_inv scope:SCOPE_SE
	v_cmpx_eq_u64_e64 s[14:15], v[2:3]
	s_cbranch_execz .LBB186_34
; %bb.27:                               ;   in Loop: Header=BB186_26 Depth=2
	flat_load_b64 v[18:19], v[14:15]
	s_and_not1_b32 vcc_lo, exec_lo, s33
	s_wait_alu 0xfffe
	s_cbranch_vccnz .LBB186_33
; %bb.28:                               ;   in Loop: Header=BB186_26 Depth=2
	s_wait_loadcnt_dscnt 0x0
	v_cmp_ngt_f32_e64 s40, |v18|, |v19|
	s_and_saveexec_b32 s41, s40
	s_delay_alu instid0(SALU_CYCLE_1)
	s_xor_b32 s40, exec_lo, s41
	s_cbranch_execz .LBB186_30
; %bb.29:                               ;   in Loop: Header=BB186_26 Depth=2
	v_div_scale_f32 v23, null, v19, v19, v18
	v_div_scale_f32 v26, vcc_lo, v18, v19, v18
	s_delay_alu instid0(VALU_DEP_2) | instskip(NEXT) | instid1(TRANS32_DEP_1)
	v_rcp_f32_e32 v24, v23
	v_fma_f32 v25, -v23, v24, 1.0
	s_delay_alu instid0(VALU_DEP_1) | instskip(NEXT) | instid1(VALU_DEP_1)
	v_fmac_f32_e32 v24, v25, v24
	v_mul_f32_e32 v25, v26, v24
	s_delay_alu instid0(VALU_DEP_1) | instskip(NEXT) | instid1(VALU_DEP_1)
	v_fma_f32 v27, -v23, v25, v26
	v_fmac_f32_e32 v25, v27, v24
	s_delay_alu instid0(VALU_DEP_1) | instskip(SKIP_1) | instid1(VALU_DEP_1)
	v_fma_f32 v23, -v23, v25, v26
	s_wait_alu 0xfffd
	v_div_fmas_f32 v23, v23, v24, v25
	s_delay_alu instid0(VALU_DEP_1) | instskip(NEXT) | instid1(VALU_DEP_1)
	v_div_fixup_f32 v23, v23, v19, v18
	v_fmac_f32_e32 v19, v18, v23
	s_delay_alu instid0(VALU_DEP_1) | instskip(SKIP_1) | instid1(VALU_DEP_2)
	v_div_scale_f32 v18, null, v19, v19, 1.0
	v_div_scale_f32 v26, vcc_lo, 1.0, v19, 1.0
	v_rcp_f32_e32 v24, v18
	s_delay_alu instid0(TRANS32_DEP_1) | instskip(NEXT) | instid1(VALU_DEP_1)
	v_fma_f32 v25, -v18, v24, 1.0
	v_fmac_f32_e32 v24, v25, v24
	s_delay_alu instid0(VALU_DEP_1) | instskip(NEXT) | instid1(VALU_DEP_1)
	v_mul_f32_e32 v25, v26, v24
	v_fma_f32 v27, -v18, v25, v26
	s_delay_alu instid0(VALU_DEP_1) | instskip(NEXT) | instid1(VALU_DEP_1)
	v_fmac_f32_e32 v25, v27, v24
	v_fma_f32 v18, -v18, v25, v26
	s_wait_alu 0xfffd
	s_delay_alu instid0(VALU_DEP_1) | instskip(NEXT) | instid1(VALU_DEP_1)
	v_div_fmas_f32 v18, v18, v24, v25
	v_div_fixup_f32 v19, v18, v19, 1.0
	s_delay_alu instid0(VALU_DEP_1)
	v_mul_f32_e32 v18, v23, v19
	v_xor_b32_e32 v19, 0x80000000, v19
.LBB186_30:                             ;   in Loop: Header=BB186_26 Depth=2
	s_and_not1_saveexec_b32 s40, s40
	s_cbranch_execz .LBB186_32
; %bb.31:                               ;   in Loop: Header=BB186_26 Depth=2
	s_delay_alu instid0(VALU_DEP_1) | instskip(SKIP_1) | instid1(VALU_DEP_2)
	v_div_scale_f32 v23, null, v18, v18, v19
	v_div_scale_f32 v26, vcc_lo, v19, v18, v19
	v_rcp_f32_e32 v24, v23
	s_delay_alu instid0(TRANS32_DEP_1) | instskip(NEXT) | instid1(VALU_DEP_1)
	v_fma_f32 v25, -v23, v24, 1.0
	v_fmac_f32_e32 v24, v25, v24
	s_delay_alu instid0(VALU_DEP_1) | instskip(NEXT) | instid1(VALU_DEP_1)
	v_mul_f32_e32 v25, v26, v24
	v_fma_f32 v27, -v23, v25, v26
	s_delay_alu instid0(VALU_DEP_1) | instskip(NEXT) | instid1(VALU_DEP_1)
	v_fmac_f32_e32 v25, v27, v24
	v_fma_f32 v23, -v23, v25, v26
	s_wait_alu 0xfffd
	s_delay_alu instid0(VALU_DEP_1) | instskip(NEXT) | instid1(VALU_DEP_1)
	v_div_fmas_f32 v23, v23, v24, v25
	v_div_fixup_f32 v23, v23, v18, v19
	s_delay_alu instid0(VALU_DEP_1) | instskip(NEXT) | instid1(VALU_DEP_1)
	v_fmac_f32_e32 v18, v19, v23
	v_div_scale_f32 v19, null, v18, v18, 1.0
	s_delay_alu instid0(VALU_DEP_1) | instskip(NEXT) | instid1(TRANS32_DEP_1)
	v_rcp_f32_e32 v24, v19
	v_fma_f32 v25, -v19, v24, 1.0
	s_delay_alu instid0(VALU_DEP_1) | instskip(SKIP_1) | instid1(VALU_DEP_1)
	v_fmac_f32_e32 v24, v25, v24
	v_div_scale_f32 v25, vcc_lo, 1.0, v18, 1.0
	v_mul_f32_e32 v26, v25, v24
	s_delay_alu instid0(VALU_DEP_1) | instskip(NEXT) | instid1(VALU_DEP_1)
	v_fma_f32 v27, -v19, v26, v25
	v_fmac_f32_e32 v26, v27, v24
	s_delay_alu instid0(VALU_DEP_1) | instskip(SKIP_1) | instid1(VALU_DEP_1)
	v_fma_f32 v19, -v19, v26, v25
	s_wait_alu 0xfffd
	v_div_fmas_f32 v19, v19, v24, v26
	s_delay_alu instid0(VALU_DEP_1) | instskip(NEXT) | instid1(VALU_DEP_1)
	v_div_fixup_f32 v18, v19, v18, 1.0
	v_mul_f32_e64 v19, v23, -v18
.LBB186_32:                             ;   in Loop: Header=BB186_26 Depth=2
	s_or_b32 exec_lo, exec_lo, s40
.LBB186_33:                             ;   in Loop: Header=BB186_26 Depth=2
	s_wait_loadcnt_dscnt 0x0
	s_delay_alu instid0(VALU_DEP_1) | instskip(SKIP_1) | instid1(VALU_DEP_2)
	v_mul_f32_e32 v24, v10, v19
	v_mul_f32_e32 v19, v11, v19
	v_fmac_f32_e32 v24, v11, v18
	s_delay_alu instid0(VALU_DEP_2) | instskip(NEXT) | instid1(VALU_DEP_1)
	v_fma_f32 v23, v10, v18, -v19
	v_dual_mov_b32 v11, v24 :: v_dual_mov_b32 v10, v23
	ds_store_b64 v21, v[23:24]
.LBB186_34:                             ;   in Loop: Header=BB186_26 Depth=2
	s_or_b32 exec_lo, exec_lo, s39
	s_delay_alu instid0(SALU_CYCLE_1)
	s_mov_b32 s39, exec_lo
	s_wait_loadcnt_dscnt 0x0
	s_barrier_signal -1
	s_barrier_wait -1
	global_inv scope:SCOPE_SE
	v_cmpx_lt_u64_e64 s[14:15], v[2:3]
	s_cbranch_execz .LBB186_25
; %bb.35:                               ;   in Loop: Header=BB186_26 Depth=2
	s_and_b32 vcc_lo, exec_lo, s34
	s_mov_b32 s40, -1
                                        ; implicit-def: $vgpr18
	s_wait_alu 0xfffe
	s_cbranch_vccz .LBB186_37
; %bb.36:                               ;   in Loop: Header=BB186_26 Depth=2
	flat_load_b64 v[18:19], v[16:17] offset:-4
	s_mov_b32 s40, 0
.LBB186_37:                             ;   in Loop: Header=BB186_26 Depth=2
	s_delay_alu instid0(SALU_CYCLE_1)
	s_and_not1_b32 vcc_lo, exec_lo, s40
	s_wait_alu 0xfffe
	s_cbranch_vccnz .LBB186_24
; %bb.38:                               ;   in Loop: Header=BB186_26 Depth=2
	s_wait_loadcnt_dscnt 0x0
	flat_load_b64 v[18:19], v[16:17] offset:-4
	s_wait_loadcnt_dscnt 0x0
	v_xor_b32_e32 v19, 0x80000000, v19
	s_branch .LBB186_24
.LBB186_39:                             ;   in Loop: Header=BB186_6 Depth=1
	s_and_saveexec_b32 s10, s0
	s_cbranch_execz .LBB186_4
; %bb.40:                               ;   in Loop: Header=BB186_6 Depth=1
	s_add_nc_u64 s[14:15], s[26:27], s[30:31]
	s_wait_alu 0xfffe
	v_mad_co_u64_u32 v[14:15], null, s14, v2, 0
	s_delay_alu instid0(VALU_DEP_1) | instskip(NEXT) | instid1(VALU_DEP_1)
	v_mad_co_u64_u32 v[15:16], null, s15, v2, v[15:16]
	v_lshlrev_b64_e32 v[14:15], 3, v[14:15]
	s_delay_alu instid0(VALU_DEP_1) | instskip(SKIP_1) | instid1(VALU_DEP_2)
	v_add_co_u32 v12, vcc_lo, v12, v14
	s_wait_alu 0xfffd
	v_add_co_ci_u32_e64 v13, null, v13, v15, vcc_lo
	s_and_not1_b32 vcc_lo, exec_lo, s33
	flat_load_b64 v[12:13], v[12:13]
	s_wait_alu 0xfffe
	s_cbranch_vccnz .LBB186_3
; %bb.41:                               ;   in Loop: Header=BB186_6 Depth=1
	s_wait_loadcnt_dscnt 0x0
	v_cmp_ngt_f32_e64 s11, |v12|, |v13|
	s_and_saveexec_b32 s14, s11
	s_wait_alu 0xfffe
	s_xor_b32 s11, exec_lo, s14
	s_cbranch_execz .LBB186_43
; %bb.42:                               ;   in Loop: Header=BB186_6 Depth=1
	v_div_scale_f32 v14, null, v13, v13, v12
	v_div_scale_f32 v17, vcc_lo, v12, v13, v12
	s_delay_alu instid0(VALU_DEP_2) | instskip(NEXT) | instid1(TRANS32_DEP_1)
	v_rcp_f32_e32 v15, v14
	v_fma_f32 v16, -v14, v15, 1.0
	s_delay_alu instid0(VALU_DEP_1) | instskip(NEXT) | instid1(VALU_DEP_1)
	v_fmac_f32_e32 v15, v16, v15
	v_mul_f32_e32 v16, v17, v15
	s_delay_alu instid0(VALU_DEP_1) | instskip(NEXT) | instid1(VALU_DEP_1)
	v_fma_f32 v18, -v14, v16, v17
	v_fmac_f32_e32 v16, v18, v15
	s_delay_alu instid0(VALU_DEP_1) | instskip(SKIP_1) | instid1(VALU_DEP_1)
	v_fma_f32 v14, -v14, v16, v17
	s_wait_alu 0xfffd
	v_div_fmas_f32 v14, v14, v15, v16
	s_delay_alu instid0(VALU_DEP_1) | instskip(NEXT) | instid1(VALU_DEP_1)
	v_div_fixup_f32 v14, v14, v13, v12
	v_fmac_f32_e32 v13, v12, v14
	s_delay_alu instid0(VALU_DEP_1) | instskip(SKIP_1) | instid1(VALU_DEP_2)
	v_div_scale_f32 v12, null, v13, v13, 1.0
	v_div_scale_f32 v17, vcc_lo, 1.0, v13, 1.0
	v_rcp_f32_e32 v15, v12
	s_delay_alu instid0(TRANS32_DEP_1) | instskip(NEXT) | instid1(VALU_DEP_1)
	v_fma_f32 v16, -v12, v15, 1.0
	v_fmac_f32_e32 v15, v16, v15
	s_delay_alu instid0(VALU_DEP_1) | instskip(NEXT) | instid1(VALU_DEP_1)
	v_mul_f32_e32 v16, v17, v15
	v_fma_f32 v18, -v12, v16, v17
	s_delay_alu instid0(VALU_DEP_1) | instskip(NEXT) | instid1(VALU_DEP_1)
	v_fmac_f32_e32 v16, v18, v15
	v_fma_f32 v12, -v12, v16, v17
	s_wait_alu 0xfffd
	s_delay_alu instid0(VALU_DEP_1) | instskip(NEXT) | instid1(VALU_DEP_1)
	v_div_fmas_f32 v12, v12, v15, v16
	v_div_fixup_f32 v13, v12, v13, 1.0
	s_delay_alu instid0(VALU_DEP_1)
	v_mul_f32_e32 v12, v14, v13
	v_xor_b32_e32 v13, 0x80000000, v13
.LBB186_43:                             ;   in Loop: Header=BB186_6 Depth=1
	s_wait_alu 0xfffe
	s_and_not1_saveexec_b32 s11, s11
	s_cbranch_execz .LBB186_2
; %bb.44:                               ;   in Loop: Header=BB186_6 Depth=1
	s_delay_alu instid0(VALU_DEP_1) | instskip(SKIP_1) | instid1(VALU_DEP_2)
	v_div_scale_f32 v14, null, v12, v12, v13
	v_div_scale_f32 v17, vcc_lo, v13, v12, v13
	v_rcp_f32_e32 v15, v14
	s_delay_alu instid0(TRANS32_DEP_1) | instskip(NEXT) | instid1(VALU_DEP_1)
	v_fma_f32 v16, -v14, v15, 1.0
	v_fmac_f32_e32 v15, v16, v15
	s_delay_alu instid0(VALU_DEP_1) | instskip(NEXT) | instid1(VALU_DEP_1)
	v_mul_f32_e32 v16, v17, v15
	v_fma_f32 v18, -v14, v16, v17
	s_delay_alu instid0(VALU_DEP_1) | instskip(NEXT) | instid1(VALU_DEP_1)
	v_fmac_f32_e32 v16, v18, v15
	v_fma_f32 v14, -v14, v16, v17
	s_wait_alu 0xfffd
	s_delay_alu instid0(VALU_DEP_1) | instskip(NEXT) | instid1(VALU_DEP_1)
	v_div_fmas_f32 v14, v14, v15, v16
	v_div_fixup_f32 v14, v14, v12, v13
	s_delay_alu instid0(VALU_DEP_1) | instskip(NEXT) | instid1(VALU_DEP_1)
	v_fmac_f32_e32 v12, v13, v14
	v_div_scale_f32 v13, null, v12, v12, 1.0
	s_delay_alu instid0(VALU_DEP_1) | instskip(NEXT) | instid1(TRANS32_DEP_1)
	v_rcp_f32_e32 v15, v13
	v_fma_f32 v16, -v13, v15, 1.0
	s_delay_alu instid0(VALU_DEP_1) | instskip(SKIP_1) | instid1(VALU_DEP_1)
	v_fmac_f32_e32 v15, v16, v15
	v_div_scale_f32 v16, vcc_lo, 1.0, v12, 1.0
	v_mul_f32_e32 v17, v16, v15
	s_delay_alu instid0(VALU_DEP_1) | instskip(NEXT) | instid1(VALU_DEP_1)
	v_fma_f32 v18, -v13, v17, v16
	v_fmac_f32_e32 v17, v18, v15
	s_delay_alu instid0(VALU_DEP_1) | instskip(SKIP_1) | instid1(VALU_DEP_1)
	v_fma_f32 v13, -v13, v17, v16
	s_wait_alu 0xfffd
	v_div_fmas_f32 v13, v13, v15, v17
	s_delay_alu instid0(VALU_DEP_1) | instskip(NEXT) | instid1(VALU_DEP_1)
	v_div_fixup_f32 v12, v13, v12, 1.0
	v_mul_f32_e64 v13, v14, -v12
	s_branch .LBB186_2
.LBB186_45:
	s_endpgm
	.section	.rodata,"a",@progbits
	.p2align	6, 0x0
	.amdhsa_kernel _ZL39rocblas_trsm_block_forward_substitutionI19rocblas_complex_numIfES1_PKPKS1_PKPS1_Lb1ELb1ELb0EEv18rocblas_operation_llT0_T1_lllT2_lllib
		.amdhsa_group_segment_fixed_size 0
		.amdhsa_private_segment_fixed_size 0
		.amdhsa_kernarg_size 360
		.amdhsa_user_sgpr_count 2
		.amdhsa_user_sgpr_dispatch_ptr 0
		.amdhsa_user_sgpr_queue_ptr 0
		.amdhsa_user_sgpr_kernarg_segment_ptr 1
		.amdhsa_user_sgpr_dispatch_id 0
		.amdhsa_user_sgpr_private_segment_size 0
		.amdhsa_wavefront_size32 1
		.amdhsa_uses_dynamic_stack 0
		.amdhsa_enable_private_segment 0
		.amdhsa_system_sgpr_workgroup_id_x 1
		.amdhsa_system_sgpr_workgroup_id_y 1
		.amdhsa_system_sgpr_workgroup_id_z 1
		.amdhsa_system_sgpr_workgroup_info 0
		.amdhsa_system_vgpr_workitem_id 1
		.amdhsa_next_free_vgpr 28
		.amdhsa_next_free_sgpr 42
		.amdhsa_reserve_vcc 1
		.amdhsa_float_round_mode_32 0
		.amdhsa_float_round_mode_16_64 0
		.amdhsa_float_denorm_mode_32 3
		.amdhsa_float_denorm_mode_16_64 3
		.amdhsa_fp16_overflow 0
		.amdhsa_workgroup_processor_mode 1
		.amdhsa_memory_ordered 1
		.amdhsa_forward_progress 1
		.amdhsa_inst_pref_size 24
		.amdhsa_round_robin_scheduling 0
		.amdhsa_exception_fp_ieee_invalid_op 0
		.amdhsa_exception_fp_denorm_src 0
		.amdhsa_exception_fp_ieee_div_zero 0
		.amdhsa_exception_fp_ieee_overflow 0
		.amdhsa_exception_fp_ieee_underflow 0
		.amdhsa_exception_fp_ieee_inexact 0
		.amdhsa_exception_int_div_zero 0
	.end_amdhsa_kernel
	.section	.text._ZL39rocblas_trsm_block_forward_substitutionI19rocblas_complex_numIfES1_PKPKS1_PKPS1_Lb1ELb1ELb0EEv18rocblas_operation_llT0_T1_lllT2_lllib,"axG",@progbits,_ZL39rocblas_trsm_block_forward_substitutionI19rocblas_complex_numIfES1_PKPKS1_PKPS1_Lb1ELb1ELb0EEv18rocblas_operation_llT0_T1_lllT2_lllib,comdat
.Lfunc_end186:
	.size	_ZL39rocblas_trsm_block_forward_substitutionI19rocblas_complex_numIfES1_PKPKS1_PKPS1_Lb1ELb1ELb0EEv18rocblas_operation_llT0_T1_lllT2_lllib, .Lfunc_end186-_ZL39rocblas_trsm_block_forward_substitutionI19rocblas_complex_numIfES1_PKPKS1_PKPS1_Lb1ELb1ELb0EEv18rocblas_operation_llT0_T1_lllT2_lllib
                                        ; -- End function
	.set _ZL39rocblas_trsm_block_forward_substitutionI19rocblas_complex_numIfES1_PKPKS1_PKPS1_Lb1ELb1ELb0EEv18rocblas_operation_llT0_T1_lllT2_lllib.num_vgpr, 28
	.set _ZL39rocblas_trsm_block_forward_substitutionI19rocblas_complex_numIfES1_PKPKS1_PKPS1_Lb1ELb1ELb0EEv18rocblas_operation_llT0_T1_lllT2_lllib.num_agpr, 0
	.set _ZL39rocblas_trsm_block_forward_substitutionI19rocblas_complex_numIfES1_PKPKS1_PKPS1_Lb1ELb1ELb0EEv18rocblas_operation_llT0_T1_lllT2_lllib.numbered_sgpr, 42
	.set _ZL39rocblas_trsm_block_forward_substitutionI19rocblas_complex_numIfES1_PKPKS1_PKPS1_Lb1ELb1ELb0EEv18rocblas_operation_llT0_T1_lllT2_lllib.num_named_barrier, 0
	.set _ZL39rocblas_trsm_block_forward_substitutionI19rocblas_complex_numIfES1_PKPKS1_PKPS1_Lb1ELb1ELb0EEv18rocblas_operation_llT0_T1_lllT2_lllib.private_seg_size, 0
	.set _ZL39rocblas_trsm_block_forward_substitutionI19rocblas_complex_numIfES1_PKPKS1_PKPS1_Lb1ELb1ELb0EEv18rocblas_operation_llT0_T1_lllT2_lllib.uses_vcc, 1
	.set _ZL39rocblas_trsm_block_forward_substitutionI19rocblas_complex_numIfES1_PKPKS1_PKPS1_Lb1ELb1ELb0EEv18rocblas_operation_llT0_T1_lllT2_lllib.uses_flat_scratch, 0
	.set _ZL39rocblas_trsm_block_forward_substitutionI19rocblas_complex_numIfES1_PKPKS1_PKPS1_Lb1ELb1ELb0EEv18rocblas_operation_llT0_T1_lllT2_lllib.has_dyn_sized_stack, 0
	.set _ZL39rocblas_trsm_block_forward_substitutionI19rocblas_complex_numIfES1_PKPKS1_PKPS1_Lb1ELb1ELb0EEv18rocblas_operation_llT0_T1_lllT2_lllib.has_recursion, 0
	.set _ZL39rocblas_trsm_block_forward_substitutionI19rocblas_complex_numIfES1_PKPKS1_PKPS1_Lb1ELb1ELb0EEv18rocblas_operation_llT0_T1_lllT2_lllib.has_indirect_call, 0
	.section	.AMDGPU.csdata,"",@progbits
; Kernel info:
; codeLenInByte = 3008
; TotalNumSgprs: 44
; NumVgprs: 28
; ScratchSize: 0
; MemoryBound: 0
; FloatMode: 240
; IeeeMode: 1
; LDSByteSize: 0 bytes/workgroup (compile time only)
; SGPRBlocks: 0
; VGPRBlocks: 3
; NumSGPRsForWavesPerEU: 44
; NumVGPRsForWavesPerEU: 28
; Occupancy: 16
; WaveLimiterHint : 1
; COMPUTE_PGM_RSRC2:SCRATCH_EN: 0
; COMPUTE_PGM_RSRC2:USER_SGPR: 2
; COMPUTE_PGM_RSRC2:TRAP_HANDLER: 0
; COMPUTE_PGM_RSRC2:TGID_X_EN: 1
; COMPUTE_PGM_RSRC2:TGID_Y_EN: 1
; COMPUTE_PGM_RSRC2:TGID_Z_EN: 1
; COMPUTE_PGM_RSRC2:TIDIG_COMP_CNT: 1
	.section	.text._ZL40rocblas_trsm_block_backward_substitutionI19rocblas_complex_numIfES1_PKPKS1_PKPS1_Lb1ELb1ELb0EEv18rocblas_operation_llT0_T1_lllT2_lllib,"axG",@progbits,_ZL40rocblas_trsm_block_backward_substitutionI19rocblas_complex_numIfES1_PKPKS1_PKPS1_Lb1ELb1ELb0EEv18rocblas_operation_llT0_T1_lllT2_lllib,comdat
	.globl	_ZL40rocblas_trsm_block_backward_substitutionI19rocblas_complex_numIfES1_PKPKS1_PKPS1_Lb1ELb1ELb0EEv18rocblas_operation_llT0_T1_lllT2_lllib ; -- Begin function _ZL40rocblas_trsm_block_backward_substitutionI19rocblas_complex_numIfES1_PKPKS1_PKPS1_Lb1ELb1ELb0EEv18rocblas_operation_llT0_T1_lllT2_lllib
	.p2align	8
	.type	_ZL40rocblas_trsm_block_backward_substitutionI19rocblas_complex_numIfES1_PKPKS1_PKPS1_Lb1ELb1ELb0EEv18rocblas_operation_llT0_T1_lllT2_lllib,@function
_ZL40rocblas_trsm_block_backward_substitutionI19rocblas_complex_numIfES1_PKPKS1_PKPS1_Lb1ELb1ELb0EEv18rocblas_operation_llT0_T1_lllT2_lllib: ; @_ZL40rocblas_trsm_block_backward_substitutionI19rocblas_complex_numIfES1_PKPKS1_PKPS1_Lb1ELb1ELb0EEv18rocblas_operation_llT0_T1_lllT2_lllib
; %bb.0:
	s_load_b64 s[16:17], s[0:1], 0x60
	s_lshr_b32 s18, ttmp7, 16
	s_wait_kmcnt 0x0
	s_cmp_ge_u32 s18, s16
	s_cbranch_scc1 .LBB187_46
; %bb.1:
	s_clause 0x7
	s_load_b32 s19, s[0:1], 0x0
	s_load_u16 s33, s[0:1], 0x76
	s_load_b64 s[2:3], s[0:1], 0x50
	s_load_b128 s[4:7], s[0:1], 0x8
	s_load_b64 s[20:21], s[0:1], 0x30
	s_load_b64 s[22:23], s[0:1], 0x18
	s_load_b128 s[8:11], s[0:1], 0x20
	s_load_b128 s[12:15], s[0:1], 0x40
	s_bitcmp1_b32 s17, 0
	s_add_nc_u64 s[24:25], s[0:1], 0x68
	s_cselect_b32 s0, -1, 0
	v_bfe_u32 v1, v0, 10, 10
	s_xor_b32 s17, s0, -1
	v_dual_mov_b32 v3, 0 :: v_dual_and_b32 v2, 0x3ff, v0
	v_cndmask_b32_e64 v20, 0, 1, s0
	s_mov_b64 s[26:27], src_shared_base
	v_lshl_add_u32 v0, v1, 3, 0
	s_delay_alu instid0(VALU_DEP_3)
	v_lshlrev_b32_e32 v13, 3, v2
	v_lshlrev_b32_e32 v21, 3, v2
	s_wait_kmcnt 0x0
	s_cmp_lg_u32 s19, 0x71
	s_mov_b32 s19, 0
	s_cselect_b32 s36, -1, 0
	s_and_b32 s0, ttmp7, 0xffff
	v_mad_co_u64_u32 v[6:7], null, s20, v2, 0
	s_wait_alu 0xfffe
	v_mad_co_u64_u32 v[4:5], null, s0, s33, v[1:2]
	v_mov_b32_e32 v5, v3
	v_cmp_le_i64_e64 s37, s[4:5], v[2:3]
	v_cmp_gt_i64_e64 s1, s[4:5], v[2:3]
	v_cmp_gt_i64_e64 s38, s[4:5], 0
	;; [unrolled: 1-line block ×3, first 2 shown]
	v_cmp_eq_u32_e64 s0, 0, v2
	v_mad_co_u64_u32 v[8:9], null, s2, v4, 0
	s_lshl_b32 s2, s33, 3
	v_cmp_gt_i64_e32 vcc_lo, s[6:7], v[4:5]
	s_wait_alu 0xfffe
	s_add_co_i32 s26, s2, 0
	v_or_b32_e32 v22, 4, v13
	v_add_nc_u32_e32 v23, s26, v13
	s_add_nc_u64 s[28:29], s[4:5], -1
	v_mad_co_u64_u32 v[10:11], null, s21, v2, v[7:8]
	s_lshl_b64 s[6:7], s[28:29], 3
	s_and_b32 s39, vcc_lo, s1
	s_lshl_b64 s[10:11], s[10:11], 3
	s_xor_b32 s41, s37, -1
	s_lshl_b64 s[14:15], s[14:15], 3
	v_mad_co_u64_u32 v[11:12], null, s3, v4, v[9:10]
	v_mov_b32_e32 v7, v10
	s_delay_alu instid0(VALU_DEP_1) | instskip(NEXT) | instid1(VALU_DEP_3)
	v_lshlrev_b64_e32 v[4:5], 3, v[6:7]
	v_mov_b32_e32 v9, v11
	s_delay_alu instid0(VALU_DEP_1)
	v_lshlrev_b64_e32 v[6:7], 3, v[8:9]
	s_branch .LBB187_6
.LBB187_2:                              ;   in Loop: Header=BB187_6 Depth=1
	s_wait_alu 0xfffe
	s_or_b32 exec_lo, exec_lo, s2
.LBB187_3:                              ;   in Loop: Header=BB187_6 Depth=1
	s_wait_loadcnt_dscnt 0x0
	v_mul_f32_e32 v14, v11, v13
	v_mul_f32_e32 v11, v11, v12
	s_delay_alu instid0(VALU_DEP_2) | instskip(NEXT) | instid1(VALU_DEP_1)
	v_fma_f32 v12, v10, v12, -v14
	v_dual_fmac_f32 v11, v10, v13 :: v_dual_mov_b32 v10, v12
.LBB187_4:                              ;   in Loop: Header=BB187_6 Depth=1
	s_wait_alu 0xfffe
	s_or_b32 exec_lo, exec_lo, s30
	flat_store_b64 v[8:9], v[10:11]
.LBB187_5:                              ;   in Loop: Header=BB187_6 Depth=1
	s_or_b32 exec_lo, exec_lo, s42
	s_add_co_i32 s18, s18, 0x10000
	s_delay_alu instid0(SALU_CYCLE_1)
	s_cmp_lt_u32 s18, s16
	s_cbranch_scc0 .LBB187_46
.LBB187_6:                              ; =>This Loop Header: Depth=1
                                        ;     Child Loop BB187_12 Depth 2
                                        ;     Child Loop BB187_27 Depth 2
	s_lshl_b64 s[2:3], s[18:19], 3
	v_cmp_ne_u32_e32 vcc_lo, 1, v20
	s_wait_alu 0xfffe
	s_add_nc_u64 s[30:31], s[8:9], s[2:3]
	s_add_nc_u64 s[2:3], s[12:13], s[2:3]
	global_load_b64 v[10:11], v3, s[30:31]
	s_wait_loadcnt 0x1
	global_load_b64 v[8:9], v3, s[2:3]
	s_and_b32 vcc_lo, exec_lo, vcc_lo
	s_wait_loadcnt 0x1
	v_add_co_u32 v12, s2, v10, s10
	s_wait_alu 0xf1fe
	v_add_co_ci_u32_e64 v13, null, s11, v11, s2
	s_mov_b64 s[2:3], s[20:21]
	s_cbranch_vccz .LBB187_8
; %bb.7:                                ;   in Loop: Header=BB187_6 Depth=1
	s_and_saveexec_b32 s42, s39
	s_cbranch_execz .LBB187_5
	s_branch .LBB187_23
.LBB187_8:                              ;   in Loop: Header=BB187_6 Depth=1
	s_and_not1_b32 vcc_lo, exec_lo, s38
	s_wait_alu 0xfffe
	s_cbranch_vccnz .LBB187_22
; %bb.9:                                ;   in Loop: Header=BB187_6 Depth=1
	v_add_co_u32 v17, vcc_lo, v12, v21
	s_wait_alu 0xfffd
	v_add_co_ci_u32_e64 v18, null, 0, v13, vcc_lo
	v_mov_b32_e32 v12, v1
	s_delay_alu instid0(VALU_DEP_3) | instskip(SKIP_1) | instid1(VALU_DEP_3)
	v_add_co_u32 v10, vcc_lo, v17, v4
	s_wait_alu 0xfffd
	v_add_co_ci_u32_e64 v11, null, v18, v5, vcc_lo
	s_mov_b32 s30, s33
	s_branch .LBB187_12
.LBB187_10:                             ;   in Loop: Header=BB187_12 Depth=2
	s_wait_alu 0xfffe
	s_or_b32 exec_lo, exec_lo, s3
	s_load_b32 s3, s[24:25], 0xc
	s_wait_kmcnt 0x0
	s_and_b32 s3, s3, 0xffff
	s_wait_alu 0xfffe
	v_mul_u32_u24_e32 v13, s3, v2
	s_delay_alu instid0(VALU_DEP_1)
	v_lshl_add_u32 v13, v13, 3, v23
	ds_store_b64 v13, v[15:16]
.LBB187_11:                             ;   in Loop: Header=BB187_12 Depth=2
	s_wait_alu 0xfffe
	s_or_b32 exec_lo, exec_lo, s2
	s_ashr_i32 s31, s30, 31
	v_add_nc_u32_e32 v12, s33, v12
	s_wait_alu 0xfffe
	v_cmp_le_i64_e64 s2, s[4:5], s[30:31]
	s_add_co_i32 s30, s30, s33
	s_and_b32 vcc_lo, exec_lo, s2
	s_wait_alu 0xfffe
	s_cbranch_vccnz .LBB187_22
.LBB187_12:                             ;   Parent Loop BB187_6 Depth=1
                                        ; =>  This Inner Loop Header: Depth=2
	s_mov_b32 s31, s37
	s_and_saveexec_b32 s3, s1
	s_cbranch_execz .LBB187_16
; %bb.13:                               ;   in Loop: Header=BB187_12 Depth=2
	v_ashrrev_i32_e32 v13, 31, v12
	v_cmp_lt_i32_e64 s2, v2, v12
	s_mov_b32 s31, -1
	v_cmp_gt_i64_e32 vcc_lo, s[4:5], v[12:13]
	s_wait_alu 0xfffe
	s_and_b32 s34, s2, vcc_lo
	s_wait_alu 0xfffe
	s_and_saveexec_b32 s2, s34
	s_cbranch_execz .LBB187_15
; %bb.14:                               ;   in Loop: Header=BB187_12 Depth=2
	v_mul_lo_u32 v15, s21, v12
	v_mul_lo_u32 v16, s20, v13
	v_mad_co_u64_u32 v[13:14], null, s20, v12, 0
	s_load_b32 s31, s[24:25], 0xc
	v_add3_u32 v14, v14, v16, v15
	s_delay_alu instid0(VALU_DEP_1) | instskip(NEXT) | instid1(VALU_DEP_1)
	v_lshlrev_b64_e32 v[13:14], 3, v[13:14]
	v_add_co_u32 v13, vcc_lo, v17, v13
	s_wait_alu 0xfffd
	s_delay_alu instid0(VALU_DEP_2)
	v_add_co_ci_u32_e64 v14, null, v18, v14, vcc_lo
	s_wait_kmcnt 0x0
	s_and_b32 s31, s31, 0xffff
	s_wait_alu 0xfffe
	v_mul_lo_u32 v15, v12, s31
	flat_load_b64 v[13:14], v[13:14]
	s_xor_b32 s31, exec_lo, -1
	v_lshl_add_u32 v15, v15, 3, v23
	s_wait_loadcnt_dscnt 0x0
	ds_store_b64 v15, v[13:14]
.LBB187_15:                             ;   in Loop: Header=BB187_12 Depth=2
	s_wait_alu 0xfffe
	s_or_b32 exec_lo, exec_lo, s2
	s_delay_alu instid0(SALU_CYCLE_1)
	s_and_not1_b32 s2, s37, exec_lo
	s_and_b32 s31, s31, exec_lo
	s_wait_alu 0xfffe
	s_or_b32 s31, s2, s31
.LBB187_16:                             ;   in Loop: Header=BB187_12 Depth=2
	s_wait_alu 0xfffe
	s_or_b32 exec_lo, exec_lo, s3
	s_and_saveexec_b32 s2, s31
	s_cbranch_execz .LBB187_11
; %bb.17:                               ;   in Loop: Header=BB187_12 Depth=2
	v_cmp_eq_u32_e32 vcc_lo, v2, v12
	s_and_b32 s3, s41, vcc_lo
	s_wait_alu 0xfffe
	s_and_b32 exec_lo, exec_lo, s3
	s_cbranch_execz .LBB187_11
; %bb.18:                               ;   in Loop: Header=BB187_12 Depth=2
	flat_load_b64 v[13:14], v[10:11]
                                        ; implicit-def: $vgpr15
	s_wait_loadcnt_dscnt 0x0
	v_cmp_ngt_f32_e64 s3, |v13|, |v14|
	s_and_saveexec_b32 s31, s3
	s_wait_alu 0xfffe
	s_xor_b32 s3, exec_lo, s31
	s_cbranch_execz .LBB187_20
; %bb.19:                               ;   in Loop: Header=BB187_12 Depth=2
	v_div_scale_f32 v15, null, v14, v14, v13
	v_div_scale_f32 v24, vcc_lo, v13, v14, v13
	s_delay_alu instid0(VALU_DEP_2) | instskip(NEXT) | instid1(TRANS32_DEP_1)
	v_rcp_f32_e32 v16, v15
	v_fma_f32 v19, -v15, v16, 1.0
	s_delay_alu instid0(VALU_DEP_1) | instskip(NEXT) | instid1(VALU_DEP_1)
	v_fmac_f32_e32 v16, v19, v16
	v_mul_f32_e32 v19, v24, v16
	s_delay_alu instid0(VALU_DEP_1) | instskip(NEXT) | instid1(VALU_DEP_1)
	v_fma_f32 v25, -v15, v19, v24
	v_fmac_f32_e32 v19, v25, v16
	s_delay_alu instid0(VALU_DEP_1) | instskip(SKIP_1) | instid1(VALU_DEP_1)
	v_fma_f32 v15, -v15, v19, v24
	s_wait_alu 0xfffd
	v_div_fmas_f32 v15, v15, v16, v19
	s_delay_alu instid0(VALU_DEP_1) | instskip(NEXT) | instid1(VALU_DEP_1)
	v_div_fixup_f32 v15, v15, v14, v13
	v_fmac_f32_e32 v14, v13, v15
	s_delay_alu instid0(VALU_DEP_1) | instskip(SKIP_1) | instid1(VALU_DEP_2)
	v_div_scale_f32 v13, null, v14, v14, 1.0
	v_div_scale_f32 v24, vcc_lo, 1.0, v14, 1.0
	v_rcp_f32_e32 v16, v13
	s_delay_alu instid0(TRANS32_DEP_1) | instskip(NEXT) | instid1(VALU_DEP_1)
	v_fma_f32 v19, -v13, v16, 1.0
	v_fmac_f32_e32 v16, v19, v16
	s_delay_alu instid0(VALU_DEP_1) | instskip(NEXT) | instid1(VALU_DEP_1)
	v_mul_f32_e32 v19, v24, v16
	v_fma_f32 v25, -v13, v19, v24
	s_delay_alu instid0(VALU_DEP_1) | instskip(NEXT) | instid1(VALU_DEP_1)
	v_fmac_f32_e32 v19, v25, v16
	v_fma_f32 v13, -v13, v19, v24
	s_wait_alu 0xfffd
	s_delay_alu instid0(VALU_DEP_1) | instskip(NEXT) | instid1(VALU_DEP_1)
	v_div_fmas_f32 v13, v13, v16, v19
	v_div_fixup_f32 v13, v13, v14, 1.0
	s_delay_alu instid0(VALU_DEP_1)
	v_mul_f32_e32 v15, v15, v13
	v_xor_b32_e32 v16, 0x80000000, v13
                                        ; implicit-def: $vgpr13_vgpr14
.LBB187_20:                             ;   in Loop: Header=BB187_12 Depth=2
	s_wait_alu 0xfffe
	s_and_not1_saveexec_b32 s3, s3
	s_cbranch_execz .LBB187_10
; %bb.21:                               ;   in Loop: Header=BB187_12 Depth=2
	v_div_scale_f32 v15, null, v13, v13, v14
	v_div_scale_f32 v24, vcc_lo, v14, v13, v14
	s_delay_alu instid0(VALU_DEP_2) | instskip(NEXT) | instid1(TRANS32_DEP_1)
	v_rcp_f32_e32 v16, v15
	v_fma_f32 v19, -v15, v16, 1.0
	s_delay_alu instid0(VALU_DEP_1) | instskip(NEXT) | instid1(VALU_DEP_1)
	v_fmac_f32_e32 v16, v19, v16
	v_mul_f32_e32 v19, v24, v16
	s_delay_alu instid0(VALU_DEP_1) | instskip(NEXT) | instid1(VALU_DEP_1)
	v_fma_f32 v25, -v15, v19, v24
	v_fmac_f32_e32 v19, v25, v16
	s_delay_alu instid0(VALU_DEP_1) | instskip(SKIP_1) | instid1(VALU_DEP_1)
	v_fma_f32 v15, -v15, v19, v24
	s_wait_alu 0xfffd
	v_div_fmas_f32 v15, v15, v16, v19
	s_delay_alu instid0(VALU_DEP_1) | instskip(NEXT) | instid1(VALU_DEP_1)
	v_div_fixup_f32 v16, v15, v13, v14
	v_fmac_f32_e32 v13, v14, v16
	s_delay_alu instid0(VALU_DEP_1) | instskip(NEXT) | instid1(VALU_DEP_1)
	v_div_scale_f32 v14, null, v13, v13, 1.0
	v_rcp_f32_e32 v15, v14
	s_delay_alu instid0(TRANS32_DEP_1) | instskip(NEXT) | instid1(VALU_DEP_1)
	v_fma_f32 v19, -v14, v15, 1.0
	v_fmac_f32_e32 v15, v19, v15
	v_div_scale_f32 v19, vcc_lo, 1.0, v13, 1.0
	s_delay_alu instid0(VALU_DEP_1) | instskip(NEXT) | instid1(VALU_DEP_1)
	v_mul_f32_e32 v24, v19, v15
	v_fma_f32 v25, -v14, v24, v19
	s_delay_alu instid0(VALU_DEP_1) | instskip(NEXT) | instid1(VALU_DEP_1)
	v_fmac_f32_e32 v24, v25, v15
	v_fma_f32 v14, -v14, v24, v19
	s_wait_alu 0xfffd
	s_delay_alu instid0(VALU_DEP_1) | instskip(NEXT) | instid1(VALU_DEP_1)
	v_div_fmas_f32 v14, v14, v15, v24
	v_div_fixup_f32 v15, v14, v13, 1.0
	s_delay_alu instid0(VALU_DEP_1)
	v_mul_f32_e64 v16, v16, -v15
	s_branch .LBB187_10
.LBB187_22:                             ;   in Loop: Header=BB187_6 Depth=1
	s_load_b32 s2, s[24:25], 0xc
	v_dual_mov_b32 v12, s26 :: v_dual_mov_b32 v13, s27
	s_mov_b32 s3, s19
	s_wait_kmcnt 0x0
	s_and_b32 s2, s2, 0xffff
	s_and_saveexec_b32 s42, s39
	s_cbranch_execz .LBB187_5
.LBB187_23:                             ;   in Loop: Header=BB187_6 Depth=1
	s_wait_loadcnt 0x0
	v_add_co_u32 v8, vcc_lo, v8, s14
	s_wait_alu 0xfffd
	v_add_co_ci_u32_e64 v9, null, s15, v9, vcc_lo
	s_delay_alu instid0(VALU_DEP_2) | instskip(SKIP_1) | instid1(VALU_DEP_2)
	v_add_co_u32 v8, vcc_lo, v8, v6
	s_wait_alu 0xfffd
	v_add_co_ci_u32_e64 v9, null, v9, v7, vcc_lo
	s_delay_alu instid0(VALU_DEP_2) | instskip(SKIP_1) | instid1(VALU_DEP_2)
	v_add_co_u32 v8, vcc_lo, v8, v21
	s_wait_alu 0xfffd
	v_add_co_ci_u32_e64 v9, null, 0, v9, vcc_lo
	s_and_not1_b32 vcc_lo, exec_lo, s40
	flat_load_b64 v[14:15], v[8:9]
	s_wait_loadcnt_dscnt 0x0
	v_mul_f32_e32 v11, s22, v15
	s_delay_alu instid0(VALU_DEP_1) | instskip(NEXT) | instid1(VALU_DEP_1)
	v_dual_mul_f32 v10, s23, v15 :: v_dual_fmac_f32 v11, s23, v14
	v_fma_f32 v10, s22, v14, -v10
	s_wait_alu 0xfffe
	s_cbranch_vccnz .LBB187_40
; %bb.24:                               ;   in Loop: Header=BB187_6 Depth=1
	v_mad_co_u64_u32 v[16:17], null, v2, s2, v[2:3]
	v_add_co_u32 v18, vcc_lo, v12, v22
	s_wait_alu 0xfffd
	v_add_co_ci_u32_e64 v19, null, 0, v13, vcc_lo
	s_mul_i32 s30, s7, s2
	s_mul_i32 s31, s6, s3
	v_mov_b32_e32 v14, v17
	s_mov_b64 s[34:35], s[28:29]
	s_delay_alu instid0(VALU_DEP_1) | instskip(NEXT) | instid1(VALU_DEP_1)
	v_mad_co_u64_u32 v[14:15], null, v2, s3, v[14:15]
	v_mov_b32_e32 v17, v14
	v_mad_co_u64_u32 v[14:15], null, s6, s2, v[18:19]
	s_delay_alu instid0(VALU_DEP_2) | instskip(SKIP_1) | instid1(VALU_DEP_2)
	v_lshlrev_b64_e32 v[16:17], 3, v[16:17]
	s_wait_alu 0xfffe
	v_add3_u32 v15, s31, s30, v15
	s_lshl_b64 s[30:31], s[2:3], 3
	s_delay_alu instid0(VALU_DEP_2)
	v_add_co_u32 v16, vcc_lo, v12, v16
	s_wait_alu 0xfffd
	v_add_co_ci_u32_e64 v17, null, v13, v17, vcc_lo
	s_wait_alu 0xfffe
	s_sub_nc_u64 s[30:31], 0, s[30:31]
	s_branch .LBB187_27
.LBB187_25:                             ;   in Loop: Header=BB187_27 Depth=2
	ds_load_b64 v[24:25], v0
	s_wait_loadcnt_dscnt 0x0
	v_dual_mul_f32 v26, v19, v25 :: v_dual_mul_f32 v25, v25, v18
	s_delay_alu instid0(VALU_DEP_1) | instskip(NEXT) | instid1(VALU_DEP_1)
	v_fma_f32 v18, v24, v18, -v26
	v_dual_fmac_f32 v25, v19, v24 :: v_dual_sub_f32 v10, v10, v18
	s_delay_alu instid0(VALU_DEP_1)
	v_sub_f32_e32 v11, v11, v25
.LBB187_26:                             ;   in Loop: Header=BB187_27 Depth=2
	s_or_b32 exec_lo, exec_lo, s43
	s_add_nc_u64 s[44:45], s[34:35], 1
	s_wait_alu 0xfffe
	v_add_co_u32 v14, vcc_lo, v14, s30
	v_cmp_lt_u64_e64 s43, s[44:45], 3
	s_wait_alu 0xfffd
	v_add_co_ci_u32_e64 v15, null, s31, v15, vcc_lo
	s_add_nc_u64 s[34:35], s[34:35], -1
	s_and_b32 vcc_lo, exec_lo, s43
	s_wait_alu 0xfffe
	s_cbranch_vccnz .LBB187_40
.LBB187_27:                             ;   Parent Loop BB187_6 Depth=1
                                        ; =>  This Inner Loop Header: Depth=2
	s_mov_b32 s43, exec_lo
	s_barrier_signal -1
	s_barrier_wait -1
	global_inv scope:SCOPE_SE
	v_cmpx_eq_u64_e64 s[34:35], v[2:3]
	s_cbranch_execz .LBB187_35
; %bb.28:                               ;   in Loop: Header=BB187_27 Depth=2
	flat_load_b64 v[18:19], v[16:17]
	s_and_not1_b32 vcc_lo, exec_lo, s17
	s_wait_alu 0xfffe
	s_cbranch_vccnz .LBB187_34
; %bb.29:                               ;   in Loop: Header=BB187_27 Depth=2
	s_wait_loadcnt_dscnt 0x0
	v_cmp_ngt_f32_e64 s44, |v18|, |v19|
	s_and_saveexec_b32 s45, s44
	s_wait_alu 0xfffe
	s_xor_b32 s44, exec_lo, s45
	s_cbranch_execz .LBB187_31
; %bb.30:                               ;   in Loop: Header=BB187_27 Depth=2
	v_div_scale_f32 v24, null, v19, v19, v18
	v_div_scale_f32 v27, vcc_lo, v18, v19, v18
	s_delay_alu instid0(VALU_DEP_2) | instskip(NEXT) | instid1(TRANS32_DEP_1)
	v_rcp_f32_e32 v25, v24
	v_fma_f32 v26, -v24, v25, 1.0
	s_delay_alu instid0(VALU_DEP_1) | instskip(NEXT) | instid1(VALU_DEP_1)
	v_fmac_f32_e32 v25, v26, v25
	v_mul_f32_e32 v26, v27, v25
	s_delay_alu instid0(VALU_DEP_1) | instskip(NEXT) | instid1(VALU_DEP_1)
	v_fma_f32 v28, -v24, v26, v27
	v_fmac_f32_e32 v26, v28, v25
	s_delay_alu instid0(VALU_DEP_1) | instskip(SKIP_1) | instid1(VALU_DEP_1)
	v_fma_f32 v24, -v24, v26, v27
	s_wait_alu 0xfffd
	v_div_fmas_f32 v24, v24, v25, v26
	s_delay_alu instid0(VALU_DEP_1) | instskip(NEXT) | instid1(VALU_DEP_1)
	v_div_fixup_f32 v24, v24, v19, v18
	v_fmac_f32_e32 v19, v18, v24
	s_delay_alu instid0(VALU_DEP_1) | instskip(SKIP_1) | instid1(VALU_DEP_2)
	v_div_scale_f32 v18, null, v19, v19, 1.0
	v_div_scale_f32 v27, vcc_lo, 1.0, v19, 1.0
	v_rcp_f32_e32 v25, v18
	s_delay_alu instid0(TRANS32_DEP_1) | instskip(NEXT) | instid1(VALU_DEP_1)
	v_fma_f32 v26, -v18, v25, 1.0
	v_fmac_f32_e32 v25, v26, v25
	s_delay_alu instid0(VALU_DEP_1) | instskip(NEXT) | instid1(VALU_DEP_1)
	v_mul_f32_e32 v26, v27, v25
	v_fma_f32 v28, -v18, v26, v27
	s_delay_alu instid0(VALU_DEP_1) | instskip(NEXT) | instid1(VALU_DEP_1)
	v_fmac_f32_e32 v26, v28, v25
	v_fma_f32 v18, -v18, v26, v27
	s_wait_alu 0xfffd
	s_delay_alu instid0(VALU_DEP_1) | instskip(NEXT) | instid1(VALU_DEP_1)
	v_div_fmas_f32 v18, v18, v25, v26
	v_div_fixup_f32 v19, v18, v19, 1.0
	s_delay_alu instid0(VALU_DEP_1)
	v_mul_f32_e32 v18, v24, v19
	v_xor_b32_e32 v19, 0x80000000, v19
.LBB187_31:                             ;   in Loop: Header=BB187_27 Depth=2
	s_wait_alu 0xfffe
	s_and_not1_saveexec_b32 s44, s44
	s_cbranch_execz .LBB187_33
; %bb.32:                               ;   in Loop: Header=BB187_27 Depth=2
	s_delay_alu instid0(VALU_DEP_1) | instskip(SKIP_1) | instid1(VALU_DEP_2)
	v_div_scale_f32 v24, null, v18, v18, v19
	v_div_scale_f32 v27, vcc_lo, v19, v18, v19
	v_rcp_f32_e32 v25, v24
	s_delay_alu instid0(TRANS32_DEP_1) | instskip(NEXT) | instid1(VALU_DEP_1)
	v_fma_f32 v26, -v24, v25, 1.0
	v_fmac_f32_e32 v25, v26, v25
	s_delay_alu instid0(VALU_DEP_1) | instskip(NEXT) | instid1(VALU_DEP_1)
	v_mul_f32_e32 v26, v27, v25
	v_fma_f32 v28, -v24, v26, v27
	s_delay_alu instid0(VALU_DEP_1) | instskip(NEXT) | instid1(VALU_DEP_1)
	v_fmac_f32_e32 v26, v28, v25
	v_fma_f32 v24, -v24, v26, v27
	s_wait_alu 0xfffd
	s_delay_alu instid0(VALU_DEP_1) | instskip(NEXT) | instid1(VALU_DEP_1)
	v_div_fmas_f32 v24, v24, v25, v26
	v_div_fixup_f32 v24, v24, v18, v19
	s_delay_alu instid0(VALU_DEP_1) | instskip(NEXT) | instid1(VALU_DEP_1)
	v_fmac_f32_e32 v18, v19, v24
	v_div_scale_f32 v19, null, v18, v18, 1.0
	s_delay_alu instid0(VALU_DEP_1) | instskip(NEXT) | instid1(TRANS32_DEP_1)
	v_rcp_f32_e32 v25, v19
	v_fma_f32 v26, -v19, v25, 1.0
	s_delay_alu instid0(VALU_DEP_1) | instskip(SKIP_1) | instid1(VALU_DEP_1)
	v_fmac_f32_e32 v25, v26, v25
	v_div_scale_f32 v26, vcc_lo, 1.0, v18, 1.0
	v_mul_f32_e32 v27, v26, v25
	s_delay_alu instid0(VALU_DEP_1) | instskip(NEXT) | instid1(VALU_DEP_1)
	v_fma_f32 v28, -v19, v27, v26
	v_fmac_f32_e32 v27, v28, v25
	s_delay_alu instid0(VALU_DEP_1) | instskip(SKIP_1) | instid1(VALU_DEP_1)
	v_fma_f32 v19, -v19, v27, v26
	s_wait_alu 0xfffd
	v_div_fmas_f32 v19, v19, v25, v27
	s_delay_alu instid0(VALU_DEP_1) | instskip(NEXT) | instid1(VALU_DEP_1)
	v_div_fixup_f32 v18, v19, v18, 1.0
	v_mul_f32_e64 v19, v24, -v18
.LBB187_33:                             ;   in Loop: Header=BB187_27 Depth=2
	s_wait_alu 0xfffe
	s_or_b32 exec_lo, exec_lo, s44
.LBB187_34:                             ;   in Loop: Header=BB187_27 Depth=2
	s_wait_loadcnt_dscnt 0x0
	s_delay_alu instid0(VALU_DEP_1) | instskip(SKIP_1) | instid1(VALU_DEP_1)
	v_mul_f32_e32 v25, v10, v19
	v_mul_f32_e32 v19, v11, v19
	v_fma_f32 v24, v10, v18, -v19
	s_delay_alu instid0(VALU_DEP_1) | instskip(NEXT) | instid1(VALU_DEP_1)
	v_dual_mov_b32 v10, v24 :: v_dual_fmac_f32 v25, v11, v18
	v_mov_b32_e32 v11, v25
	ds_store_b64 v0, v[24:25]
.LBB187_35:                             ;   in Loop: Header=BB187_27 Depth=2
	s_or_b32 exec_lo, exec_lo, s43
	s_delay_alu instid0(SALU_CYCLE_1)
	s_mov_b32 s43, exec_lo
	s_wait_loadcnt_dscnt 0x0
	s_barrier_signal -1
	s_barrier_wait -1
	global_inv scope:SCOPE_SE
	v_cmpx_gt_i64_e64 s[34:35], v[2:3]
	s_cbranch_execz .LBB187_26
; %bb.36:                               ;   in Loop: Header=BB187_27 Depth=2
	s_and_b32 vcc_lo, exec_lo, s36
	s_mov_b32 s44, -1
                                        ; implicit-def: $vgpr18
	s_wait_alu 0xfffe
	s_cbranch_vccz .LBB187_38
; %bb.37:                               ;   in Loop: Header=BB187_27 Depth=2
	flat_load_b64 v[18:19], v[14:15] offset:-4
	s_mov_b32 s44, 0
.LBB187_38:                             ;   in Loop: Header=BB187_27 Depth=2
	s_wait_alu 0xfffe
	s_and_not1_b32 vcc_lo, exec_lo, s44
	s_wait_alu 0xfffe
	s_cbranch_vccnz .LBB187_25
; %bb.39:                               ;   in Loop: Header=BB187_27 Depth=2
	s_wait_loadcnt_dscnt 0x0
	flat_load_b64 v[18:19], v[14:15] offset:-4
	s_wait_loadcnt_dscnt 0x0
	v_xor_b32_e32 v19, 0x80000000, v19
	s_branch .LBB187_25
.LBB187_40:                             ;   in Loop: Header=BB187_6 Depth=1
	s_and_saveexec_b32 s30, s0
	s_cbranch_execz .LBB187_4
; %bb.41:                               ;   in Loop: Header=BB187_6 Depth=1
	v_mad_co_u64_u32 v[14:15], null, v2, s2, v[2:3]
	s_delay_alu instid0(VALU_DEP_1) | instskip(NEXT) | instid1(VALU_DEP_1)
	v_mad_co_u64_u32 v[15:16], null, v2, s3, v[15:16]
	v_lshlrev_b64_e32 v[14:15], 3, v[14:15]
	s_delay_alu instid0(VALU_DEP_1) | instskip(SKIP_1) | instid1(VALU_DEP_2)
	v_add_co_u32 v12, vcc_lo, v12, v14
	s_wait_alu 0xfffd
	v_add_co_ci_u32_e64 v13, null, v13, v15, vcc_lo
	s_and_not1_b32 vcc_lo, exec_lo, s17
	flat_load_b64 v[12:13], v[12:13]
	s_wait_alu 0xfffe
	s_cbranch_vccnz .LBB187_3
; %bb.42:                               ;   in Loop: Header=BB187_6 Depth=1
	s_wait_loadcnt_dscnt 0x0
	v_cmp_ngt_f32_e64 s2, |v12|, |v13|
	s_and_saveexec_b32 s3, s2
	s_wait_alu 0xfffe
	s_xor_b32 s2, exec_lo, s3
	s_cbranch_execz .LBB187_44
; %bb.43:                               ;   in Loop: Header=BB187_6 Depth=1
	v_div_scale_f32 v14, null, v13, v13, v12
	v_div_scale_f32 v17, vcc_lo, v12, v13, v12
	s_delay_alu instid0(VALU_DEP_2) | instskip(NEXT) | instid1(TRANS32_DEP_1)
	v_rcp_f32_e32 v15, v14
	v_fma_f32 v16, -v14, v15, 1.0
	s_delay_alu instid0(VALU_DEP_1) | instskip(NEXT) | instid1(VALU_DEP_1)
	v_fmac_f32_e32 v15, v16, v15
	v_mul_f32_e32 v16, v17, v15
	s_delay_alu instid0(VALU_DEP_1) | instskip(NEXT) | instid1(VALU_DEP_1)
	v_fma_f32 v18, -v14, v16, v17
	v_fmac_f32_e32 v16, v18, v15
	s_delay_alu instid0(VALU_DEP_1) | instskip(SKIP_1) | instid1(VALU_DEP_1)
	v_fma_f32 v14, -v14, v16, v17
	s_wait_alu 0xfffd
	v_div_fmas_f32 v14, v14, v15, v16
	s_delay_alu instid0(VALU_DEP_1) | instskip(NEXT) | instid1(VALU_DEP_1)
	v_div_fixup_f32 v14, v14, v13, v12
	v_fmac_f32_e32 v13, v12, v14
	s_delay_alu instid0(VALU_DEP_1) | instskip(SKIP_1) | instid1(VALU_DEP_2)
	v_div_scale_f32 v12, null, v13, v13, 1.0
	v_div_scale_f32 v17, vcc_lo, 1.0, v13, 1.0
	v_rcp_f32_e32 v15, v12
	s_delay_alu instid0(TRANS32_DEP_1) | instskip(NEXT) | instid1(VALU_DEP_1)
	v_fma_f32 v16, -v12, v15, 1.0
	v_fmac_f32_e32 v15, v16, v15
	s_delay_alu instid0(VALU_DEP_1) | instskip(NEXT) | instid1(VALU_DEP_1)
	v_mul_f32_e32 v16, v17, v15
	v_fma_f32 v18, -v12, v16, v17
	s_delay_alu instid0(VALU_DEP_1) | instskip(NEXT) | instid1(VALU_DEP_1)
	v_fmac_f32_e32 v16, v18, v15
	v_fma_f32 v12, -v12, v16, v17
	s_wait_alu 0xfffd
	s_delay_alu instid0(VALU_DEP_1) | instskip(NEXT) | instid1(VALU_DEP_1)
	v_div_fmas_f32 v12, v12, v15, v16
	v_div_fixup_f32 v13, v12, v13, 1.0
	s_delay_alu instid0(VALU_DEP_1)
	v_mul_f32_e32 v12, v14, v13
	v_xor_b32_e32 v13, 0x80000000, v13
.LBB187_44:                             ;   in Loop: Header=BB187_6 Depth=1
	s_wait_alu 0xfffe
	s_and_not1_saveexec_b32 s2, s2
	s_cbranch_execz .LBB187_2
; %bb.45:                               ;   in Loop: Header=BB187_6 Depth=1
	s_delay_alu instid0(VALU_DEP_1) | instskip(SKIP_1) | instid1(VALU_DEP_2)
	v_div_scale_f32 v14, null, v12, v12, v13
	v_div_scale_f32 v17, vcc_lo, v13, v12, v13
	v_rcp_f32_e32 v15, v14
	s_delay_alu instid0(TRANS32_DEP_1) | instskip(NEXT) | instid1(VALU_DEP_1)
	v_fma_f32 v16, -v14, v15, 1.0
	v_fmac_f32_e32 v15, v16, v15
	s_delay_alu instid0(VALU_DEP_1) | instskip(NEXT) | instid1(VALU_DEP_1)
	v_mul_f32_e32 v16, v17, v15
	v_fma_f32 v18, -v14, v16, v17
	s_delay_alu instid0(VALU_DEP_1) | instskip(NEXT) | instid1(VALU_DEP_1)
	v_fmac_f32_e32 v16, v18, v15
	v_fma_f32 v14, -v14, v16, v17
	s_wait_alu 0xfffd
	s_delay_alu instid0(VALU_DEP_1) | instskip(NEXT) | instid1(VALU_DEP_1)
	v_div_fmas_f32 v14, v14, v15, v16
	v_div_fixup_f32 v14, v14, v12, v13
	s_delay_alu instid0(VALU_DEP_1) | instskip(NEXT) | instid1(VALU_DEP_1)
	v_fmac_f32_e32 v12, v13, v14
	v_div_scale_f32 v13, null, v12, v12, 1.0
	s_delay_alu instid0(VALU_DEP_1) | instskip(NEXT) | instid1(TRANS32_DEP_1)
	v_rcp_f32_e32 v15, v13
	v_fma_f32 v16, -v13, v15, 1.0
	s_delay_alu instid0(VALU_DEP_1) | instskip(SKIP_1) | instid1(VALU_DEP_1)
	v_fmac_f32_e32 v15, v16, v15
	v_div_scale_f32 v16, vcc_lo, 1.0, v12, 1.0
	v_mul_f32_e32 v17, v16, v15
	s_delay_alu instid0(VALU_DEP_1) | instskip(NEXT) | instid1(VALU_DEP_1)
	v_fma_f32 v18, -v13, v17, v16
	v_fmac_f32_e32 v17, v18, v15
	s_delay_alu instid0(VALU_DEP_1) | instskip(SKIP_1) | instid1(VALU_DEP_1)
	v_fma_f32 v13, -v13, v17, v16
	s_wait_alu 0xfffd
	v_div_fmas_f32 v13, v13, v15, v17
	s_delay_alu instid0(VALU_DEP_1) | instskip(NEXT) | instid1(VALU_DEP_1)
	v_div_fixup_f32 v12, v13, v12, 1.0
	v_mul_f32_e64 v13, v14, -v12
	s_branch .LBB187_2
.LBB187_46:
	s_endpgm
	.section	.rodata,"a",@progbits
	.p2align	6, 0x0
	.amdhsa_kernel _ZL40rocblas_trsm_block_backward_substitutionI19rocblas_complex_numIfES1_PKPKS1_PKPS1_Lb1ELb1ELb0EEv18rocblas_operation_llT0_T1_lllT2_lllib
		.amdhsa_group_segment_fixed_size 0
		.amdhsa_private_segment_fixed_size 0
		.amdhsa_kernarg_size 360
		.amdhsa_user_sgpr_count 2
		.amdhsa_user_sgpr_dispatch_ptr 0
		.amdhsa_user_sgpr_queue_ptr 0
		.amdhsa_user_sgpr_kernarg_segment_ptr 1
		.amdhsa_user_sgpr_dispatch_id 0
		.amdhsa_user_sgpr_private_segment_size 0
		.amdhsa_wavefront_size32 1
		.amdhsa_uses_dynamic_stack 0
		.amdhsa_enable_private_segment 0
		.amdhsa_system_sgpr_workgroup_id_x 1
		.amdhsa_system_sgpr_workgroup_id_y 1
		.amdhsa_system_sgpr_workgroup_id_z 1
		.amdhsa_system_sgpr_workgroup_info 0
		.amdhsa_system_vgpr_workitem_id 1
		.amdhsa_next_free_vgpr 29
		.amdhsa_next_free_sgpr 46
		.amdhsa_reserve_vcc 1
		.amdhsa_float_round_mode_32 0
		.amdhsa_float_round_mode_16_64 0
		.amdhsa_float_denorm_mode_32 3
		.amdhsa_float_denorm_mode_16_64 3
		.amdhsa_fp16_overflow 0
		.amdhsa_workgroup_processor_mode 1
		.amdhsa_memory_ordered 1
		.amdhsa_forward_progress 1
		.amdhsa_inst_pref_size 25
		.amdhsa_round_robin_scheduling 0
		.amdhsa_exception_fp_ieee_invalid_op 0
		.amdhsa_exception_fp_denorm_src 0
		.amdhsa_exception_fp_ieee_div_zero 0
		.amdhsa_exception_fp_ieee_overflow 0
		.amdhsa_exception_fp_ieee_underflow 0
		.amdhsa_exception_fp_ieee_inexact 0
		.amdhsa_exception_int_div_zero 0
	.end_amdhsa_kernel
	.section	.text._ZL40rocblas_trsm_block_backward_substitutionI19rocblas_complex_numIfES1_PKPKS1_PKPS1_Lb1ELb1ELb0EEv18rocblas_operation_llT0_T1_lllT2_lllib,"axG",@progbits,_ZL40rocblas_trsm_block_backward_substitutionI19rocblas_complex_numIfES1_PKPKS1_PKPS1_Lb1ELb1ELb0EEv18rocblas_operation_llT0_T1_lllT2_lllib,comdat
.Lfunc_end187:
	.size	_ZL40rocblas_trsm_block_backward_substitutionI19rocblas_complex_numIfES1_PKPKS1_PKPS1_Lb1ELb1ELb0EEv18rocblas_operation_llT0_T1_lllT2_lllib, .Lfunc_end187-_ZL40rocblas_trsm_block_backward_substitutionI19rocblas_complex_numIfES1_PKPKS1_PKPS1_Lb1ELb1ELb0EEv18rocblas_operation_llT0_T1_lllT2_lllib
                                        ; -- End function
	.set _ZL40rocblas_trsm_block_backward_substitutionI19rocblas_complex_numIfES1_PKPKS1_PKPS1_Lb1ELb1ELb0EEv18rocblas_operation_llT0_T1_lllT2_lllib.num_vgpr, 29
	.set _ZL40rocblas_trsm_block_backward_substitutionI19rocblas_complex_numIfES1_PKPKS1_PKPS1_Lb1ELb1ELb0EEv18rocblas_operation_llT0_T1_lllT2_lllib.num_agpr, 0
	.set _ZL40rocblas_trsm_block_backward_substitutionI19rocblas_complex_numIfES1_PKPKS1_PKPS1_Lb1ELb1ELb0EEv18rocblas_operation_llT0_T1_lllT2_lllib.numbered_sgpr, 46
	.set _ZL40rocblas_trsm_block_backward_substitutionI19rocblas_complex_numIfES1_PKPKS1_PKPS1_Lb1ELb1ELb0EEv18rocblas_operation_llT0_T1_lllT2_lllib.num_named_barrier, 0
	.set _ZL40rocblas_trsm_block_backward_substitutionI19rocblas_complex_numIfES1_PKPKS1_PKPS1_Lb1ELb1ELb0EEv18rocblas_operation_llT0_T1_lllT2_lllib.private_seg_size, 0
	.set _ZL40rocblas_trsm_block_backward_substitutionI19rocblas_complex_numIfES1_PKPKS1_PKPS1_Lb1ELb1ELb0EEv18rocblas_operation_llT0_T1_lllT2_lllib.uses_vcc, 1
	.set _ZL40rocblas_trsm_block_backward_substitutionI19rocblas_complex_numIfES1_PKPKS1_PKPS1_Lb1ELb1ELb0EEv18rocblas_operation_llT0_T1_lllT2_lllib.uses_flat_scratch, 0
	.set _ZL40rocblas_trsm_block_backward_substitutionI19rocblas_complex_numIfES1_PKPKS1_PKPS1_Lb1ELb1ELb0EEv18rocblas_operation_llT0_T1_lllT2_lllib.has_dyn_sized_stack, 0
	.set _ZL40rocblas_trsm_block_backward_substitutionI19rocblas_complex_numIfES1_PKPKS1_PKPS1_Lb1ELb1ELb0EEv18rocblas_operation_llT0_T1_lllT2_lllib.has_recursion, 0
	.set _ZL40rocblas_trsm_block_backward_substitutionI19rocblas_complex_numIfES1_PKPKS1_PKPS1_Lb1ELb1ELb0EEv18rocblas_operation_llT0_T1_lllT2_lllib.has_indirect_call, 0
	.section	.AMDGPU.csdata,"",@progbits
; Kernel info:
; codeLenInByte = 3076
; TotalNumSgprs: 48
; NumVgprs: 29
; ScratchSize: 0
; MemoryBound: 0
; FloatMode: 240
; IeeeMode: 1
; LDSByteSize: 0 bytes/workgroup (compile time only)
; SGPRBlocks: 0
; VGPRBlocks: 3
; NumSGPRsForWavesPerEU: 48
; NumVGPRsForWavesPerEU: 29
; Occupancy: 16
; WaveLimiterHint : 1
; COMPUTE_PGM_RSRC2:SCRATCH_EN: 0
; COMPUTE_PGM_RSRC2:USER_SGPR: 2
; COMPUTE_PGM_RSRC2:TRAP_HANDLER: 0
; COMPUTE_PGM_RSRC2:TGID_X_EN: 1
; COMPUTE_PGM_RSRC2:TGID_Y_EN: 1
; COMPUTE_PGM_RSRC2:TGID_Z_EN: 1
; COMPUTE_PGM_RSRC2:TIDIG_COMP_CNT: 1
	.section	.text._ZL39rocblas_trsm_block_forward_substitutionI19rocblas_complex_numIfES1_PKPKS1_PKPS1_Lb1ELb1ELb1EEv18rocblas_operation_llT0_T1_lllT2_lllib,"axG",@progbits,_ZL39rocblas_trsm_block_forward_substitutionI19rocblas_complex_numIfES1_PKPKS1_PKPS1_Lb1ELb1ELb1EEv18rocblas_operation_llT0_T1_lllT2_lllib,comdat
	.globl	_ZL39rocblas_trsm_block_forward_substitutionI19rocblas_complex_numIfES1_PKPKS1_PKPS1_Lb1ELb1ELb1EEv18rocblas_operation_llT0_T1_lllT2_lllib ; -- Begin function _ZL39rocblas_trsm_block_forward_substitutionI19rocblas_complex_numIfES1_PKPKS1_PKPS1_Lb1ELb1ELb1EEv18rocblas_operation_llT0_T1_lllT2_lllib
	.p2align	8
	.type	_ZL39rocblas_trsm_block_forward_substitutionI19rocblas_complex_numIfES1_PKPKS1_PKPS1_Lb1ELb1ELb1EEv18rocblas_operation_llT0_T1_lllT2_lllib,@function
_ZL39rocblas_trsm_block_forward_substitutionI19rocblas_complex_numIfES1_PKPKS1_PKPS1_Lb1ELb1ELb1EEv18rocblas_operation_llT0_T1_lllT2_lllib: ; @_ZL39rocblas_trsm_block_forward_substitutionI19rocblas_complex_numIfES1_PKPKS1_PKPS1_Lb1ELb1ELb1EEv18rocblas_operation_llT0_T1_lllT2_lllib
; %bb.0:
	s_load_b64 s[2:3], s[0:1], 0x60
	s_lshr_b32 s16, ttmp7, 16
	s_wait_kmcnt 0x0
	s_cmp_ge_u32 s16, s2
	s_cbranch_scc1 .LBB188_23
; %bb.1:
	s_mov_b64 s[22:23], src_shared_base
	s_clause 0x7
	s_load_b64 s[28:29], s[0:1], 0x50
	s_load_b32 s22, s[0:1], 0x0
	s_load_b128 s[4:7], s[0:1], 0x8
	s_load_b64 s[18:19], s[0:1], 0x18
	s_load_b128 s[8:11], s[0:1], 0x20
	s_load_u16 s33, s[0:1], 0x76
	s_load_b64 s[26:27], s[0:1], 0x30
	s_load_b128 s[12:15], s[0:1], 0x40
	v_dual_mov_b32 v2, 0 :: v_dual_and_b32 v1, 0x3ff, v0
	s_bitcmp1_b32 s3, 0
	v_bfe_u32 v0, v0, 10, 10
	s_add_nc_u64 s[20:21], s[0:1], 0x68
	s_cselect_b32 s1, -1, 0
	s_mov_b32 s17, 0
	s_mov_b64 s[24:25], 1
	v_lshl_add_u32 v16, v0, 3, 0
	s_wait_kmcnt 0x0
	v_mad_co_u64_u32 v[5:6], null, s28, v1, 0
	s_cmp_lg_u32 s22, 0x71
	v_cmp_gt_i64_e64 s34, s[4:5], 0
	s_cselect_b32 s3, -1, 0
	s_and_b32 s0, ttmp7, 0xffff
	s_lshl_b32 s22, s33, 3
	v_mad_co_u64_u32 v[7:8], null, s0, s33, v[0:1]
	v_dual_mov_b32 v3, v6 :: v_dual_mov_b32 v8, v2
	v_cmp_gt_i64_e64 s0, s[4:5], v[1:2]
	s_add_co_i32 s22, s22, 0
	v_cmp_gt_i64_e64 s36, s[4:5], 1
	v_mad_co_u64_u32 v[3:4], null, s29, v1, v[3:4]
	v_lshlrev_b32_e32 v15, 3, v1
	v_cmp_gt_i64_e32 vcc_lo, s[6:7], v[7:8]
	s_add_nc_u64 s[6:7], s[4:5], -1
	s_lshl_b64 s[10:11], s[10:11], 3
	s_lshl_b64 s[14:15], s[14:15], 3
	s_delay_alu instid0(VALU_DEP_3) | instskip(SKIP_3) | instid1(VALU_DEP_3)
	v_mov_b32_e32 v6, v3
	v_lshlrev_b64_e32 v[3:4], 3, v[7:8]
	v_add_nc_u32_e32 v17, s22, v15
	s_and_b32 s35, vcc_lo, s0
	v_lshlrev_b64_e32 v[5:6], 3, v[5:6]
	s_branch .LBB188_4
.LBB188_2:                              ;   in Loop: Header=BB188_4 Depth=1
	flat_store_b64 v[7:8], v[9:10]
.LBB188_3:                              ;   in Loop: Header=BB188_4 Depth=1
	s_or_b32 exec_lo, exec_lo, s37
	s_add_co_i32 s16, s16, 0x10000
	s_delay_alu instid0(SALU_CYCLE_1)
	s_cmp_lt_u32 s16, s2
	s_cbranch_scc0 .LBB188_23
.LBB188_4:                              ; =>This Loop Header: Depth=1
                                        ;     Child Loop BB188_9 Depth 2
                                        ;     Child Loop BB188_16 Depth 2
	s_lshl_b64 s[28:29], s[16:17], 3
	s_wait_alu 0xfffe
	s_add_nc_u64 s[30:31], s[8:9], s[28:29]
	s_add_nc_u64 s[28:29], s[12:13], s[28:29]
	global_load_b64 v[9:10], v2, s[30:31]
	s_wait_loadcnt 0x1
	global_load_b64 v[7:8], v2, s[28:29]
	s_wait_loadcnt 0x1
	v_add_co_u32 v11, vcc_lo, v9, s10
	s_wait_alu 0xfffd
	v_add_co_ci_u32_e64 v12, null, s11, v10, vcc_lo
	s_and_not1_b32 vcc_lo, exec_lo, s1
	s_wait_alu 0xfffe
	s_cbranch_vccz .LBB188_6
; %bb.5:                                ;   in Loop: Header=BB188_4 Depth=1
	s_and_saveexec_b32 s37, s35
	s_cbranch_execz .LBB188_3
	s_branch .LBB188_12
.LBB188_6:                              ;   in Loop: Header=BB188_4 Depth=1
	s_and_not1_b32 vcc_lo, exec_lo, s34
	s_wait_alu 0xfffe
	s_cbranch_vccnz .LBB188_11
; %bb.7:                                ;   in Loop: Header=BB188_4 Depth=1
	v_mad_co_u64_u32 v[9:10], null, s26, v1, 0
	s_mov_b32 s26, 0
	v_mad_co_u64_u32 v[13:14], null, s27, v1, v[10:11]
	s_delay_alu instid0(VALU_DEP_1) | instskip(NEXT) | instid1(VALU_DEP_1)
	v_mov_b32_e32 v10, v13
	v_lshlrev_b64_e32 v[9:10], 3, v[9:10]
	s_delay_alu instid0(VALU_DEP_1) | instskip(SKIP_1) | instid1(VALU_DEP_2)
	v_add_co_u32 v9, vcc_lo, v11, v9
	s_wait_alu 0xfffd
	v_add_co_ci_u32_e64 v10, null, v12, v10, vcc_lo
	s_branch .LBB188_9
.LBB188_8:                              ;   in Loop: Header=BB188_9 Depth=2
	s_wait_alu 0xfffe
	s_or_b32 exec_lo, exec_lo, s27
	s_add_co_i32 s26, s26, s33
	s_wait_alu 0xfffe
	s_ashr_i32 s27, s26, 31
	s_wait_alu 0xfffe
	v_cmp_le_i64_e64 s27, s[4:5], s[26:27]
	s_and_b32 vcc_lo, exec_lo, s27
	s_wait_alu 0xfffe
	s_cbranch_vccnz .LBB188_11
.LBB188_9:                              ;   Parent Loop BB188_4 Depth=1
                                        ; =>  This Inner Loop Header: Depth=2
	s_wait_alu 0xfffe
	v_add_nc_u32_e32 v11, s26, v0
	s_delay_alu instid0(VALU_DEP_1)
	v_cmp_gt_i32_e32 vcc_lo, v1, v11
	s_and_b32 s28, s0, vcc_lo
	s_wait_alu 0xfffe
	s_and_saveexec_b32 s27, s28
	s_cbranch_execz .LBB188_8
; %bb.10:                               ;   in Loop: Header=BB188_9 Depth=2
	v_ashrrev_i32_e32 v14, 31, v11
	v_mul_lo_u32 v18, s25, v11
	v_mad_co_u64_u32 v[12:13], null, s24, v11, 0
	s_load_b32 s28, s[20:21], 0xc
	v_mul_lo_u32 v14, s24, v14
	s_delay_alu instid0(VALU_DEP_1) | instskip(NEXT) | instid1(VALU_DEP_1)
	v_add3_u32 v13, v13, v14, v18
	v_lshlrev_b64_e32 v[12:13], 3, v[12:13]
	s_wait_kmcnt 0x0
	s_and_b32 s28, s28, 0xffff
	s_delay_alu instid0(VALU_DEP_1) | instskip(SKIP_1) | instid1(VALU_DEP_2)
	v_add_co_u32 v12, vcc_lo, v9, v12
	s_wait_alu 0xfffd
	v_add_co_ci_u32_e64 v13, null, v10, v13, vcc_lo
	s_wait_alu 0xfffe
	v_mul_lo_u32 v11, v11, s28
	flat_load_b64 v[12:13], v[12:13]
	v_lshl_add_u32 v11, v11, 3, v17
	s_wait_loadcnt_dscnt 0x0
	ds_store_b64 v11, v[12:13]
	s_branch .LBB188_8
.LBB188_11:                             ;   in Loop: Header=BB188_4 Depth=1
	s_load_b32 s24, s[20:21], 0xc
	v_dual_mov_b32 v11, s22 :: v_dual_mov_b32 v12, s23
	s_mov_b32 s25, s17
	s_mov_b64 s[26:27], 1
	s_wait_kmcnt 0x0
	s_and_b32 s24, s24, 0xffff
	s_and_saveexec_b32 s37, s35
	s_cbranch_execz .LBB188_3
.LBB188_12:                             ;   in Loop: Header=BB188_4 Depth=1
	s_wait_loadcnt 0x0
	v_add_co_u32 v7, vcc_lo, v7, s14
	s_wait_alu 0xfffd
	v_add_co_ci_u32_e64 v8, null, s15, v8, vcc_lo
	s_delay_alu instid0(VALU_DEP_2) | instskip(SKIP_1) | instid1(VALU_DEP_2)
	v_add_co_u32 v7, vcc_lo, v7, v5
	s_wait_alu 0xfffd
	v_add_co_ci_u32_e64 v8, null, v8, v6, vcc_lo
	s_delay_alu instid0(VALU_DEP_2) | instskip(SKIP_1) | instid1(VALU_DEP_2)
	v_add_co_u32 v7, vcc_lo, v7, v3
	s_wait_alu 0xfffd
	v_add_co_ci_u32_e64 v8, null, v8, v4, vcc_lo
	s_and_not1_b32 vcc_lo, exec_lo, s36
	flat_load_b64 v[13:14], v[7:8]
	s_wait_loadcnt_dscnt 0x0
	v_mul_f32_e32 v10, s18, v14
	s_delay_alu instid0(VALU_DEP_1) | instskip(NEXT) | instid1(VALU_DEP_1)
	v_dual_mul_f32 v9, s19, v14 :: v_dual_fmac_f32 v10, s19, v13
	v_fma_f32 v9, s18, v13, -v9
	s_wait_alu 0xfffe
	s_cbranch_vccnz .LBB188_2
; %bb.13:                               ;   in Loop: Header=BB188_4 Depth=1
	v_mad_co_u64_u32 v[11:12], null, v15, s26, v[11:12]
	s_lshl_b64 s[28:29], s[24:25], 3
	s_mov_b64 s[30:31], 0
	v_mad_co_u64_u32 v[12:13], null, v15, s27, v[12:13]
	v_add_co_u32 v11, vcc_lo, v11, 4
	s_wait_alu 0xfffd
	s_delay_alu instid0(VALU_DEP_2)
	v_add_co_ci_u32_e64 v12, null, 0, v12, vcc_lo
	s_branch .LBB188_16
.LBB188_14:                             ;   in Loop: Header=BB188_16 Depth=2
	ds_load_b64 v[18:19], v16
	s_wait_loadcnt_dscnt 0x0
	v_dual_mul_f32 v20, v14, v19 :: v_dual_mul_f32 v19, v19, v13
	s_delay_alu instid0(VALU_DEP_1) | instskip(NEXT) | instid1(VALU_DEP_2)
	v_fma_f32 v13, v18, v13, -v20
	v_fmac_f32_e32 v19, v14, v18
	s_delay_alu instid0(VALU_DEP_1)
	v_dual_sub_f32 v9, v9, v13 :: v_dual_sub_f32 v10, v10, v19
.LBB188_15:                             ;   in Loop: Header=BB188_16 Depth=2
	s_or_b32 exec_lo, exec_lo, s38
	s_wait_alu 0xfffe
	v_add_co_u32 v11, vcc_lo, v11, s28
	s_wait_alu 0xfffd
	v_add_co_ci_u32_e64 v12, null, s29, v12, vcc_lo
	s_add_nc_u64 s[30:31], s[30:31], 1
	s_wait_alu 0xfffe
	s_cmp_eq_u64 s[6:7], s[30:31]
	s_cbranch_scc1 .LBB188_2
.LBB188_16:                             ;   Parent Loop BB188_4 Depth=1
                                        ; =>  This Inner Loop Header: Depth=2
	s_mov_b32 s38, exec_lo
	s_barrier_signal -1
	s_barrier_wait -1
	global_inv scope:SCOPE_SE
	s_wait_alu 0xfffe
	v_cmpx_eq_u64_e64 s[30:31], v[1:2]
; %bb.17:                               ;   in Loop: Header=BB188_16 Depth=2
	ds_store_b64 v16, v[9:10]
; %bb.18:                               ;   in Loop: Header=BB188_16 Depth=2
	s_or_b32 exec_lo, exec_lo, s38
	s_delay_alu instid0(SALU_CYCLE_1)
	s_mov_b32 s38, exec_lo
	s_wait_loadcnt_dscnt 0x0
	s_barrier_signal -1
	s_barrier_wait -1
	global_inv scope:SCOPE_SE
	v_cmpx_lt_u64_e64 s[30:31], v[1:2]
	s_cbranch_execz .LBB188_15
; %bb.19:                               ;   in Loop: Header=BB188_16 Depth=2
	s_and_b32 vcc_lo, exec_lo, s3
	s_mov_b32 s39, -1
                                        ; implicit-def: $vgpr13
	s_wait_alu 0xfffe
	s_cbranch_vccz .LBB188_21
; %bb.20:                               ;   in Loop: Header=BB188_16 Depth=2
	flat_load_b64 v[13:14], v[11:12] offset:-4
	s_mov_b32 s39, 0
.LBB188_21:                             ;   in Loop: Header=BB188_16 Depth=2
	s_delay_alu instid0(SALU_CYCLE_1)
	s_and_not1_b32 vcc_lo, exec_lo, s39
	s_wait_alu 0xfffe
	s_cbranch_vccnz .LBB188_14
; %bb.22:                               ;   in Loop: Header=BB188_16 Depth=2
	s_wait_loadcnt_dscnt 0x0
	flat_load_b64 v[13:14], v[11:12] offset:-4
	s_wait_loadcnt_dscnt 0x0
	v_xor_b32_e32 v14, 0x80000000, v14
	s_branch .LBB188_14
.LBB188_23:
	s_endpgm
	.section	.rodata,"a",@progbits
	.p2align	6, 0x0
	.amdhsa_kernel _ZL39rocblas_trsm_block_forward_substitutionI19rocblas_complex_numIfES1_PKPKS1_PKPS1_Lb1ELb1ELb1EEv18rocblas_operation_llT0_T1_lllT2_lllib
		.amdhsa_group_segment_fixed_size 0
		.amdhsa_private_segment_fixed_size 0
		.amdhsa_kernarg_size 360
		.amdhsa_user_sgpr_count 2
		.amdhsa_user_sgpr_dispatch_ptr 0
		.amdhsa_user_sgpr_queue_ptr 0
		.amdhsa_user_sgpr_kernarg_segment_ptr 1
		.amdhsa_user_sgpr_dispatch_id 0
		.amdhsa_user_sgpr_private_segment_size 0
		.amdhsa_wavefront_size32 1
		.amdhsa_uses_dynamic_stack 0
		.amdhsa_enable_private_segment 0
		.amdhsa_system_sgpr_workgroup_id_x 1
		.amdhsa_system_sgpr_workgroup_id_y 1
		.amdhsa_system_sgpr_workgroup_id_z 1
		.amdhsa_system_sgpr_workgroup_info 0
		.amdhsa_system_vgpr_workitem_id 1
		.amdhsa_next_free_vgpr 21
		.amdhsa_next_free_sgpr 40
		.amdhsa_reserve_vcc 1
		.amdhsa_float_round_mode_32 0
		.amdhsa_float_round_mode_16_64 0
		.amdhsa_float_denorm_mode_32 3
		.amdhsa_float_denorm_mode_16_64 3
		.amdhsa_fp16_overflow 0
		.amdhsa_workgroup_processor_mode 1
		.amdhsa_memory_ordered 1
		.amdhsa_forward_progress 1
		.amdhsa_inst_pref_size 10
		.amdhsa_round_robin_scheduling 0
		.amdhsa_exception_fp_ieee_invalid_op 0
		.amdhsa_exception_fp_denorm_src 0
		.amdhsa_exception_fp_ieee_div_zero 0
		.amdhsa_exception_fp_ieee_overflow 0
		.amdhsa_exception_fp_ieee_underflow 0
		.amdhsa_exception_fp_ieee_inexact 0
		.amdhsa_exception_int_div_zero 0
	.end_amdhsa_kernel
	.section	.text._ZL39rocblas_trsm_block_forward_substitutionI19rocblas_complex_numIfES1_PKPKS1_PKPS1_Lb1ELb1ELb1EEv18rocblas_operation_llT0_T1_lllT2_lllib,"axG",@progbits,_ZL39rocblas_trsm_block_forward_substitutionI19rocblas_complex_numIfES1_PKPKS1_PKPS1_Lb1ELb1ELb1EEv18rocblas_operation_llT0_T1_lllT2_lllib,comdat
.Lfunc_end188:
	.size	_ZL39rocblas_trsm_block_forward_substitutionI19rocblas_complex_numIfES1_PKPKS1_PKPS1_Lb1ELb1ELb1EEv18rocblas_operation_llT0_T1_lllT2_lllib, .Lfunc_end188-_ZL39rocblas_trsm_block_forward_substitutionI19rocblas_complex_numIfES1_PKPKS1_PKPS1_Lb1ELb1ELb1EEv18rocblas_operation_llT0_T1_lllT2_lllib
                                        ; -- End function
	.set _ZL39rocblas_trsm_block_forward_substitutionI19rocblas_complex_numIfES1_PKPKS1_PKPS1_Lb1ELb1ELb1EEv18rocblas_operation_llT0_T1_lllT2_lllib.num_vgpr, 21
	.set _ZL39rocblas_trsm_block_forward_substitutionI19rocblas_complex_numIfES1_PKPKS1_PKPS1_Lb1ELb1ELb1EEv18rocblas_operation_llT0_T1_lllT2_lllib.num_agpr, 0
	.set _ZL39rocblas_trsm_block_forward_substitutionI19rocblas_complex_numIfES1_PKPKS1_PKPS1_Lb1ELb1ELb1EEv18rocblas_operation_llT0_T1_lllT2_lllib.numbered_sgpr, 40
	.set _ZL39rocblas_trsm_block_forward_substitutionI19rocblas_complex_numIfES1_PKPKS1_PKPS1_Lb1ELb1ELb1EEv18rocblas_operation_llT0_T1_lllT2_lllib.num_named_barrier, 0
	.set _ZL39rocblas_trsm_block_forward_substitutionI19rocblas_complex_numIfES1_PKPKS1_PKPS1_Lb1ELb1ELb1EEv18rocblas_operation_llT0_T1_lllT2_lllib.private_seg_size, 0
	.set _ZL39rocblas_trsm_block_forward_substitutionI19rocblas_complex_numIfES1_PKPKS1_PKPS1_Lb1ELb1ELb1EEv18rocblas_operation_llT0_T1_lllT2_lllib.uses_vcc, 1
	.set _ZL39rocblas_trsm_block_forward_substitutionI19rocblas_complex_numIfES1_PKPKS1_PKPS1_Lb1ELb1ELb1EEv18rocblas_operation_llT0_T1_lllT2_lllib.uses_flat_scratch, 0
	.set _ZL39rocblas_trsm_block_forward_substitutionI19rocblas_complex_numIfES1_PKPKS1_PKPS1_Lb1ELb1ELb1EEv18rocblas_operation_llT0_T1_lllT2_lllib.has_dyn_sized_stack, 0
	.set _ZL39rocblas_trsm_block_forward_substitutionI19rocblas_complex_numIfES1_PKPKS1_PKPS1_Lb1ELb1ELb1EEv18rocblas_operation_llT0_T1_lllT2_lllib.has_recursion, 0
	.set _ZL39rocblas_trsm_block_forward_substitutionI19rocblas_complex_numIfES1_PKPKS1_PKPS1_Lb1ELb1ELb1EEv18rocblas_operation_llT0_T1_lllT2_lllib.has_indirect_call, 0
	.section	.AMDGPU.csdata,"",@progbits
; Kernel info:
; codeLenInByte = 1184
; TotalNumSgprs: 42
; NumVgprs: 21
; ScratchSize: 0
; MemoryBound: 0
; FloatMode: 240
; IeeeMode: 1
; LDSByteSize: 0 bytes/workgroup (compile time only)
; SGPRBlocks: 0
; VGPRBlocks: 2
; NumSGPRsForWavesPerEU: 42
; NumVGPRsForWavesPerEU: 21
; Occupancy: 16
; WaveLimiterHint : 1
; COMPUTE_PGM_RSRC2:SCRATCH_EN: 0
; COMPUTE_PGM_RSRC2:USER_SGPR: 2
; COMPUTE_PGM_RSRC2:TRAP_HANDLER: 0
; COMPUTE_PGM_RSRC2:TGID_X_EN: 1
; COMPUTE_PGM_RSRC2:TGID_Y_EN: 1
; COMPUTE_PGM_RSRC2:TGID_Z_EN: 1
; COMPUTE_PGM_RSRC2:TIDIG_COMP_CNT: 1
	.section	.text._ZL40rocblas_trsm_block_backward_substitutionI19rocblas_complex_numIfES1_PKPKS1_PKPS1_Lb1ELb1ELb1EEv18rocblas_operation_llT0_T1_lllT2_lllib,"axG",@progbits,_ZL40rocblas_trsm_block_backward_substitutionI19rocblas_complex_numIfES1_PKPKS1_PKPS1_Lb1ELb1ELb1EEv18rocblas_operation_llT0_T1_lllT2_lllib,comdat
	.globl	_ZL40rocblas_trsm_block_backward_substitutionI19rocblas_complex_numIfES1_PKPKS1_PKPS1_Lb1ELb1ELb1EEv18rocblas_operation_llT0_T1_lllT2_lllib ; -- Begin function _ZL40rocblas_trsm_block_backward_substitutionI19rocblas_complex_numIfES1_PKPKS1_PKPS1_Lb1ELb1ELb1EEv18rocblas_operation_llT0_T1_lllT2_lllib
	.p2align	8
	.type	_ZL40rocblas_trsm_block_backward_substitutionI19rocblas_complex_numIfES1_PKPKS1_PKPS1_Lb1ELb1ELb1EEv18rocblas_operation_llT0_T1_lllT2_lllib,@function
_ZL40rocblas_trsm_block_backward_substitutionI19rocblas_complex_numIfES1_PKPKS1_PKPS1_Lb1ELb1ELb1EEv18rocblas_operation_llT0_T1_lllT2_lllib: ; @_ZL40rocblas_trsm_block_backward_substitutionI19rocblas_complex_numIfES1_PKPKS1_PKPS1_Lb1ELb1ELb1EEv18rocblas_operation_llT0_T1_lllT2_lllib
; %bb.0:
	s_load_b64 s[2:3], s[0:1], 0x60
	s_lshr_b32 s16, ttmp7, 16
	s_wait_kmcnt 0x0
	s_cmp_ge_u32 s16, s2
	s_cbranch_scc1 .LBB189_23
; %bb.1:
	s_clause 0x3
	s_load_b32 s8, s[0:1], 0x0
	s_load_u16 s33, s[0:1], 0x76
	s_load_b64 s[26:27], s[0:1], 0x50
	s_load_b128 s[4:7], s[0:1], 0x8
	s_bitcmp1_b32 s3, 0
	v_bfe_u32 v1, v0, 10, 10
	s_cselect_b32 s3, -1, 0
	v_mov_b32_e32 v3, 0
	s_add_nc_u64 s[22:23], s[0:1], 0x68
	s_mov_b64 s[24:25], src_shared_base
	s_mov_b32 s17, 0
	s_wait_kmcnt 0x0
	s_cmp_lg_u32 s8, 0x71
	s_cselect_b32 s34, -1, 0
	s_and_b32 s8, ttmp7, 0xffff
	v_cmp_gt_i64_e64 s35, s[4:5], 0
	v_mad_co_u64_u32 v[4:5], null, s8, s33, v[1:2]
	s_clause 0x3
	s_load_b64 s[18:19], s[0:1], 0x18
	s_load_b128 s[8:11], s[0:1], 0x20
	s_load_b64 s[20:21], s[0:1], 0x30
	s_load_b128 s[12:15], s[0:1], 0x40
	v_and_b32_e32 v2, 0x3ff, v0
	s_lshl_b32 s1, s33, 3
	v_cmp_gt_i64_e64 s37, s[4:5], 1
	s_add_co_i32 s24, s1, 0
	v_mad_co_u64_u32 v[6:7], null, s26, v4, 0
	v_lshlrev_b32_e32 v9, 3, v2
	v_cmp_gt_i64_e64 s0, s[4:5], v[2:3]
	v_lshl_add_u32 v0, v1, 3, 0
	v_lshlrev_b32_e32 v16, 3, v2
	s_delay_alu instid0(VALU_DEP_4) | instskip(SKIP_2) | instid1(VALU_DEP_2)
	v_or_b32_e32 v14, 4, v9
	v_mov_b32_e32 v5, v7
	v_add_nc_u32_e32 v15, s24, v9
	v_mad_co_u64_u32 v[7:8], null, s27, v4, v[5:6]
	v_mov_b32_e32 v5, v3
	s_add_nc_u64 s[26:27], s[4:5], -1
	s_wait_kmcnt 0x0
	s_lshl_b64 s[10:11], s[10:11], 3
	s_lshl_b64 s[14:15], s[14:15], 3
	v_cmp_gt_i64_e32 vcc_lo, s[6:7], v[4:5]
	s_delay_alu instid0(VALU_DEP_3)
	v_lshlrev_b64_e32 v[4:5], 3, v[6:7]
	s_wait_alu 0xfffe
	s_lshl_b64 s[6:7], s[26:27], 3
	s_and_b32 s36, vcc_lo, s0
	s_branch .LBB189_4
.LBB189_2:                              ;   in Loop: Header=BB189_4 Depth=1
	flat_store_b64 v[6:7], v[8:9]
.LBB189_3:                              ;   in Loop: Header=BB189_4 Depth=1
	s_or_b32 exec_lo, exec_lo, s1
	s_add_co_i32 s16, s16, 0x10000
	s_delay_alu instid0(SALU_CYCLE_1)
	s_cmp_lt_u32 s16, s2
	s_cbranch_scc0 .LBB189_23
.LBB189_4:                              ; =>This Loop Header: Depth=1
                                        ;     Child Loop BB189_9 Depth 2
                                        ;     Child Loop BB189_16 Depth 2
	s_lshl_b64 s[28:29], s[16:17], 3
	s_wait_alu 0xfffe
	s_add_nc_u64 s[30:31], s[8:9], s[28:29]
	s_add_nc_u64 s[28:29], s[12:13], s[28:29]
	global_load_b64 v[8:9], v3, s[30:31]
	s_wait_loadcnt 0x1
	global_load_b64 v[6:7], v3, s[28:29]
	s_mov_b64 s[28:29], s[20:21]
	s_wait_loadcnt 0x1
	v_add_co_u32 v10, vcc_lo, v8, s10
	s_wait_alu 0xfffd
	v_add_co_ci_u32_e64 v11, null, s11, v9, vcc_lo
	s_and_not1_b32 vcc_lo, exec_lo, s3
	s_wait_alu 0xfffe
	s_cbranch_vccz .LBB189_6
; %bb.5:                                ;   in Loop: Header=BB189_4 Depth=1
	s_and_saveexec_b32 s1, s36
	s_cbranch_execz .LBB189_3
	s_branch .LBB189_12
.LBB189_6:                              ;   in Loop: Header=BB189_4 Depth=1
	s_and_not1_b32 vcc_lo, exec_lo, s35
	s_wait_alu 0xfffe
	s_cbranch_vccnz .LBB189_11
; %bb.7:                                ;   in Loop: Header=BB189_4 Depth=1
	v_add_co_u32 v10, vcc_lo, v10, v16
	s_wait_alu 0xfffd
	v_add_co_ci_u32_e64 v11, null, 0, v11, vcc_lo
	s_mov_b32 s28, 0
	s_branch .LBB189_9
.LBB189_8:                              ;   in Loop: Header=BB189_9 Depth=2
	s_or_b32 exec_lo, exec_lo, s1
	s_add_co_i32 s28, s28, s33
	s_wait_alu 0xfffe
	s_ashr_i32 s29, s28, 31
	s_wait_alu 0xfffe
	v_cmp_le_i64_e64 s1, s[4:5], s[28:29]
	s_and_b32 vcc_lo, exec_lo, s1
	s_wait_alu 0xfffe
	s_cbranch_vccnz .LBB189_11
.LBB189_9:                              ;   Parent Loop BB189_4 Depth=1
                                        ; =>  This Inner Loop Header: Depth=2
	s_wait_alu 0xfffe
	v_add_nc_u32_e32 v8, s28, v1
	s_delay_alu instid0(VALU_DEP_1) | instskip(SKIP_1) | instid1(VALU_DEP_2)
	v_ashrrev_i32_e32 v9, 31, v8
	v_cmp_lt_i32_e64 s1, v2, v8
	v_cmp_gt_i64_e32 vcc_lo, s[4:5], v[8:9]
	s_and_b32 s1, s1, vcc_lo
	s_delay_alu instid0(SALU_CYCLE_1)
	s_and_b32 s29, s0, s1
	s_wait_alu 0xfffe
	s_and_saveexec_b32 s1, s29
	s_cbranch_execz .LBB189_8
; %bb.10:                               ;   in Loop: Header=BB189_9 Depth=2
	v_mul_lo_u32 v17, s21, v8
	v_mul_lo_u32 v9, s20, v9
	v_mad_co_u64_u32 v[12:13], null, s20, v8, 0
	s_load_b32 s29, s[22:23], 0xc
	v_add3_u32 v13, v13, v9, v17
	s_delay_alu instid0(VALU_DEP_1) | instskip(NEXT) | instid1(VALU_DEP_1)
	v_lshlrev_b64_e32 v[12:13], 3, v[12:13]
	v_add_co_u32 v12, vcc_lo, v10, v12
	s_wait_alu 0xfffd
	s_delay_alu instid0(VALU_DEP_2)
	v_add_co_ci_u32_e64 v13, null, v11, v13, vcc_lo
	s_wait_kmcnt 0x0
	s_and_b32 s29, s29, 0xffff
	s_wait_alu 0xfffe
	v_mul_lo_u32 v8, v8, s29
	flat_load_b64 v[12:13], v[12:13]
	v_lshl_add_u32 v8, v8, 3, v15
	s_wait_loadcnt_dscnt 0x0
	ds_store_b64 v8, v[12:13]
	s_branch .LBB189_8
.LBB189_11:                             ;   in Loop: Header=BB189_4 Depth=1
	s_load_b32 s1, s[22:23], 0xc
	v_dual_mov_b32 v10, s24 :: v_dual_mov_b32 v11, s25
	s_mov_b32 s29, s17
	s_wait_kmcnt 0x0
	s_and_b32 s28, s1, 0xffff
	s_and_saveexec_b32 s1, s36
	s_cbranch_execz .LBB189_3
.LBB189_12:                             ;   in Loop: Header=BB189_4 Depth=1
	s_wait_loadcnt 0x0
	v_add_co_u32 v6, vcc_lo, v6, s14
	s_wait_alu 0xfffd
	v_add_co_ci_u32_e64 v7, null, s15, v7, vcc_lo
	s_delay_alu instid0(VALU_DEP_2) | instskip(SKIP_1) | instid1(VALU_DEP_2)
	v_add_co_u32 v6, vcc_lo, v6, v4
	s_wait_alu 0xfffd
	v_add_co_ci_u32_e64 v7, null, v7, v5, vcc_lo
	s_delay_alu instid0(VALU_DEP_2) | instskip(SKIP_1) | instid1(VALU_DEP_2)
	v_add_co_u32 v6, vcc_lo, v6, v16
	s_wait_alu 0xfffd
	v_add_co_ci_u32_e64 v7, null, 0, v7, vcc_lo
	s_and_not1_b32 vcc_lo, exec_lo, s37
	flat_load_b64 v[12:13], v[6:7]
	s_wait_loadcnt_dscnt 0x0
	v_mul_f32_e32 v9, s18, v13
	s_delay_alu instid0(VALU_DEP_1) | instskip(NEXT) | instid1(VALU_DEP_1)
	v_dual_mul_f32 v8, s19, v13 :: v_dual_fmac_f32 v9, s19, v12
	v_fma_f32 v8, s18, v12, -v8
	s_wait_alu 0xfffe
	s_cbranch_vccnz .LBB189_2
; %bb.13:                               ;   in Loop: Header=BB189_4 Depth=1
	v_add_co_u32 v10, vcc_lo, v10, v14
	s_wait_alu 0xfffd
	v_add_co_ci_u32_e64 v11, null, 0, v11, vcc_lo
	s_mul_i32 s30, s7, s28
	s_mul_i32 s31, s6, s29
	v_mad_co_u64_u32 v[10:11], null, s6, s28, v[10:11]
	s_lshl_b64 s[28:29], s[28:29], 3
	s_wait_alu 0xfffe
	s_sub_nc_u64 s[28:29], 0, s[28:29]
	v_add3_u32 v11, s31, s30, v11
	s_mov_b64 s[30:31], s[26:27]
	s_branch .LBB189_16
.LBB189_14:                             ;   in Loop: Header=BB189_16 Depth=2
	ds_load_b64 v[17:18], v0
	s_wait_loadcnt_dscnt 0x0
	v_dual_mul_f32 v19, v13, v18 :: v_dual_mul_f32 v18, v18, v12
	s_delay_alu instid0(VALU_DEP_1) | instskip(NEXT) | instid1(VALU_DEP_2)
	v_fma_f32 v12, v17, v12, -v19
	v_fmac_f32_e32 v18, v13, v17
	s_delay_alu instid0(VALU_DEP_1)
	v_dual_sub_f32 v8, v8, v12 :: v_dual_sub_f32 v9, v9, v18
.LBB189_15:                             ;   in Loop: Header=BB189_16 Depth=2
	s_wait_alu 0xfffe
	s_or_b32 exec_lo, exec_lo, s38
	s_add_nc_u64 s[38:39], s[30:31], 1
	v_add_co_u32 v10, vcc_lo, v10, s28
	s_wait_alu 0xfffe
	v_cmp_lt_u64_e64 s38, s[38:39], 3
	s_wait_alu 0xfffd
	v_add_co_ci_u32_e64 v11, null, s29, v11, vcc_lo
	s_add_nc_u64 s[30:31], s[30:31], -1
	s_and_b32 vcc_lo, exec_lo, s38
	s_wait_alu 0xfffe
	s_cbranch_vccnz .LBB189_2
.LBB189_16:                             ;   Parent Loop BB189_4 Depth=1
                                        ; =>  This Inner Loop Header: Depth=2
	s_mov_b32 s38, exec_lo
	s_barrier_signal -1
	s_barrier_wait -1
	global_inv scope:SCOPE_SE
	s_wait_alu 0xfffe
	v_cmpx_eq_u64_e64 s[30:31], v[2:3]
; %bb.17:                               ;   in Loop: Header=BB189_16 Depth=2
	ds_store_b64 v0, v[8:9]
; %bb.18:                               ;   in Loop: Header=BB189_16 Depth=2
	s_or_b32 exec_lo, exec_lo, s38
	s_delay_alu instid0(SALU_CYCLE_1)
	s_mov_b32 s38, exec_lo
	s_wait_loadcnt_dscnt 0x0
	s_barrier_signal -1
	s_barrier_wait -1
	global_inv scope:SCOPE_SE
	v_cmpx_gt_i64_e64 s[30:31], v[2:3]
	s_cbranch_execz .LBB189_15
; %bb.19:                               ;   in Loop: Header=BB189_16 Depth=2
	s_and_b32 vcc_lo, exec_lo, s34
	s_mov_b32 s39, -1
                                        ; implicit-def: $vgpr12
	s_wait_alu 0xfffe
	s_cbranch_vccz .LBB189_21
; %bb.20:                               ;   in Loop: Header=BB189_16 Depth=2
	flat_load_b64 v[12:13], v[10:11] offset:-4
	s_mov_b32 s39, 0
.LBB189_21:                             ;   in Loop: Header=BB189_16 Depth=2
	s_wait_alu 0xfffe
	s_and_not1_b32 vcc_lo, exec_lo, s39
	s_wait_alu 0xfffe
	s_cbranch_vccnz .LBB189_14
; %bb.22:                               ;   in Loop: Header=BB189_16 Depth=2
	s_wait_loadcnt_dscnt 0x0
	flat_load_b64 v[12:13], v[10:11] offset:-4
	s_wait_loadcnt_dscnt 0x0
	v_xor_b32_e32 v13, 0x80000000, v13
	s_branch .LBB189_14
.LBB189_23:
	s_endpgm
	.section	.rodata,"a",@progbits
	.p2align	6, 0x0
	.amdhsa_kernel _ZL40rocblas_trsm_block_backward_substitutionI19rocblas_complex_numIfES1_PKPKS1_PKPS1_Lb1ELb1ELb1EEv18rocblas_operation_llT0_T1_lllT2_lllib
		.amdhsa_group_segment_fixed_size 0
		.amdhsa_private_segment_fixed_size 0
		.amdhsa_kernarg_size 360
		.amdhsa_user_sgpr_count 2
		.amdhsa_user_sgpr_dispatch_ptr 0
		.amdhsa_user_sgpr_queue_ptr 0
		.amdhsa_user_sgpr_kernarg_segment_ptr 1
		.amdhsa_user_sgpr_dispatch_id 0
		.amdhsa_user_sgpr_private_segment_size 0
		.amdhsa_wavefront_size32 1
		.amdhsa_uses_dynamic_stack 0
		.amdhsa_enable_private_segment 0
		.amdhsa_system_sgpr_workgroup_id_x 1
		.amdhsa_system_sgpr_workgroup_id_y 1
		.amdhsa_system_sgpr_workgroup_id_z 1
		.amdhsa_system_sgpr_workgroup_info 0
		.amdhsa_system_vgpr_workitem_id 1
		.amdhsa_next_free_vgpr 20
		.amdhsa_next_free_sgpr 40
		.amdhsa_reserve_vcc 1
		.amdhsa_float_round_mode_32 0
		.amdhsa_float_round_mode_16_64 0
		.amdhsa_float_denorm_mode_32 3
		.amdhsa_float_denorm_mode_16_64 3
		.amdhsa_fp16_overflow 0
		.amdhsa_workgroup_processor_mode 1
		.amdhsa_memory_ordered 1
		.amdhsa_forward_progress 1
		.amdhsa_inst_pref_size 10
		.amdhsa_round_robin_scheduling 0
		.amdhsa_exception_fp_ieee_invalid_op 0
		.amdhsa_exception_fp_denorm_src 0
		.amdhsa_exception_fp_ieee_div_zero 0
		.amdhsa_exception_fp_ieee_overflow 0
		.amdhsa_exception_fp_ieee_underflow 0
		.amdhsa_exception_fp_ieee_inexact 0
		.amdhsa_exception_int_div_zero 0
	.end_amdhsa_kernel
	.section	.text._ZL40rocblas_trsm_block_backward_substitutionI19rocblas_complex_numIfES1_PKPKS1_PKPS1_Lb1ELb1ELb1EEv18rocblas_operation_llT0_T1_lllT2_lllib,"axG",@progbits,_ZL40rocblas_trsm_block_backward_substitutionI19rocblas_complex_numIfES1_PKPKS1_PKPS1_Lb1ELb1ELb1EEv18rocblas_operation_llT0_T1_lllT2_lllib,comdat
.Lfunc_end189:
	.size	_ZL40rocblas_trsm_block_backward_substitutionI19rocblas_complex_numIfES1_PKPKS1_PKPS1_Lb1ELb1ELb1EEv18rocblas_operation_llT0_T1_lllT2_lllib, .Lfunc_end189-_ZL40rocblas_trsm_block_backward_substitutionI19rocblas_complex_numIfES1_PKPKS1_PKPS1_Lb1ELb1ELb1EEv18rocblas_operation_llT0_T1_lllT2_lllib
                                        ; -- End function
	.set _ZL40rocblas_trsm_block_backward_substitutionI19rocblas_complex_numIfES1_PKPKS1_PKPS1_Lb1ELb1ELb1EEv18rocblas_operation_llT0_T1_lllT2_lllib.num_vgpr, 20
	.set _ZL40rocblas_trsm_block_backward_substitutionI19rocblas_complex_numIfES1_PKPKS1_PKPS1_Lb1ELb1ELb1EEv18rocblas_operation_llT0_T1_lllT2_lllib.num_agpr, 0
	.set _ZL40rocblas_trsm_block_backward_substitutionI19rocblas_complex_numIfES1_PKPKS1_PKPS1_Lb1ELb1ELb1EEv18rocblas_operation_llT0_T1_lllT2_lllib.numbered_sgpr, 40
	.set _ZL40rocblas_trsm_block_backward_substitutionI19rocblas_complex_numIfES1_PKPKS1_PKPS1_Lb1ELb1ELb1EEv18rocblas_operation_llT0_T1_lllT2_lllib.num_named_barrier, 0
	.set _ZL40rocblas_trsm_block_backward_substitutionI19rocblas_complex_numIfES1_PKPKS1_PKPS1_Lb1ELb1ELb1EEv18rocblas_operation_llT0_T1_lllT2_lllib.private_seg_size, 0
	.set _ZL40rocblas_trsm_block_backward_substitutionI19rocblas_complex_numIfES1_PKPKS1_PKPS1_Lb1ELb1ELb1EEv18rocblas_operation_llT0_T1_lllT2_lllib.uses_vcc, 1
	.set _ZL40rocblas_trsm_block_backward_substitutionI19rocblas_complex_numIfES1_PKPKS1_PKPS1_Lb1ELb1ELb1EEv18rocblas_operation_llT0_T1_lllT2_lllib.uses_flat_scratch, 0
	.set _ZL40rocblas_trsm_block_backward_substitutionI19rocblas_complex_numIfES1_PKPKS1_PKPS1_Lb1ELb1ELb1EEv18rocblas_operation_llT0_T1_lllT2_lllib.has_dyn_sized_stack, 0
	.set _ZL40rocblas_trsm_block_backward_substitutionI19rocblas_complex_numIfES1_PKPKS1_PKPS1_Lb1ELb1ELb1EEv18rocblas_operation_llT0_T1_lllT2_lllib.has_recursion, 0
	.set _ZL40rocblas_trsm_block_backward_substitutionI19rocblas_complex_numIfES1_PKPKS1_PKPS1_Lb1ELb1ELb1EEv18rocblas_operation_llT0_T1_lllT2_lllib.has_indirect_call, 0
	.section	.AMDGPU.csdata,"",@progbits
; Kernel info:
; codeLenInByte = 1208
; TotalNumSgprs: 42
; NumVgprs: 20
; ScratchSize: 0
; MemoryBound: 0
; FloatMode: 240
; IeeeMode: 1
; LDSByteSize: 0 bytes/workgroup (compile time only)
; SGPRBlocks: 0
; VGPRBlocks: 2
; NumSGPRsForWavesPerEU: 42
; NumVGPRsForWavesPerEU: 20
; Occupancy: 16
; WaveLimiterHint : 1
; COMPUTE_PGM_RSRC2:SCRATCH_EN: 0
; COMPUTE_PGM_RSRC2:USER_SGPR: 2
; COMPUTE_PGM_RSRC2:TRAP_HANDLER: 0
; COMPUTE_PGM_RSRC2:TGID_X_EN: 1
; COMPUTE_PGM_RSRC2:TGID_Y_EN: 1
; COMPUTE_PGM_RSRC2:TGID_Z_EN: 1
; COMPUTE_PGM_RSRC2:TIDIG_COMP_CNT: 1
	.section	.text._ZL39rocblas_trsm_block_forward_substitutionI19rocblas_complex_numIfES1_PKPKS1_PKPS1_Lb1ELb0ELb0EEv18rocblas_operation_llT0_T1_lllT2_lllib,"axG",@progbits,_ZL39rocblas_trsm_block_forward_substitutionI19rocblas_complex_numIfES1_PKPKS1_PKPS1_Lb1ELb0ELb0EEv18rocblas_operation_llT0_T1_lllT2_lllib,comdat
	.globl	_ZL39rocblas_trsm_block_forward_substitutionI19rocblas_complex_numIfES1_PKPKS1_PKPS1_Lb1ELb0ELb0EEv18rocblas_operation_llT0_T1_lllT2_lllib ; -- Begin function _ZL39rocblas_trsm_block_forward_substitutionI19rocblas_complex_numIfES1_PKPKS1_PKPS1_Lb1ELb0ELb0EEv18rocblas_operation_llT0_T1_lllT2_lllib
	.p2align	8
	.type	_ZL39rocblas_trsm_block_forward_substitutionI19rocblas_complex_numIfES1_PKPKS1_PKPS1_Lb1ELb0ELb0EEv18rocblas_operation_llT0_T1_lllT2_lllib,@function
_ZL39rocblas_trsm_block_forward_substitutionI19rocblas_complex_numIfES1_PKPKS1_PKPS1_Lb1ELb0ELb0EEv18rocblas_operation_llT0_T1_lllT2_lllib: ; @_ZL39rocblas_trsm_block_forward_substitutionI19rocblas_complex_numIfES1_PKPKS1_PKPS1_Lb1ELb0ELb0EEv18rocblas_operation_llT0_T1_lllT2_lllib
; %bb.0:
	s_load_b64 s[16:17], s[0:1], 0x60
	s_lshr_b32 s18, ttmp7, 16
	s_wait_kmcnt 0x0
	s_cmp_ge_u32 s18, s16
	s_cbranch_scc1 .LBB190_45
; %bb.1:
	s_clause 0x3
	s_load_b32 s8, s[0:1], 0x0
	s_load_u16 s33, s[0:1], 0x76
	s_load_b64 s[2:3], s[0:1], 0x50
	s_load_b128 s[4:7], s[0:1], 0x8
	s_bitcmp1_b32 s17, 0
	v_bfe_u32 v1, v0, 10, 10
	s_cselect_b32 s9, -1, 0
	s_add_nc_u64 s[22:23], s[0:1], 0x68
	s_xor_b32 s17, s9, -1
	v_cndmask_b32_e64 v18, 0, 1, s9
	s_mov_b64 s[24:25], src_shared_base
	v_lshl_add_u32 v19, v1, 3, 0
	s_mov_b32 s19, 0
	s_mov_b64 s[26:27], 1
	v_mov_b32_e32 v3, 0
	s_wait_kmcnt 0x0
	s_cmp_lg_u32 s8, 0x71
	s_cselect_b32 s34, -1, 0
	s_and_b32 s8, ttmp7, 0xffff
	s_add_nc_u64 s[28:29], s[4:5], -1
	s_wait_alu 0xfffe
	v_mad_co_u64_u32 v[4:5], null, s8, s33, v[1:2]
	v_and_b32_e32 v2, 0x3ff, v0
	s_clause 0x3
	s_load_b64 s[20:21], s[0:1], 0x18
	s_load_b128 s[8:11], s[0:1], 0x20
	s_load_b64 s[30:31], s[0:1], 0x30
	s_load_b128 s[12:15], s[0:1], 0x40
	s_lshl_b32 s0, s33, 3
	v_cmp_gt_i64_e64 s35, s[4:5], 0
	s_add_co_i32 s24, s0, 0
	v_lshlrev_b32_e32 v20, 3, v2
	v_mad_co_u64_u32 v[6:7], null, s2, v4, 0
	v_lshlrev_b32_e32 v0, 3, v2
	v_cmp_le_i64_e32 vcc_lo, s[4:5], v[2:3]
	v_cmp_gt_i64_e64 s1, s[4:5], v[2:3]
	v_cmp_eq_u64_e64 s0, s[28:29], v[2:3]
	v_cmp_gt_i64_e64 s37, s[4:5], 1
	v_mov_b32_e32 v5, v7
	v_add_nc_u32_e32 v21, s24, v0
	s_xor_b32 s38, vcc_lo, -1
	s_delay_alu instid0(VALU_DEP_2) | instskip(SKIP_1) | instid1(VALU_DEP_1)
	v_mad_co_u64_u32 v[7:8], null, s3, v4, v[5:6]
	v_mov_b32_e32 v5, v3
	v_cmp_gt_i64_e64 s2, s[6:7], v[4:5]
	s_delay_alu instid0(VALU_DEP_3)
	v_lshlrev_b64_e32 v[4:5], 3, v[6:7]
	s_wait_kmcnt 0x0
	s_lshl_b64 s[6:7], s[14:15], 3
	s_and_b32 s36, s2, s1
	s_lshl_b64 s[2:3], s[10:11], 3
	s_branch .LBB190_6
.LBB190_2:                              ;   in Loop: Header=BB190_6 Depth=1
	s_wait_alu 0xfffe
	s_or_b32 exec_lo, exec_lo, s11
.LBB190_3:                              ;   in Loop: Header=BB190_6 Depth=1
	s_wait_loadcnt_dscnt 0x0
	v_mul_f32_e32 v12, v9, v11
	v_mul_f32_e32 v9, v9, v10
	s_delay_alu instid0(VALU_DEP_2) | instskip(NEXT) | instid1(VALU_DEP_1)
	v_fma_f32 v10, v8, v10, -v12
	v_dual_fmac_f32 v9, v8, v11 :: v_dual_mov_b32 v8, v10
.LBB190_4:                              ;   in Loop: Header=BB190_6 Depth=1
	s_wait_alu 0xfffe
	s_or_b32 exec_lo, exec_lo, s10
	flat_store_b64 v[6:7], v[8:9]
.LBB190_5:                              ;   in Loop: Header=BB190_6 Depth=1
	s_wait_alu 0xfffe
	s_or_b32 exec_lo, exec_lo, s1
	s_add_co_i32 s18, s18, 0x10000
	s_delay_alu instid0(SALU_CYCLE_1)
	s_cmp_lt_u32 s18, s16
	s_cbranch_scc0 .LBB190_45
.LBB190_6:                              ; =>This Loop Header: Depth=1
                                        ;     Child Loop BB190_13 Depth 2
                                        ;     Child Loop BB190_26 Depth 2
	s_lshl_b64 s[10:11], s[18:19], 3
	v_cmp_ne_u32_e32 vcc_lo, 1, v18
	s_wait_alu 0xfffe
	s_add_nc_u64 s[14:15], s[8:9], s[10:11]
	s_add_nc_u64 s[10:11], s[12:13], s[10:11]
	global_load_b64 v[8:9], v3, s[14:15]
	s_wait_loadcnt 0x1
	global_load_b64 v[6:7], v3, s[10:11]
	s_wait_loadcnt 0x1
	v_add_co_u32 v10, s1, v8, s2
	s_wait_alu 0xf1ff
	v_add_co_ci_u32_e64 v11, null, s3, v9, s1
	s_cbranch_vccz .LBB190_8
; %bb.7:                                ;   in Loop: Header=BB190_6 Depth=1
	s_and_saveexec_b32 s1, s36
	s_cbranch_execz .LBB190_5
	s_branch .LBB190_22
.LBB190_8:                              ;   in Loop: Header=BB190_6 Depth=1
	s_and_not1_b32 vcc_lo, exec_lo, s35
	s_wait_alu 0xfffe
	s_cbranch_vccnz .LBB190_21
; %bb.9:                                ;   in Loop: Header=BB190_6 Depth=1
	v_mad_co_u64_u32 v[8:9], null, s30, v2, 0
	s_mov_b32 s10, s33
	v_mov_b32_e32 v16, v1
	v_mad_co_u64_u32 v[12:13], null, s31, v2, v[9:10]
	v_mul_hi_u32_u24_e32 v13, s26, v2
	s_delay_alu instid0(VALU_DEP_2) | instskip(SKIP_1) | instid1(VALU_DEP_2)
	v_mov_b32_e32 v9, v12
	v_mul_u32_u24_e32 v12, s26, v2
	v_lshlrev_b64_e32 v[8:9], 3, v[8:9]
	s_delay_alu instid0(VALU_DEP_2) | instskip(NEXT) | instid1(VALU_DEP_2)
	v_lshlrev_b64_e32 v[12:13], 3, v[12:13]
	v_add_co_u32 v14, vcc_lo, v10, v8
	s_wait_alu 0xfffd
	s_delay_alu instid0(VALU_DEP_3) | instskip(NEXT) | instid1(VALU_DEP_2)
	v_add_co_ci_u32_e64 v15, null, v11, v9, vcc_lo
	v_add_co_u32 v8, vcc_lo, v14, v12
	s_wait_alu 0xfffd
	s_delay_alu instid0(VALU_DEP_2)
	v_add_co_ci_u32_e64 v9, null, v15, v13, vcc_lo
	s_branch .LBB190_13
.LBB190_10:                             ;   in Loop: Header=BB190_13 Depth=2
	s_wait_alu 0xfffe
	s_or_b32 exec_lo, exec_lo, s14
	s_load_b32 s14, s[22:23], 0xc
	s_wait_kmcnt 0x0
	s_and_b32 s14, s14, 0xffff
	s_wait_alu 0xfffe
	v_mul_u32_u24_e32 v10, s14, v2
	s_delay_alu instid0(VALU_DEP_1)
	v_lshl_add_u32 v10, v10, 3, v21
	ds_store_b64 v10, v[12:13]
.LBB190_11:                             ;   in Loop: Header=BB190_13 Depth=2
	s_wait_alu 0xfffe
	s_or_b32 exec_lo, exec_lo, s11
.LBB190_12:                             ;   in Loop: Header=BB190_13 Depth=2
	s_wait_alu 0xfffe
	s_or_b32 exec_lo, exec_lo, s1
	s_ashr_i32 s11, s10, 31
	v_add_nc_u32_e32 v16, s33, v16
	s_wait_alu 0xfffe
	v_cmp_le_i64_e64 s1, s[4:5], s[10:11]
	s_add_co_i32 s10, s10, s33
	s_and_b32 vcc_lo, exec_lo, s1
	s_wait_alu 0xfffe
	s_cbranch_vccnz .LBB190_21
.LBB190_13:                             ;   Parent Loop BB190_6 Depth=1
                                        ; =>  This Inner Loop Header: Depth=2
	v_cmp_gt_i32_e32 vcc_lo, v2, v16
	s_and_b32 s1, s38, vcc_lo
	s_wait_alu 0xfffe
	s_and_saveexec_b32 s11, s1
	s_wait_alu 0xfffe
	s_xor_b32 s1, exec_lo, s11
	s_cbranch_execz .LBB190_15
; %bb.14:                               ;   in Loop: Header=BB190_13 Depth=2
	v_ashrrev_i32_e32 v12, 31, v16
	v_mul_lo_u32 v13, s27, v16
	v_mad_co_u64_u32 v[10:11], null, s26, v16, 0
	s_load_b32 s11, s[22:23], 0xc
	v_mul_lo_u32 v12, s26, v12
	s_delay_alu instid0(VALU_DEP_1) | instskip(NEXT) | instid1(VALU_DEP_1)
	v_add3_u32 v11, v11, v12, v13
	v_lshlrev_b64_e32 v[10:11], 3, v[10:11]
	s_wait_kmcnt 0x0
	s_and_b32 s11, s11, 0xffff
	s_delay_alu instid0(VALU_DEP_1) | instskip(SKIP_1) | instid1(VALU_DEP_2)
	v_add_co_u32 v10, vcc_lo, v14, v10
	s_wait_alu 0xfffd
	v_add_co_ci_u32_e64 v11, null, v15, v11, vcc_lo
	s_wait_alu 0xfffe
	v_mul_lo_u32 v12, v16, s11
	flat_load_b64 v[10:11], v[10:11]
	v_lshl_add_u32 v12, v12, 3, v21
	s_wait_loadcnt_dscnt 0x0
	ds_store_b64 v12, v[10:11]
.LBB190_15:                             ;   in Loop: Header=BB190_13 Depth=2
	s_wait_alu 0xfffe
	s_and_not1_saveexec_b32 s1, s1
	s_cbranch_execz .LBB190_12
; %bb.16:                               ;   in Loop: Header=BB190_13 Depth=2
	v_cmp_eq_u32_e32 vcc_lo, v2, v16
	s_and_b32 s14, s38, vcc_lo
	s_wait_alu 0xfffe
	s_and_saveexec_b32 s11, s14
	s_cbranch_execz .LBB190_11
; %bb.17:                               ;   in Loop: Header=BB190_13 Depth=2
	flat_load_b64 v[10:11], v[8:9]
                                        ; implicit-def: $vgpr12
	s_wait_loadcnt_dscnt 0x0
	v_cmp_ngt_f32_e64 s14, |v10|, |v11|
	s_and_saveexec_b32 s15, s14
	s_wait_alu 0xfffe
	s_xor_b32 s14, exec_lo, s15
	s_cbranch_execz .LBB190_19
; %bb.18:                               ;   in Loop: Header=BB190_13 Depth=2
	v_div_scale_f32 v12, null, v11, v11, v10
	v_div_scale_f32 v22, vcc_lo, v10, v11, v10
	s_delay_alu instid0(VALU_DEP_2) | instskip(NEXT) | instid1(TRANS32_DEP_1)
	v_rcp_f32_e32 v13, v12
	v_fma_f32 v17, -v12, v13, 1.0
	s_delay_alu instid0(VALU_DEP_1) | instskip(NEXT) | instid1(VALU_DEP_1)
	v_fmac_f32_e32 v13, v17, v13
	v_mul_f32_e32 v17, v22, v13
	s_delay_alu instid0(VALU_DEP_1) | instskip(NEXT) | instid1(VALU_DEP_1)
	v_fma_f32 v23, -v12, v17, v22
	v_fmac_f32_e32 v17, v23, v13
	s_delay_alu instid0(VALU_DEP_1) | instskip(SKIP_1) | instid1(VALU_DEP_1)
	v_fma_f32 v12, -v12, v17, v22
	s_wait_alu 0xfffd
	v_div_fmas_f32 v12, v12, v13, v17
	s_delay_alu instid0(VALU_DEP_1) | instskip(NEXT) | instid1(VALU_DEP_1)
	v_div_fixup_f32 v12, v12, v11, v10
	v_fmac_f32_e32 v11, v10, v12
	s_delay_alu instid0(VALU_DEP_1) | instskip(SKIP_1) | instid1(VALU_DEP_2)
	v_div_scale_f32 v10, null, v11, v11, 1.0
	v_div_scale_f32 v22, vcc_lo, 1.0, v11, 1.0
	v_rcp_f32_e32 v13, v10
	s_delay_alu instid0(TRANS32_DEP_1) | instskip(NEXT) | instid1(VALU_DEP_1)
	v_fma_f32 v17, -v10, v13, 1.0
	v_fmac_f32_e32 v13, v17, v13
	s_delay_alu instid0(VALU_DEP_1) | instskip(NEXT) | instid1(VALU_DEP_1)
	v_mul_f32_e32 v17, v22, v13
	v_fma_f32 v23, -v10, v17, v22
	s_delay_alu instid0(VALU_DEP_1) | instskip(NEXT) | instid1(VALU_DEP_1)
	v_fmac_f32_e32 v17, v23, v13
	v_fma_f32 v10, -v10, v17, v22
	s_wait_alu 0xfffd
	s_delay_alu instid0(VALU_DEP_1) | instskip(NEXT) | instid1(VALU_DEP_1)
	v_div_fmas_f32 v10, v10, v13, v17
	v_div_fixup_f32 v10, v10, v11, 1.0
	s_delay_alu instid0(VALU_DEP_1)
	v_mul_f32_e32 v12, v12, v10
	v_xor_b32_e32 v13, 0x80000000, v10
                                        ; implicit-def: $vgpr10_vgpr11
.LBB190_19:                             ;   in Loop: Header=BB190_13 Depth=2
	s_wait_alu 0xfffe
	s_and_not1_saveexec_b32 s14, s14
	s_cbranch_execz .LBB190_10
; %bb.20:                               ;   in Loop: Header=BB190_13 Depth=2
	v_div_scale_f32 v12, null, v10, v10, v11
	v_div_scale_f32 v22, vcc_lo, v11, v10, v11
	s_delay_alu instid0(VALU_DEP_2) | instskip(NEXT) | instid1(TRANS32_DEP_1)
	v_rcp_f32_e32 v13, v12
	v_fma_f32 v17, -v12, v13, 1.0
	s_delay_alu instid0(VALU_DEP_1) | instskip(NEXT) | instid1(VALU_DEP_1)
	v_fmac_f32_e32 v13, v17, v13
	v_mul_f32_e32 v17, v22, v13
	s_delay_alu instid0(VALU_DEP_1) | instskip(NEXT) | instid1(VALU_DEP_1)
	v_fma_f32 v23, -v12, v17, v22
	v_fmac_f32_e32 v17, v23, v13
	s_delay_alu instid0(VALU_DEP_1) | instskip(SKIP_1) | instid1(VALU_DEP_1)
	v_fma_f32 v12, -v12, v17, v22
	s_wait_alu 0xfffd
	v_div_fmas_f32 v12, v12, v13, v17
	s_delay_alu instid0(VALU_DEP_1) | instskip(NEXT) | instid1(VALU_DEP_1)
	v_div_fixup_f32 v13, v12, v10, v11
	v_fmac_f32_e32 v10, v11, v13
	s_delay_alu instid0(VALU_DEP_1) | instskip(NEXT) | instid1(VALU_DEP_1)
	v_div_scale_f32 v11, null, v10, v10, 1.0
	v_rcp_f32_e32 v12, v11
	s_delay_alu instid0(TRANS32_DEP_1) | instskip(NEXT) | instid1(VALU_DEP_1)
	v_fma_f32 v17, -v11, v12, 1.0
	v_fmac_f32_e32 v12, v17, v12
	v_div_scale_f32 v17, vcc_lo, 1.0, v10, 1.0
	s_delay_alu instid0(VALU_DEP_1) | instskip(NEXT) | instid1(VALU_DEP_1)
	v_mul_f32_e32 v22, v17, v12
	v_fma_f32 v23, -v11, v22, v17
	s_delay_alu instid0(VALU_DEP_1) | instskip(NEXT) | instid1(VALU_DEP_1)
	v_fmac_f32_e32 v22, v23, v12
	v_fma_f32 v11, -v11, v22, v17
	s_wait_alu 0xfffd
	s_delay_alu instid0(VALU_DEP_1) | instskip(NEXT) | instid1(VALU_DEP_1)
	v_div_fmas_f32 v11, v11, v12, v22
	v_div_fixup_f32 v12, v11, v10, 1.0
	s_delay_alu instid0(VALU_DEP_1)
	v_mul_f32_e64 v13, v13, -v12
	s_branch .LBB190_10
.LBB190_21:                             ;   in Loop: Header=BB190_6 Depth=1
	s_load_b32 s1, s[22:23], 0xc
	v_dual_mov_b32 v10, s24 :: v_dual_mov_b32 v11, s25
	s_mov_b32 s27, s19
	s_mov_b64 s[30:31], 1
	s_wait_kmcnt 0x0
	s_and_b32 s26, s1, 0xffff
	s_and_saveexec_b32 s1, s36
	s_cbranch_execz .LBB190_5
.LBB190_22:                             ;   in Loop: Header=BB190_6 Depth=1
	s_wait_loadcnt 0x0
	v_add_co_u32 v6, vcc_lo, v6, s6
	s_wait_alu 0xfffd
	v_add_co_ci_u32_e64 v7, null, s7, v7, vcc_lo
	s_delay_alu instid0(VALU_DEP_2) | instskip(SKIP_1) | instid1(VALU_DEP_2)
	v_add_co_u32 v6, vcc_lo, v6, v4
	s_wait_alu 0xfffd
	v_add_co_ci_u32_e64 v7, null, v7, v5, vcc_lo
	s_delay_alu instid0(VALU_DEP_2) | instskip(SKIP_1) | instid1(VALU_DEP_2)
	v_add_co_u32 v6, vcc_lo, v6, v20
	s_wait_alu 0xfffd
	v_add_co_ci_u32_e64 v7, null, 0, v7, vcc_lo
	s_and_not1_b32 vcc_lo, exec_lo, s37
	flat_load_b64 v[12:13], v[6:7]
	s_wait_loadcnt_dscnt 0x0
	v_mul_f32_e32 v9, s20, v13
	s_delay_alu instid0(VALU_DEP_1) | instskip(NEXT) | instid1(VALU_DEP_1)
	v_dual_mul_f32 v8, s21, v13 :: v_dual_fmac_f32 v9, s21, v12
	v_fma_f32 v8, s20, v12, -v8
	s_wait_alu 0xfffe
	s_cbranch_vccnz .LBB190_39
; %bb.23:                               ;   in Loop: Header=BB190_6 Depth=1
	s_add_nc_u64 s[10:11], s[26:27], s[30:31]
	s_mov_b64 s[14:15], 0
	s_wait_alu 0xfffe
	v_mad_co_u64_u32 v[12:13], null, s10, v2, 0
	s_delay_alu instid0(VALU_DEP_1) | instskip(SKIP_4) | instid1(VALU_DEP_2)
	v_mad_co_u64_u32 v[13:14], null, s11, v2, v[13:14]
	v_mad_co_u64_u32 v[14:15], null, v0, s30, v[10:11]
	s_lshl_b64 s[10:11], s[26:27], 3
	v_lshlrev_b64_e32 v[12:13], 3, v[12:13]
	v_mad_co_u64_u32 v[15:16], null, v0, s31, v[15:16]
	v_add_co_u32 v12, vcc_lo, v10, v12
	s_wait_alu 0xfffd
	s_delay_alu instid0(VALU_DEP_3) | instskip(SKIP_2) | instid1(VALU_DEP_4)
	v_add_co_ci_u32_e64 v13, null, v11, v13, vcc_lo
	v_add_co_u32 v14, vcc_lo, v14, 4
	s_wait_alu 0xfffd
	v_add_co_ci_u32_e64 v15, null, 0, v15, vcc_lo
	s_branch .LBB190_26
.LBB190_24:                             ;   in Loop: Header=BB190_26 Depth=2
	ds_load_b64 v[22:23], v19
	s_wait_loadcnt_dscnt 0x0
	v_dual_mul_f32 v24, v17, v23 :: v_dual_mul_f32 v23, v23, v16
	s_delay_alu instid0(VALU_DEP_1) | instskip(NEXT) | instid1(VALU_DEP_1)
	v_fma_f32 v16, v22, v16, -v24
	v_dual_fmac_f32 v23, v17, v22 :: v_dual_sub_f32 v8, v8, v16
	s_delay_alu instid0(VALU_DEP_1)
	v_sub_f32_e32 v9, v9, v23
.LBB190_25:                             ;   in Loop: Header=BB190_26 Depth=2
	s_or_b32 exec_lo, exec_lo, s39
	s_wait_alu 0xfffe
	v_add_co_u32 v14, vcc_lo, v14, s10
	s_wait_alu 0xfffd
	v_add_co_ci_u32_e64 v15, null, s11, v15, vcc_lo
	s_add_nc_u64 s[14:15], s[14:15], 1
	s_wait_alu 0xfffe
	s_cmp_eq_u64 s[28:29], s[14:15]
	s_cbranch_scc1 .LBB190_39
.LBB190_26:                             ;   Parent Loop BB190_6 Depth=1
                                        ; =>  This Inner Loop Header: Depth=2
	s_mov_b32 s39, exec_lo
	s_barrier_signal -1
	s_barrier_wait -1
	global_inv scope:SCOPE_SE
	v_cmpx_eq_u64_e64 s[14:15], v[2:3]
	s_cbranch_execz .LBB190_34
; %bb.27:                               ;   in Loop: Header=BB190_26 Depth=2
	flat_load_b64 v[16:17], v[12:13]
	s_and_not1_b32 vcc_lo, exec_lo, s17
	s_wait_alu 0xfffe
	s_cbranch_vccnz .LBB190_33
; %bb.28:                               ;   in Loop: Header=BB190_26 Depth=2
	s_wait_loadcnt_dscnt 0x0
	v_cmp_ngt_f32_e64 s40, |v16|, |v17|
	s_and_saveexec_b32 s41, s40
	s_delay_alu instid0(SALU_CYCLE_1)
	s_xor_b32 s40, exec_lo, s41
	s_cbranch_execz .LBB190_30
; %bb.29:                               ;   in Loop: Header=BB190_26 Depth=2
	v_div_scale_f32 v22, null, v17, v17, v16
	v_div_scale_f32 v25, vcc_lo, v16, v17, v16
	s_delay_alu instid0(VALU_DEP_2) | instskip(NEXT) | instid1(TRANS32_DEP_1)
	v_rcp_f32_e32 v23, v22
	v_fma_f32 v24, -v22, v23, 1.0
	s_delay_alu instid0(VALU_DEP_1) | instskip(NEXT) | instid1(VALU_DEP_1)
	v_fmac_f32_e32 v23, v24, v23
	v_mul_f32_e32 v24, v25, v23
	s_delay_alu instid0(VALU_DEP_1) | instskip(NEXT) | instid1(VALU_DEP_1)
	v_fma_f32 v26, -v22, v24, v25
	v_fmac_f32_e32 v24, v26, v23
	s_delay_alu instid0(VALU_DEP_1) | instskip(SKIP_1) | instid1(VALU_DEP_1)
	v_fma_f32 v22, -v22, v24, v25
	s_wait_alu 0xfffd
	v_div_fmas_f32 v22, v22, v23, v24
	s_delay_alu instid0(VALU_DEP_1) | instskip(NEXT) | instid1(VALU_DEP_1)
	v_div_fixup_f32 v22, v22, v17, v16
	v_fmac_f32_e32 v17, v16, v22
	s_delay_alu instid0(VALU_DEP_1) | instskip(SKIP_1) | instid1(VALU_DEP_2)
	v_div_scale_f32 v16, null, v17, v17, 1.0
	v_div_scale_f32 v25, vcc_lo, 1.0, v17, 1.0
	v_rcp_f32_e32 v23, v16
	s_delay_alu instid0(TRANS32_DEP_1) | instskip(NEXT) | instid1(VALU_DEP_1)
	v_fma_f32 v24, -v16, v23, 1.0
	v_fmac_f32_e32 v23, v24, v23
	s_delay_alu instid0(VALU_DEP_1) | instskip(NEXT) | instid1(VALU_DEP_1)
	v_mul_f32_e32 v24, v25, v23
	v_fma_f32 v26, -v16, v24, v25
	s_delay_alu instid0(VALU_DEP_1) | instskip(NEXT) | instid1(VALU_DEP_1)
	v_fmac_f32_e32 v24, v26, v23
	v_fma_f32 v16, -v16, v24, v25
	s_wait_alu 0xfffd
	s_delay_alu instid0(VALU_DEP_1) | instskip(NEXT) | instid1(VALU_DEP_1)
	v_div_fmas_f32 v16, v16, v23, v24
	v_div_fixup_f32 v17, v16, v17, 1.0
	s_delay_alu instid0(VALU_DEP_1)
	v_mul_f32_e32 v16, v22, v17
	v_xor_b32_e32 v17, 0x80000000, v17
.LBB190_30:                             ;   in Loop: Header=BB190_26 Depth=2
	s_and_not1_saveexec_b32 s40, s40
	s_cbranch_execz .LBB190_32
; %bb.31:                               ;   in Loop: Header=BB190_26 Depth=2
	s_delay_alu instid0(VALU_DEP_1) | instskip(SKIP_1) | instid1(VALU_DEP_2)
	v_div_scale_f32 v22, null, v16, v16, v17
	v_div_scale_f32 v25, vcc_lo, v17, v16, v17
	v_rcp_f32_e32 v23, v22
	s_delay_alu instid0(TRANS32_DEP_1) | instskip(NEXT) | instid1(VALU_DEP_1)
	v_fma_f32 v24, -v22, v23, 1.0
	v_fmac_f32_e32 v23, v24, v23
	s_delay_alu instid0(VALU_DEP_1) | instskip(NEXT) | instid1(VALU_DEP_1)
	v_mul_f32_e32 v24, v25, v23
	v_fma_f32 v26, -v22, v24, v25
	s_delay_alu instid0(VALU_DEP_1) | instskip(NEXT) | instid1(VALU_DEP_1)
	v_fmac_f32_e32 v24, v26, v23
	v_fma_f32 v22, -v22, v24, v25
	s_wait_alu 0xfffd
	s_delay_alu instid0(VALU_DEP_1) | instskip(NEXT) | instid1(VALU_DEP_1)
	v_div_fmas_f32 v22, v22, v23, v24
	v_div_fixup_f32 v22, v22, v16, v17
	s_delay_alu instid0(VALU_DEP_1) | instskip(NEXT) | instid1(VALU_DEP_1)
	v_fmac_f32_e32 v16, v17, v22
	v_div_scale_f32 v17, null, v16, v16, 1.0
	s_delay_alu instid0(VALU_DEP_1) | instskip(NEXT) | instid1(TRANS32_DEP_1)
	v_rcp_f32_e32 v23, v17
	v_fma_f32 v24, -v17, v23, 1.0
	s_delay_alu instid0(VALU_DEP_1) | instskip(SKIP_1) | instid1(VALU_DEP_1)
	v_fmac_f32_e32 v23, v24, v23
	v_div_scale_f32 v24, vcc_lo, 1.0, v16, 1.0
	v_mul_f32_e32 v25, v24, v23
	s_delay_alu instid0(VALU_DEP_1) | instskip(NEXT) | instid1(VALU_DEP_1)
	v_fma_f32 v26, -v17, v25, v24
	v_fmac_f32_e32 v25, v26, v23
	s_delay_alu instid0(VALU_DEP_1) | instskip(SKIP_1) | instid1(VALU_DEP_1)
	v_fma_f32 v17, -v17, v25, v24
	s_wait_alu 0xfffd
	v_div_fmas_f32 v17, v17, v23, v25
	s_delay_alu instid0(VALU_DEP_1) | instskip(NEXT) | instid1(VALU_DEP_1)
	v_div_fixup_f32 v16, v17, v16, 1.0
	v_mul_f32_e64 v17, v22, -v16
.LBB190_32:                             ;   in Loop: Header=BB190_26 Depth=2
	s_or_b32 exec_lo, exec_lo, s40
.LBB190_33:                             ;   in Loop: Header=BB190_26 Depth=2
	s_wait_loadcnt_dscnt 0x0
	s_delay_alu instid0(VALU_DEP_1) | instskip(SKIP_1) | instid1(VALU_DEP_1)
	v_mul_f32_e32 v23, v8, v17
	v_mul_f32_e32 v17, v9, v17
	v_fma_f32 v22, v8, v16, -v17
	s_delay_alu instid0(VALU_DEP_1) | instskip(NEXT) | instid1(VALU_DEP_1)
	v_dual_mov_b32 v8, v22 :: v_dual_fmac_f32 v23, v9, v16
	v_mov_b32_e32 v9, v23
	ds_store_b64 v19, v[22:23]
.LBB190_34:                             ;   in Loop: Header=BB190_26 Depth=2
	s_or_b32 exec_lo, exec_lo, s39
	s_delay_alu instid0(SALU_CYCLE_1)
	s_mov_b32 s39, exec_lo
	s_wait_loadcnt_dscnt 0x0
	s_barrier_signal -1
	s_barrier_wait -1
	global_inv scope:SCOPE_SE
	v_cmpx_lt_u64_e64 s[14:15], v[2:3]
	s_cbranch_execz .LBB190_25
; %bb.35:                               ;   in Loop: Header=BB190_26 Depth=2
	s_and_b32 vcc_lo, exec_lo, s34
	s_mov_b32 s40, -1
                                        ; implicit-def: $vgpr16
	s_wait_alu 0xfffe
	s_cbranch_vccz .LBB190_37
; %bb.36:                               ;   in Loop: Header=BB190_26 Depth=2
	flat_load_b64 v[16:17], v[14:15] offset:-4
	s_mov_b32 s40, 0
.LBB190_37:                             ;   in Loop: Header=BB190_26 Depth=2
	s_delay_alu instid0(SALU_CYCLE_1)
	s_and_not1_b32 vcc_lo, exec_lo, s40
	s_wait_alu 0xfffe
	s_cbranch_vccnz .LBB190_24
; %bb.38:                               ;   in Loop: Header=BB190_26 Depth=2
	s_wait_loadcnt_dscnt 0x0
	flat_load_b64 v[16:17], v[14:15] offset:-4
	s_wait_loadcnt_dscnt 0x0
	v_xor_b32_e32 v17, 0x80000000, v17
	s_branch .LBB190_24
.LBB190_39:                             ;   in Loop: Header=BB190_6 Depth=1
	s_and_saveexec_b32 s10, s0
	s_cbranch_execz .LBB190_4
; %bb.40:                               ;   in Loop: Header=BB190_6 Depth=1
	s_add_nc_u64 s[14:15], s[26:27], s[30:31]
	s_wait_alu 0xfffe
	v_mad_co_u64_u32 v[12:13], null, s14, v2, 0
	s_delay_alu instid0(VALU_DEP_1) | instskip(NEXT) | instid1(VALU_DEP_1)
	v_mad_co_u64_u32 v[13:14], null, s15, v2, v[13:14]
	v_lshlrev_b64_e32 v[12:13], 3, v[12:13]
	s_delay_alu instid0(VALU_DEP_1) | instskip(SKIP_1) | instid1(VALU_DEP_2)
	v_add_co_u32 v10, vcc_lo, v10, v12
	s_wait_alu 0xfffd
	v_add_co_ci_u32_e64 v11, null, v11, v13, vcc_lo
	s_and_not1_b32 vcc_lo, exec_lo, s17
	flat_load_b64 v[10:11], v[10:11]
	s_wait_alu 0xfffe
	s_cbranch_vccnz .LBB190_3
; %bb.41:                               ;   in Loop: Header=BB190_6 Depth=1
	s_wait_loadcnt_dscnt 0x0
	v_cmp_ngt_f32_e64 s11, |v10|, |v11|
	s_and_saveexec_b32 s14, s11
	s_wait_alu 0xfffe
	s_xor_b32 s11, exec_lo, s14
	s_cbranch_execz .LBB190_43
; %bb.42:                               ;   in Loop: Header=BB190_6 Depth=1
	v_div_scale_f32 v12, null, v11, v11, v10
	v_div_scale_f32 v15, vcc_lo, v10, v11, v10
	s_delay_alu instid0(VALU_DEP_2) | instskip(NEXT) | instid1(TRANS32_DEP_1)
	v_rcp_f32_e32 v13, v12
	v_fma_f32 v14, -v12, v13, 1.0
	s_delay_alu instid0(VALU_DEP_1) | instskip(NEXT) | instid1(VALU_DEP_1)
	v_fmac_f32_e32 v13, v14, v13
	v_mul_f32_e32 v14, v15, v13
	s_delay_alu instid0(VALU_DEP_1) | instskip(NEXT) | instid1(VALU_DEP_1)
	v_fma_f32 v16, -v12, v14, v15
	v_fmac_f32_e32 v14, v16, v13
	s_delay_alu instid0(VALU_DEP_1) | instskip(SKIP_1) | instid1(VALU_DEP_1)
	v_fma_f32 v12, -v12, v14, v15
	s_wait_alu 0xfffd
	v_div_fmas_f32 v12, v12, v13, v14
	s_delay_alu instid0(VALU_DEP_1) | instskip(NEXT) | instid1(VALU_DEP_1)
	v_div_fixup_f32 v12, v12, v11, v10
	v_fmac_f32_e32 v11, v10, v12
	s_delay_alu instid0(VALU_DEP_1) | instskip(SKIP_1) | instid1(VALU_DEP_2)
	v_div_scale_f32 v10, null, v11, v11, 1.0
	v_div_scale_f32 v15, vcc_lo, 1.0, v11, 1.0
	v_rcp_f32_e32 v13, v10
	s_delay_alu instid0(TRANS32_DEP_1) | instskip(NEXT) | instid1(VALU_DEP_1)
	v_fma_f32 v14, -v10, v13, 1.0
	v_fmac_f32_e32 v13, v14, v13
	s_delay_alu instid0(VALU_DEP_1) | instskip(NEXT) | instid1(VALU_DEP_1)
	v_mul_f32_e32 v14, v15, v13
	v_fma_f32 v16, -v10, v14, v15
	s_delay_alu instid0(VALU_DEP_1) | instskip(NEXT) | instid1(VALU_DEP_1)
	v_fmac_f32_e32 v14, v16, v13
	v_fma_f32 v10, -v10, v14, v15
	s_wait_alu 0xfffd
	s_delay_alu instid0(VALU_DEP_1) | instskip(NEXT) | instid1(VALU_DEP_1)
	v_div_fmas_f32 v10, v10, v13, v14
	v_div_fixup_f32 v11, v10, v11, 1.0
	s_delay_alu instid0(VALU_DEP_1)
	v_mul_f32_e32 v10, v12, v11
	v_xor_b32_e32 v11, 0x80000000, v11
.LBB190_43:                             ;   in Loop: Header=BB190_6 Depth=1
	s_wait_alu 0xfffe
	s_and_not1_saveexec_b32 s11, s11
	s_cbranch_execz .LBB190_2
; %bb.44:                               ;   in Loop: Header=BB190_6 Depth=1
	s_delay_alu instid0(VALU_DEP_1) | instskip(SKIP_1) | instid1(VALU_DEP_2)
	v_div_scale_f32 v12, null, v10, v10, v11
	v_div_scale_f32 v15, vcc_lo, v11, v10, v11
	v_rcp_f32_e32 v13, v12
	s_delay_alu instid0(TRANS32_DEP_1) | instskip(NEXT) | instid1(VALU_DEP_1)
	v_fma_f32 v14, -v12, v13, 1.0
	v_fmac_f32_e32 v13, v14, v13
	s_delay_alu instid0(VALU_DEP_1) | instskip(NEXT) | instid1(VALU_DEP_1)
	v_mul_f32_e32 v14, v15, v13
	v_fma_f32 v16, -v12, v14, v15
	s_delay_alu instid0(VALU_DEP_1) | instskip(NEXT) | instid1(VALU_DEP_1)
	v_fmac_f32_e32 v14, v16, v13
	v_fma_f32 v12, -v12, v14, v15
	s_wait_alu 0xfffd
	s_delay_alu instid0(VALU_DEP_1) | instskip(NEXT) | instid1(VALU_DEP_1)
	v_div_fmas_f32 v12, v12, v13, v14
	v_div_fixup_f32 v12, v12, v10, v11
	s_delay_alu instid0(VALU_DEP_1) | instskip(NEXT) | instid1(VALU_DEP_1)
	v_fmac_f32_e32 v10, v11, v12
	v_div_scale_f32 v11, null, v10, v10, 1.0
	s_delay_alu instid0(VALU_DEP_1) | instskip(NEXT) | instid1(TRANS32_DEP_1)
	v_rcp_f32_e32 v13, v11
	v_fma_f32 v14, -v11, v13, 1.0
	s_delay_alu instid0(VALU_DEP_1) | instskip(SKIP_1) | instid1(VALU_DEP_1)
	v_fmac_f32_e32 v13, v14, v13
	v_div_scale_f32 v14, vcc_lo, 1.0, v10, 1.0
	v_mul_f32_e32 v15, v14, v13
	s_delay_alu instid0(VALU_DEP_1) | instskip(NEXT) | instid1(VALU_DEP_1)
	v_fma_f32 v16, -v11, v15, v14
	v_fmac_f32_e32 v15, v16, v13
	s_delay_alu instid0(VALU_DEP_1) | instskip(SKIP_1) | instid1(VALU_DEP_1)
	v_fma_f32 v11, -v11, v15, v14
	s_wait_alu 0xfffd
	v_div_fmas_f32 v11, v11, v13, v15
	s_delay_alu instid0(VALU_DEP_1) | instskip(NEXT) | instid1(VALU_DEP_1)
	v_div_fixup_f32 v10, v11, v10, 1.0
	v_mul_f32_e64 v11, v12, -v10
	s_branch .LBB190_2
.LBB190_45:
	s_endpgm
	.section	.rodata,"a",@progbits
	.p2align	6, 0x0
	.amdhsa_kernel _ZL39rocblas_trsm_block_forward_substitutionI19rocblas_complex_numIfES1_PKPKS1_PKPS1_Lb1ELb0ELb0EEv18rocblas_operation_llT0_T1_lllT2_lllib
		.amdhsa_group_segment_fixed_size 0
		.amdhsa_private_segment_fixed_size 0
		.amdhsa_kernarg_size 360
		.amdhsa_user_sgpr_count 2
		.amdhsa_user_sgpr_dispatch_ptr 0
		.amdhsa_user_sgpr_queue_ptr 0
		.amdhsa_user_sgpr_kernarg_segment_ptr 1
		.amdhsa_user_sgpr_dispatch_id 0
		.amdhsa_user_sgpr_private_segment_size 0
		.amdhsa_wavefront_size32 1
		.amdhsa_uses_dynamic_stack 0
		.amdhsa_enable_private_segment 0
		.amdhsa_system_sgpr_workgroup_id_x 1
		.amdhsa_system_sgpr_workgroup_id_y 1
		.amdhsa_system_sgpr_workgroup_id_z 1
		.amdhsa_system_sgpr_workgroup_info 0
		.amdhsa_system_vgpr_workitem_id 1
		.amdhsa_next_free_vgpr 27
		.amdhsa_next_free_sgpr 42
		.amdhsa_reserve_vcc 1
		.amdhsa_float_round_mode_32 0
		.amdhsa_float_round_mode_16_64 0
		.amdhsa_float_denorm_mode_32 3
		.amdhsa_float_denorm_mode_16_64 3
		.amdhsa_fp16_overflow 0
		.amdhsa_workgroup_processor_mode 1
		.amdhsa_memory_ordered 1
		.amdhsa_forward_progress 1
		.amdhsa_inst_pref_size 24
		.amdhsa_round_robin_scheduling 0
		.amdhsa_exception_fp_ieee_invalid_op 0
		.amdhsa_exception_fp_denorm_src 0
		.amdhsa_exception_fp_ieee_div_zero 0
		.amdhsa_exception_fp_ieee_overflow 0
		.amdhsa_exception_fp_ieee_underflow 0
		.amdhsa_exception_fp_ieee_inexact 0
		.amdhsa_exception_int_div_zero 0
	.end_amdhsa_kernel
	.section	.text._ZL39rocblas_trsm_block_forward_substitutionI19rocblas_complex_numIfES1_PKPKS1_PKPS1_Lb1ELb0ELb0EEv18rocblas_operation_llT0_T1_lllT2_lllib,"axG",@progbits,_ZL39rocblas_trsm_block_forward_substitutionI19rocblas_complex_numIfES1_PKPKS1_PKPS1_Lb1ELb0ELb0EEv18rocblas_operation_llT0_T1_lllT2_lllib,comdat
.Lfunc_end190:
	.size	_ZL39rocblas_trsm_block_forward_substitutionI19rocblas_complex_numIfES1_PKPKS1_PKPS1_Lb1ELb0ELb0EEv18rocblas_operation_llT0_T1_lllT2_lllib, .Lfunc_end190-_ZL39rocblas_trsm_block_forward_substitutionI19rocblas_complex_numIfES1_PKPKS1_PKPS1_Lb1ELb0ELb0EEv18rocblas_operation_llT0_T1_lllT2_lllib
                                        ; -- End function
	.set _ZL39rocblas_trsm_block_forward_substitutionI19rocblas_complex_numIfES1_PKPKS1_PKPS1_Lb1ELb0ELb0EEv18rocblas_operation_llT0_T1_lllT2_lllib.num_vgpr, 27
	.set _ZL39rocblas_trsm_block_forward_substitutionI19rocblas_complex_numIfES1_PKPKS1_PKPS1_Lb1ELb0ELb0EEv18rocblas_operation_llT0_T1_lllT2_lllib.num_agpr, 0
	.set _ZL39rocblas_trsm_block_forward_substitutionI19rocblas_complex_numIfES1_PKPKS1_PKPS1_Lb1ELb0ELb0EEv18rocblas_operation_llT0_T1_lllT2_lllib.numbered_sgpr, 42
	.set _ZL39rocblas_trsm_block_forward_substitutionI19rocblas_complex_numIfES1_PKPKS1_PKPS1_Lb1ELb0ELb0EEv18rocblas_operation_llT0_T1_lllT2_lllib.num_named_barrier, 0
	.set _ZL39rocblas_trsm_block_forward_substitutionI19rocblas_complex_numIfES1_PKPKS1_PKPS1_Lb1ELb0ELb0EEv18rocblas_operation_llT0_T1_lllT2_lllib.private_seg_size, 0
	.set _ZL39rocblas_trsm_block_forward_substitutionI19rocblas_complex_numIfES1_PKPKS1_PKPS1_Lb1ELb0ELb0EEv18rocblas_operation_llT0_T1_lllT2_lllib.uses_vcc, 1
	.set _ZL39rocblas_trsm_block_forward_substitutionI19rocblas_complex_numIfES1_PKPKS1_PKPS1_Lb1ELb0ELb0EEv18rocblas_operation_llT0_T1_lllT2_lllib.uses_flat_scratch, 0
	.set _ZL39rocblas_trsm_block_forward_substitutionI19rocblas_complex_numIfES1_PKPKS1_PKPS1_Lb1ELb0ELb0EEv18rocblas_operation_llT0_T1_lllT2_lllib.has_dyn_sized_stack, 0
	.set _ZL39rocblas_trsm_block_forward_substitutionI19rocblas_complex_numIfES1_PKPKS1_PKPS1_Lb1ELb0ELb0EEv18rocblas_operation_llT0_T1_lllT2_lllib.has_recursion, 0
	.set _ZL39rocblas_trsm_block_forward_substitutionI19rocblas_complex_numIfES1_PKPKS1_PKPS1_Lb1ELb0ELb0EEv18rocblas_operation_llT0_T1_lllT2_lllib.has_indirect_call, 0
	.section	.AMDGPU.csdata,"",@progbits
; Kernel info:
; codeLenInByte = 3012
; TotalNumSgprs: 44
; NumVgprs: 27
; ScratchSize: 0
; MemoryBound: 0
; FloatMode: 240
; IeeeMode: 1
; LDSByteSize: 0 bytes/workgroup (compile time only)
; SGPRBlocks: 0
; VGPRBlocks: 3
; NumSGPRsForWavesPerEU: 44
; NumVGPRsForWavesPerEU: 27
; Occupancy: 16
; WaveLimiterHint : 1
; COMPUTE_PGM_RSRC2:SCRATCH_EN: 0
; COMPUTE_PGM_RSRC2:USER_SGPR: 2
; COMPUTE_PGM_RSRC2:TRAP_HANDLER: 0
; COMPUTE_PGM_RSRC2:TGID_X_EN: 1
; COMPUTE_PGM_RSRC2:TGID_Y_EN: 1
; COMPUTE_PGM_RSRC2:TGID_Z_EN: 1
; COMPUTE_PGM_RSRC2:TIDIG_COMP_CNT: 1
	.section	.text._ZL40rocblas_trsm_block_backward_substitutionI19rocblas_complex_numIfES1_PKPKS1_PKPS1_Lb1ELb0ELb0EEv18rocblas_operation_llT0_T1_lllT2_lllib,"axG",@progbits,_ZL40rocblas_trsm_block_backward_substitutionI19rocblas_complex_numIfES1_PKPKS1_PKPS1_Lb1ELb0ELb0EEv18rocblas_operation_llT0_T1_lllT2_lllib,comdat
	.globl	_ZL40rocblas_trsm_block_backward_substitutionI19rocblas_complex_numIfES1_PKPKS1_PKPS1_Lb1ELb0ELb0EEv18rocblas_operation_llT0_T1_lllT2_lllib ; -- Begin function _ZL40rocblas_trsm_block_backward_substitutionI19rocblas_complex_numIfES1_PKPKS1_PKPS1_Lb1ELb0ELb0EEv18rocblas_operation_llT0_T1_lllT2_lllib
	.p2align	8
	.type	_ZL40rocblas_trsm_block_backward_substitutionI19rocblas_complex_numIfES1_PKPKS1_PKPS1_Lb1ELb0ELb0EEv18rocblas_operation_llT0_T1_lllT2_lllib,@function
_ZL40rocblas_trsm_block_backward_substitutionI19rocblas_complex_numIfES1_PKPKS1_PKPS1_Lb1ELb0ELb0EEv18rocblas_operation_llT0_T1_lllT2_lllib: ; @_ZL40rocblas_trsm_block_backward_substitutionI19rocblas_complex_numIfES1_PKPKS1_PKPS1_Lb1ELb0ELb0EEv18rocblas_operation_llT0_T1_lllT2_lllib
; %bb.0:
	s_load_b64 s[16:17], s[0:1], 0x60
	s_lshr_b32 s18, ttmp7, 16
	s_wait_kmcnt 0x0
	s_cmp_ge_u32 s18, s16
	s_cbranch_scc1 .LBB191_46
; %bb.1:
	s_clause 0x7
	s_load_b32 s19, s[0:1], 0x0
	s_load_b64 s[2:3], s[0:1], 0x50
	s_load_b64 s[20:21], s[0:1], 0x30
	s_load_b128 s[4:7], s[0:1], 0x8
	s_load_u16 s33, s[0:1], 0x76
	s_load_b64 s[22:23], s[0:1], 0x18
	s_load_b128 s[8:11], s[0:1], 0x20
	s_load_b128 s[12:15], s[0:1], 0x40
	s_bitcmp1_b32 s17, 0
	s_add_nc_u64 s[24:25], s[0:1], 0x68
	s_cselect_b32 s0, -1, 0
	v_bfe_u32 v1, v0, 10, 10
	v_dual_mov_b32 v3, 0 :: v_dual_and_b32 v2, 0x3ff, v0
	s_xor_b32 s17, s0, -1
	v_cndmask_b32_e64 v0, 0, 1, s0
	s_mov_b64 s[26:27], src_shared_base
	v_lshl_add_u32 v23, v1, 3, 0
	v_lshlrev_b32_e32 v13, 3, v2
	v_cmp_eq_u32_e64 s1, 0, v2
	s_wait_kmcnt 0x0
	s_cmp_lg_u32 s19, 0x71
	v_mad_co_u64_u32 v[6:7], null, s2, v2, 0
	s_cselect_b32 s36, -1, 0
	s_and_b32 s0, ttmp7, 0xffff
	v_mad_co_u64_u32 v[4:5], null, s20, v2, 0
	s_wait_alu 0xfffe
	v_mad_co_u64_u32 v[8:9], null, s0, s33, v[1:2]
	s_lshl_b32 s0, s33, 3
	v_cmp_le_i64_e64 s37, s[4:5], v[2:3]
	s_wait_alu 0xfffe
	s_add_co_i32 s26, s0, 0
	s_delay_alu instid0(SALU_CYCLE_1) | instskip(SKIP_3) | instid1(VALU_DEP_4)
	v_dual_mov_b32 v9, v3 :: v_dual_add_nc_u32 v22, s26, v13
	v_cmp_gt_i64_e64 s0, s[4:5], v[2:3]
	v_mad_co_u64_u32 v[10:11], null, s3, v2, v[7:8]
	v_mad_co_u64_u32 v[11:12], null, s21, v2, v[5:6]
	v_cmp_gt_i64_e32 vcc_lo, s[6:7], v[8:9]
	v_cmp_gt_i64_e64 s39, s[4:5], 0
	v_lshlrev_b64_e32 v[8:9], 3, v[8:9]
	v_cmp_gt_i64_e64 s40, s[4:5], 1
	v_mov_b32_e32 v7, v10
	v_or_b32_e32 v24, 4, v13
	v_mov_b32_e32 v5, v11
	v_lshlrev_b32_e32 v25, 3, v2
	s_add_nc_u64 s[6:7], s[4:5], -1
	v_lshlrev_b64_e32 v[6:7], 3, v[6:7]
	s_mov_b32 s19, 0
	v_lshlrev_b64_e32 v[4:5], 3, v[4:5]
	s_and_b32 s38, vcc_lo, s0
	s_wait_alu 0xfffe
	s_lshl_b64 s[28:29], s[6:7], 3
	s_lshl_b64 s[10:11], s[10:11], 3
	s_xor_b32 s41, s37, -1
	s_lshl_b64 s[14:15], s[14:15], 3
	s_branch .LBB191_6
.LBB191_2:                              ;   in Loop: Header=BB191_6 Depth=1
	s_wait_alu 0xfffe
	s_or_b32 exec_lo, exec_lo, s2
.LBB191_3:                              ;   in Loop: Header=BB191_6 Depth=1
	s_wait_loadcnt_dscnt 0x0
	v_mul_f32_e32 v16, v13, v15
	v_mul_f32_e32 v13, v13, v14
	s_delay_alu instid0(VALU_DEP_2) | instskip(NEXT) | instid1(VALU_DEP_1)
	v_fma_f32 v14, v12, v14, -v16
	v_dual_fmac_f32 v13, v12, v15 :: v_dual_mov_b32 v12, v14
.LBB191_4:                              ;   in Loop: Header=BB191_6 Depth=1
	s_wait_alu 0xfffe
	s_or_b32 exec_lo, exec_lo, s30
	flat_store_b64 v[10:11], v[12:13]
.LBB191_5:                              ;   in Loop: Header=BB191_6 Depth=1
	s_or_b32 exec_lo, exec_lo, s42
	s_add_co_i32 s18, s18, 0x10000
	s_delay_alu instid0(SALU_CYCLE_1)
	s_cmp_lt_u32 s18, s16
	s_cbranch_scc0 .LBB191_46
.LBB191_6:                              ; =>This Loop Header: Depth=1
                                        ;     Child Loop BB191_12 Depth 2
                                        ;     Child Loop BB191_27 Depth 2
	s_lshl_b64 s[2:3], s[18:19], 3
	v_cmp_ne_u32_e32 vcc_lo, 1, v0
	s_wait_alu 0xfffe
	s_add_nc_u64 s[30:31], s[8:9], s[2:3]
	s_add_nc_u64 s[2:3], s[12:13], s[2:3]
	global_load_b64 v[12:13], v3, s[30:31]
	s_wait_loadcnt 0x1
	global_load_b64 v[10:11], v3, s[2:3]
	s_and_b32 vcc_lo, exec_lo, vcc_lo
	s_wait_loadcnt 0x1
	v_add_co_u32 v14, s2, v12, s10
	s_wait_alu 0xf1fe
	v_add_co_ci_u32_e64 v15, null, s11, v13, s2
	s_mov_b64 s[2:3], s[20:21]
	s_cbranch_vccz .LBB191_8
; %bb.7:                                ;   in Loop: Header=BB191_6 Depth=1
	s_and_saveexec_b32 s42, s38
	s_cbranch_execz .LBB191_5
	s_branch .LBB191_23
.LBB191_8:                              ;   in Loop: Header=BB191_6 Depth=1
	s_and_not1_b32 vcc_lo, exec_lo, s39
	s_wait_alu 0xfffe
	s_cbranch_vccnz .LBB191_22
; %bb.9:                                ;   in Loop: Header=BB191_6 Depth=1
	v_add_co_u32 v19, vcc_lo, v14, v25
	s_wait_alu 0xfffd
	v_add_co_ci_u32_e64 v20, null, 0, v15, vcc_lo
	v_mov_b32_e32 v14, v1
	s_delay_alu instid0(VALU_DEP_3) | instskip(SKIP_1) | instid1(VALU_DEP_3)
	v_add_co_u32 v12, vcc_lo, v19, v4
	s_wait_alu 0xfffd
	v_add_co_ci_u32_e64 v13, null, v20, v5, vcc_lo
	s_mov_b32 s30, s33
	s_branch .LBB191_12
.LBB191_10:                             ;   in Loop: Header=BB191_12 Depth=2
	s_wait_alu 0xfffe
	s_or_b32 exec_lo, exec_lo, s3
	s_load_b32 s3, s[24:25], 0xc
	s_wait_kmcnt 0x0
	s_and_b32 s3, s3, 0xffff
	s_wait_alu 0xfffe
	v_mul_u32_u24_e32 v15, s3, v2
	s_delay_alu instid0(VALU_DEP_1)
	v_lshl_add_u32 v15, v15, 3, v22
	ds_store_b64 v15, v[17:18]
.LBB191_11:                             ;   in Loop: Header=BB191_12 Depth=2
	s_wait_alu 0xfffe
	s_or_b32 exec_lo, exec_lo, s2
	s_ashr_i32 s31, s30, 31
	v_add_nc_u32_e32 v14, s33, v14
	s_wait_alu 0xfffe
	v_cmp_le_i64_e64 s2, s[4:5], s[30:31]
	s_add_co_i32 s30, s30, s33
	s_and_b32 vcc_lo, exec_lo, s2
	s_wait_alu 0xfffe
	s_cbranch_vccnz .LBB191_22
.LBB191_12:                             ;   Parent Loop BB191_6 Depth=1
                                        ; =>  This Inner Loop Header: Depth=2
	s_mov_b32 s31, s37
	s_and_saveexec_b32 s3, s0
	s_cbranch_execz .LBB191_16
; %bb.13:                               ;   in Loop: Header=BB191_12 Depth=2
	v_ashrrev_i32_e32 v15, 31, v14
	v_cmp_lt_i32_e64 s2, v2, v14
	s_mov_b32 s31, -1
	v_cmp_gt_i64_e32 vcc_lo, s[4:5], v[14:15]
	s_wait_alu 0xfffe
	s_and_b32 s34, s2, vcc_lo
	s_wait_alu 0xfffe
	s_and_saveexec_b32 s2, s34
	s_cbranch_execz .LBB191_15
; %bb.14:                               ;   in Loop: Header=BB191_12 Depth=2
	v_mul_lo_u32 v17, s21, v14
	v_mul_lo_u32 v18, s20, v15
	v_mad_co_u64_u32 v[15:16], null, s20, v14, 0
	s_load_b32 s31, s[24:25], 0xc
	v_add3_u32 v16, v16, v18, v17
	s_delay_alu instid0(VALU_DEP_1) | instskip(NEXT) | instid1(VALU_DEP_1)
	v_lshlrev_b64_e32 v[15:16], 3, v[15:16]
	v_add_co_u32 v15, vcc_lo, v19, v15
	s_wait_alu 0xfffd
	s_delay_alu instid0(VALU_DEP_2)
	v_add_co_ci_u32_e64 v16, null, v20, v16, vcc_lo
	s_wait_kmcnt 0x0
	s_and_b32 s31, s31, 0xffff
	s_wait_alu 0xfffe
	v_mul_lo_u32 v17, v14, s31
	flat_load_b64 v[15:16], v[15:16]
	s_xor_b32 s31, exec_lo, -1
	v_lshl_add_u32 v17, v17, 3, v22
	s_wait_loadcnt_dscnt 0x0
	ds_store_b64 v17, v[15:16]
.LBB191_15:                             ;   in Loop: Header=BB191_12 Depth=2
	s_wait_alu 0xfffe
	s_or_b32 exec_lo, exec_lo, s2
	s_delay_alu instid0(SALU_CYCLE_1)
	s_and_not1_b32 s2, s37, exec_lo
	s_and_b32 s31, s31, exec_lo
	s_wait_alu 0xfffe
	s_or_b32 s31, s2, s31
.LBB191_16:                             ;   in Loop: Header=BB191_12 Depth=2
	s_wait_alu 0xfffe
	s_or_b32 exec_lo, exec_lo, s3
	s_and_saveexec_b32 s2, s31
	s_cbranch_execz .LBB191_11
; %bb.17:                               ;   in Loop: Header=BB191_12 Depth=2
	v_cmp_eq_u32_e32 vcc_lo, v2, v14
	s_and_b32 s3, s41, vcc_lo
	s_wait_alu 0xfffe
	s_and_b32 exec_lo, exec_lo, s3
	s_cbranch_execz .LBB191_11
; %bb.18:                               ;   in Loop: Header=BB191_12 Depth=2
	flat_load_b64 v[15:16], v[12:13]
                                        ; implicit-def: $vgpr17
	s_wait_loadcnt_dscnt 0x0
	v_cmp_ngt_f32_e64 s3, |v15|, |v16|
	s_and_saveexec_b32 s31, s3
	s_wait_alu 0xfffe
	s_xor_b32 s3, exec_lo, s31
	s_cbranch_execz .LBB191_20
; %bb.19:                               ;   in Loop: Header=BB191_12 Depth=2
	v_div_scale_f32 v17, null, v16, v16, v15
	v_div_scale_f32 v26, vcc_lo, v15, v16, v15
	s_delay_alu instid0(VALU_DEP_2) | instskip(NEXT) | instid1(TRANS32_DEP_1)
	v_rcp_f32_e32 v18, v17
	v_fma_f32 v21, -v17, v18, 1.0
	s_delay_alu instid0(VALU_DEP_1) | instskip(NEXT) | instid1(VALU_DEP_1)
	v_fmac_f32_e32 v18, v21, v18
	v_mul_f32_e32 v21, v26, v18
	s_delay_alu instid0(VALU_DEP_1) | instskip(NEXT) | instid1(VALU_DEP_1)
	v_fma_f32 v27, -v17, v21, v26
	v_fmac_f32_e32 v21, v27, v18
	s_delay_alu instid0(VALU_DEP_1) | instskip(SKIP_1) | instid1(VALU_DEP_1)
	v_fma_f32 v17, -v17, v21, v26
	s_wait_alu 0xfffd
	v_div_fmas_f32 v17, v17, v18, v21
	s_delay_alu instid0(VALU_DEP_1) | instskip(NEXT) | instid1(VALU_DEP_1)
	v_div_fixup_f32 v17, v17, v16, v15
	v_fmac_f32_e32 v16, v15, v17
	s_delay_alu instid0(VALU_DEP_1) | instskip(SKIP_1) | instid1(VALU_DEP_2)
	v_div_scale_f32 v15, null, v16, v16, 1.0
	v_div_scale_f32 v26, vcc_lo, 1.0, v16, 1.0
	v_rcp_f32_e32 v18, v15
	s_delay_alu instid0(TRANS32_DEP_1) | instskip(NEXT) | instid1(VALU_DEP_1)
	v_fma_f32 v21, -v15, v18, 1.0
	v_fmac_f32_e32 v18, v21, v18
	s_delay_alu instid0(VALU_DEP_1) | instskip(NEXT) | instid1(VALU_DEP_1)
	v_mul_f32_e32 v21, v26, v18
	v_fma_f32 v27, -v15, v21, v26
	s_delay_alu instid0(VALU_DEP_1) | instskip(NEXT) | instid1(VALU_DEP_1)
	v_fmac_f32_e32 v21, v27, v18
	v_fma_f32 v15, -v15, v21, v26
	s_wait_alu 0xfffd
	s_delay_alu instid0(VALU_DEP_1) | instskip(NEXT) | instid1(VALU_DEP_1)
	v_div_fmas_f32 v15, v15, v18, v21
	v_div_fixup_f32 v15, v15, v16, 1.0
	s_delay_alu instid0(VALU_DEP_1)
	v_mul_f32_e32 v17, v17, v15
	v_xor_b32_e32 v18, 0x80000000, v15
                                        ; implicit-def: $vgpr15_vgpr16
.LBB191_20:                             ;   in Loop: Header=BB191_12 Depth=2
	s_wait_alu 0xfffe
	s_and_not1_saveexec_b32 s3, s3
	s_cbranch_execz .LBB191_10
; %bb.21:                               ;   in Loop: Header=BB191_12 Depth=2
	v_div_scale_f32 v17, null, v15, v15, v16
	v_div_scale_f32 v26, vcc_lo, v16, v15, v16
	s_delay_alu instid0(VALU_DEP_2) | instskip(NEXT) | instid1(TRANS32_DEP_1)
	v_rcp_f32_e32 v18, v17
	v_fma_f32 v21, -v17, v18, 1.0
	s_delay_alu instid0(VALU_DEP_1) | instskip(NEXT) | instid1(VALU_DEP_1)
	v_fmac_f32_e32 v18, v21, v18
	v_mul_f32_e32 v21, v26, v18
	s_delay_alu instid0(VALU_DEP_1) | instskip(NEXT) | instid1(VALU_DEP_1)
	v_fma_f32 v27, -v17, v21, v26
	v_fmac_f32_e32 v21, v27, v18
	s_delay_alu instid0(VALU_DEP_1) | instskip(SKIP_1) | instid1(VALU_DEP_1)
	v_fma_f32 v17, -v17, v21, v26
	s_wait_alu 0xfffd
	v_div_fmas_f32 v17, v17, v18, v21
	s_delay_alu instid0(VALU_DEP_1) | instskip(NEXT) | instid1(VALU_DEP_1)
	v_div_fixup_f32 v18, v17, v15, v16
	v_fmac_f32_e32 v15, v16, v18
	s_delay_alu instid0(VALU_DEP_1) | instskip(NEXT) | instid1(VALU_DEP_1)
	v_div_scale_f32 v16, null, v15, v15, 1.0
	v_rcp_f32_e32 v17, v16
	s_delay_alu instid0(TRANS32_DEP_1) | instskip(NEXT) | instid1(VALU_DEP_1)
	v_fma_f32 v21, -v16, v17, 1.0
	v_fmac_f32_e32 v17, v21, v17
	v_div_scale_f32 v21, vcc_lo, 1.0, v15, 1.0
	s_delay_alu instid0(VALU_DEP_1) | instskip(NEXT) | instid1(VALU_DEP_1)
	v_mul_f32_e32 v26, v21, v17
	v_fma_f32 v27, -v16, v26, v21
	s_delay_alu instid0(VALU_DEP_1) | instskip(NEXT) | instid1(VALU_DEP_1)
	v_fmac_f32_e32 v26, v27, v17
	v_fma_f32 v16, -v16, v26, v21
	s_wait_alu 0xfffd
	s_delay_alu instid0(VALU_DEP_1) | instskip(NEXT) | instid1(VALU_DEP_1)
	v_div_fmas_f32 v16, v16, v17, v26
	v_div_fixup_f32 v17, v16, v15, 1.0
	s_delay_alu instid0(VALU_DEP_1)
	v_mul_f32_e64 v18, v18, -v17
	s_branch .LBB191_10
.LBB191_22:                             ;   in Loop: Header=BB191_6 Depth=1
	s_load_b32 s2, s[24:25], 0xc
	v_dual_mov_b32 v14, s26 :: v_dual_mov_b32 v15, s27
	s_mov_b32 s3, s19
	s_wait_kmcnt 0x0
	s_and_b32 s2, s2, 0xffff
	s_and_saveexec_b32 s42, s38
	s_cbranch_execz .LBB191_5
.LBB191_23:                             ;   in Loop: Header=BB191_6 Depth=1
	s_wait_loadcnt 0x0
	v_add_co_u32 v10, vcc_lo, v10, s14
	s_wait_alu 0xfffd
	v_add_co_ci_u32_e64 v11, null, s15, v11, vcc_lo
	s_delay_alu instid0(VALU_DEP_2) | instskip(SKIP_1) | instid1(VALU_DEP_2)
	v_add_co_u32 v10, vcc_lo, v10, v6
	s_wait_alu 0xfffd
	v_add_co_ci_u32_e64 v11, null, v11, v7, vcc_lo
	s_delay_alu instid0(VALU_DEP_2) | instskip(SKIP_1) | instid1(VALU_DEP_2)
	v_add_co_u32 v10, vcc_lo, v10, v8
	s_wait_alu 0xfffd
	v_add_co_ci_u32_e64 v11, null, v11, v9, vcc_lo
	s_and_not1_b32 vcc_lo, exec_lo, s40
	flat_load_b64 v[16:17], v[10:11]
	s_wait_loadcnt_dscnt 0x0
	v_mul_f32_e32 v13, s22, v17
	s_delay_alu instid0(VALU_DEP_1) | instskip(NEXT) | instid1(VALU_DEP_1)
	v_dual_mul_f32 v12, s23, v17 :: v_dual_fmac_f32 v13, s23, v16
	v_fma_f32 v12, s22, v16, -v12
	s_wait_alu 0xfffe
	s_cbranch_vccnz .LBB191_40
; %bb.24:                               ;   in Loop: Header=BB191_6 Depth=1
	v_mad_co_u64_u32 v[18:19], null, v2, s2, v[2:3]
	v_add_co_u32 v20, vcc_lo, v14, v24
	s_wait_alu 0xfffd
	v_add_co_ci_u32_e64 v21, null, 0, v15, vcc_lo
	s_mul_i32 s30, s29, s2
	s_mul_i32 s31, s28, s3
	v_mov_b32_e32 v16, v19
	s_mov_b64 s[34:35], s[6:7]
	s_delay_alu instid0(VALU_DEP_1) | instskip(NEXT) | instid1(VALU_DEP_1)
	v_mad_co_u64_u32 v[16:17], null, v2, s3, v[16:17]
	v_mov_b32_e32 v19, v16
	v_mad_co_u64_u32 v[16:17], null, s28, s2, v[20:21]
	s_delay_alu instid0(VALU_DEP_2) | instskip(SKIP_1) | instid1(VALU_DEP_2)
	v_lshlrev_b64_e32 v[18:19], 3, v[18:19]
	s_wait_alu 0xfffe
	v_add3_u32 v17, s31, s30, v17
	s_lshl_b64 s[30:31], s[2:3], 3
	s_delay_alu instid0(VALU_DEP_2)
	v_add_co_u32 v18, vcc_lo, v14, v18
	s_wait_alu 0xfffd
	v_add_co_ci_u32_e64 v19, null, v15, v19, vcc_lo
	s_wait_alu 0xfffe
	s_sub_nc_u64 s[30:31], 0, s[30:31]
	s_branch .LBB191_27
.LBB191_25:                             ;   in Loop: Header=BB191_27 Depth=2
	ds_load_b64 v[26:27], v23
	s_wait_loadcnt_dscnt 0x0
	v_dual_mul_f32 v28, v21, v27 :: v_dual_mul_f32 v27, v27, v20
	s_delay_alu instid0(VALU_DEP_1) | instskip(NEXT) | instid1(VALU_DEP_1)
	v_fma_f32 v20, v26, v20, -v28
	v_dual_fmac_f32 v27, v21, v26 :: v_dual_sub_f32 v12, v12, v20
	s_delay_alu instid0(VALU_DEP_1)
	v_sub_f32_e32 v13, v13, v27
.LBB191_26:                             ;   in Loop: Header=BB191_27 Depth=2
	s_or_b32 exec_lo, exec_lo, s43
	s_add_nc_u64 s[44:45], s[34:35], 1
	s_wait_alu 0xfffe
	v_add_co_u32 v16, vcc_lo, v16, s30
	v_cmp_lt_u64_e64 s43, s[44:45], 3
	s_wait_alu 0xfffd
	v_add_co_ci_u32_e64 v17, null, s31, v17, vcc_lo
	s_add_nc_u64 s[34:35], s[34:35], -1
	s_and_b32 vcc_lo, exec_lo, s43
	s_wait_alu 0xfffe
	s_cbranch_vccnz .LBB191_40
.LBB191_27:                             ;   Parent Loop BB191_6 Depth=1
                                        ; =>  This Inner Loop Header: Depth=2
	s_mov_b32 s43, exec_lo
	s_barrier_signal -1
	s_barrier_wait -1
	global_inv scope:SCOPE_SE
	v_cmpx_eq_u64_e64 s[34:35], v[2:3]
	s_cbranch_execz .LBB191_35
; %bb.28:                               ;   in Loop: Header=BB191_27 Depth=2
	flat_load_b64 v[20:21], v[18:19]
	s_and_not1_b32 vcc_lo, exec_lo, s17
	s_wait_alu 0xfffe
	s_cbranch_vccnz .LBB191_34
; %bb.29:                               ;   in Loop: Header=BB191_27 Depth=2
	s_wait_loadcnt_dscnt 0x0
	v_cmp_ngt_f32_e64 s44, |v20|, |v21|
	s_and_saveexec_b32 s45, s44
	s_wait_alu 0xfffe
	s_xor_b32 s44, exec_lo, s45
	s_cbranch_execz .LBB191_31
; %bb.30:                               ;   in Loop: Header=BB191_27 Depth=2
	v_div_scale_f32 v26, null, v21, v21, v20
	v_div_scale_f32 v29, vcc_lo, v20, v21, v20
	s_delay_alu instid0(VALU_DEP_2) | instskip(NEXT) | instid1(TRANS32_DEP_1)
	v_rcp_f32_e32 v27, v26
	v_fma_f32 v28, -v26, v27, 1.0
	s_delay_alu instid0(VALU_DEP_1) | instskip(NEXT) | instid1(VALU_DEP_1)
	v_fmac_f32_e32 v27, v28, v27
	v_mul_f32_e32 v28, v29, v27
	s_delay_alu instid0(VALU_DEP_1) | instskip(NEXT) | instid1(VALU_DEP_1)
	v_fma_f32 v30, -v26, v28, v29
	v_fmac_f32_e32 v28, v30, v27
	s_delay_alu instid0(VALU_DEP_1) | instskip(SKIP_1) | instid1(VALU_DEP_1)
	v_fma_f32 v26, -v26, v28, v29
	s_wait_alu 0xfffd
	v_div_fmas_f32 v26, v26, v27, v28
	s_delay_alu instid0(VALU_DEP_1) | instskip(NEXT) | instid1(VALU_DEP_1)
	v_div_fixup_f32 v26, v26, v21, v20
	v_fmac_f32_e32 v21, v20, v26
	s_delay_alu instid0(VALU_DEP_1) | instskip(SKIP_1) | instid1(VALU_DEP_2)
	v_div_scale_f32 v20, null, v21, v21, 1.0
	v_div_scale_f32 v29, vcc_lo, 1.0, v21, 1.0
	v_rcp_f32_e32 v27, v20
	s_delay_alu instid0(TRANS32_DEP_1) | instskip(NEXT) | instid1(VALU_DEP_1)
	v_fma_f32 v28, -v20, v27, 1.0
	v_fmac_f32_e32 v27, v28, v27
	s_delay_alu instid0(VALU_DEP_1) | instskip(NEXT) | instid1(VALU_DEP_1)
	v_mul_f32_e32 v28, v29, v27
	v_fma_f32 v30, -v20, v28, v29
	s_delay_alu instid0(VALU_DEP_1) | instskip(NEXT) | instid1(VALU_DEP_1)
	v_fmac_f32_e32 v28, v30, v27
	v_fma_f32 v20, -v20, v28, v29
	s_wait_alu 0xfffd
	s_delay_alu instid0(VALU_DEP_1) | instskip(NEXT) | instid1(VALU_DEP_1)
	v_div_fmas_f32 v20, v20, v27, v28
	v_div_fixup_f32 v21, v20, v21, 1.0
	s_delay_alu instid0(VALU_DEP_1)
	v_mul_f32_e32 v20, v26, v21
	v_xor_b32_e32 v21, 0x80000000, v21
.LBB191_31:                             ;   in Loop: Header=BB191_27 Depth=2
	s_wait_alu 0xfffe
	s_and_not1_saveexec_b32 s44, s44
	s_cbranch_execz .LBB191_33
; %bb.32:                               ;   in Loop: Header=BB191_27 Depth=2
	s_delay_alu instid0(VALU_DEP_1) | instskip(SKIP_1) | instid1(VALU_DEP_2)
	v_div_scale_f32 v26, null, v20, v20, v21
	v_div_scale_f32 v29, vcc_lo, v21, v20, v21
	v_rcp_f32_e32 v27, v26
	s_delay_alu instid0(TRANS32_DEP_1) | instskip(NEXT) | instid1(VALU_DEP_1)
	v_fma_f32 v28, -v26, v27, 1.0
	v_fmac_f32_e32 v27, v28, v27
	s_delay_alu instid0(VALU_DEP_1) | instskip(NEXT) | instid1(VALU_DEP_1)
	v_mul_f32_e32 v28, v29, v27
	v_fma_f32 v30, -v26, v28, v29
	s_delay_alu instid0(VALU_DEP_1) | instskip(NEXT) | instid1(VALU_DEP_1)
	v_fmac_f32_e32 v28, v30, v27
	v_fma_f32 v26, -v26, v28, v29
	s_wait_alu 0xfffd
	s_delay_alu instid0(VALU_DEP_1) | instskip(NEXT) | instid1(VALU_DEP_1)
	v_div_fmas_f32 v26, v26, v27, v28
	v_div_fixup_f32 v26, v26, v20, v21
	s_delay_alu instid0(VALU_DEP_1) | instskip(NEXT) | instid1(VALU_DEP_1)
	v_fmac_f32_e32 v20, v21, v26
	v_div_scale_f32 v21, null, v20, v20, 1.0
	s_delay_alu instid0(VALU_DEP_1) | instskip(NEXT) | instid1(TRANS32_DEP_1)
	v_rcp_f32_e32 v27, v21
	v_fma_f32 v28, -v21, v27, 1.0
	s_delay_alu instid0(VALU_DEP_1) | instskip(SKIP_1) | instid1(VALU_DEP_1)
	v_fmac_f32_e32 v27, v28, v27
	v_div_scale_f32 v28, vcc_lo, 1.0, v20, 1.0
	v_mul_f32_e32 v29, v28, v27
	s_delay_alu instid0(VALU_DEP_1) | instskip(NEXT) | instid1(VALU_DEP_1)
	v_fma_f32 v30, -v21, v29, v28
	v_fmac_f32_e32 v29, v30, v27
	s_delay_alu instid0(VALU_DEP_1) | instskip(SKIP_1) | instid1(VALU_DEP_1)
	v_fma_f32 v21, -v21, v29, v28
	s_wait_alu 0xfffd
	v_div_fmas_f32 v21, v21, v27, v29
	s_delay_alu instid0(VALU_DEP_1) | instskip(NEXT) | instid1(VALU_DEP_1)
	v_div_fixup_f32 v20, v21, v20, 1.0
	v_mul_f32_e64 v21, v26, -v20
.LBB191_33:                             ;   in Loop: Header=BB191_27 Depth=2
	s_wait_alu 0xfffe
	s_or_b32 exec_lo, exec_lo, s44
.LBB191_34:                             ;   in Loop: Header=BB191_27 Depth=2
	s_wait_loadcnt_dscnt 0x0
	s_delay_alu instid0(VALU_DEP_1) | instskip(SKIP_1) | instid1(VALU_DEP_1)
	v_mul_f32_e32 v27, v12, v21
	v_mul_f32_e32 v21, v13, v21
	v_fma_f32 v26, v12, v20, -v21
	s_delay_alu instid0(VALU_DEP_1) | instskip(NEXT) | instid1(VALU_DEP_1)
	v_dual_mov_b32 v12, v26 :: v_dual_fmac_f32 v27, v13, v20
	v_mov_b32_e32 v13, v27
	ds_store_b64 v23, v[26:27]
.LBB191_35:                             ;   in Loop: Header=BB191_27 Depth=2
	s_or_b32 exec_lo, exec_lo, s43
	s_delay_alu instid0(SALU_CYCLE_1)
	s_mov_b32 s43, exec_lo
	s_wait_loadcnt_dscnt 0x0
	s_barrier_signal -1
	s_barrier_wait -1
	global_inv scope:SCOPE_SE
	v_cmpx_gt_i64_e64 s[34:35], v[2:3]
	s_cbranch_execz .LBB191_26
; %bb.36:                               ;   in Loop: Header=BB191_27 Depth=2
	s_and_b32 vcc_lo, exec_lo, s36
	s_mov_b32 s44, -1
                                        ; implicit-def: $vgpr20
	s_wait_alu 0xfffe
	s_cbranch_vccz .LBB191_38
; %bb.37:                               ;   in Loop: Header=BB191_27 Depth=2
	flat_load_b64 v[20:21], v[16:17] offset:-4
	s_mov_b32 s44, 0
.LBB191_38:                             ;   in Loop: Header=BB191_27 Depth=2
	s_wait_alu 0xfffe
	s_and_not1_b32 vcc_lo, exec_lo, s44
	s_wait_alu 0xfffe
	s_cbranch_vccnz .LBB191_25
; %bb.39:                               ;   in Loop: Header=BB191_27 Depth=2
	s_wait_loadcnt_dscnt 0x0
	flat_load_b64 v[20:21], v[16:17] offset:-4
	s_wait_loadcnt_dscnt 0x0
	v_xor_b32_e32 v21, 0x80000000, v21
	s_branch .LBB191_25
.LBB191_40:                             ;   in Loop: Header=BB191_6 Depth=1
	s_and_saveexec_b32 s30, s1
	s_cbranch_execz .LBB191_4
; %bb.41:                               ;   in Loop: Header=BB191_6 Depth=1
	v_mad_co_u64_u32 v[16:17], null, v2, s2, v[2:3]
	s_delay_alu instid0(VALU_DEP_1) | instskip(NEXT) | instid1(VALU_DEP_1)
	v_mad_co_u64_u32 v[17:18], null, v2, s3, v[17:18]
	v_lshlrev_b64_e32 v[16:17], 3, v[16:17]
	s_delay_alu instid0(VALU_DEP_1) | instskip(SKIP_1) | instid1(VALU_DEP_2)
	v_add_co_u32 v14, vcc_lo, v14, v16
	s_wait_alu 0xfffd
	v_add_co_ci_u32_e64 v15, null, v15, v17, vcc_lo
	s_and_not1_b32 vcc_lo, exec_lo, s17
	flat_load_b64 v[14:15], v[14:15]
	s_wait_alu 0xfffe
	s_cbranch_vccnz .LBB191_3
; %bb.42:                               ;   in Loop: Header=BB191_6 Depth=1
	s_wait_loadcnt_dscnt 0x0
	v_cmp_ngt_f32_e64 s2, |v14|, |v15|
	s_and_saveexec_b32 s3, s2
	s_wait_alu 0xfffe
	s_xor_b32 s2, exec_lo, s3
	s_cbranch_execz .LBB191_44
; %bb.43:                               ;   in Loop: Header=BB191_6 Depth=1
	v_div_scale_f32 v16, null, v15, v15, v14
	v_div_scale_f32 v19, vcc_lo, v14, v15, v14
	s_delay_alu instid0(VALU_DEP_2) | instskip(NEXT) | instid1(TRANS32_DEP_1)
	v_rcp_f32_e32 v17, v16
	v_fma_f32 v18, -v16, v17, 1.0
	s_delay_alu instid0(VALU_DEP_1) | instskip(NEXT) | instid1(VALU_DEP_1)
	v_fmac_f32_e32 v17, v18, v17
	v_mul_f32_e32 v18, v19, v17
	s_delay_alu instid0(VALU_DEP_1) | instskip(NEXT) | instid1(VALU_DEP_1)
	v_fma_f32 v20, -v16, v18, v19
	v_fmac_f32_e32 v18, v20, v17
	s_delay_alu instid0(VALU_DEP_1) | instskip(SKIP_1) | instid1(VALU_DEP_1)
	v_fma_f32 v16, -v16, v18, v19
	s_wait_alu 0xfffd
	v_div_fmas_f32 v16, v16, v17, v18
	s_delay_alu instid0(VALU_DEP_1) | instskip(NEXT) | instid1(VALU_DEP_1)
	v_div_fixup_f32 v16, v16, v15, v14
	v_fmac_f32_e32 v15, v14, v16
	s_delay_alu instid0(VALU_DEP_1) | instskip(SKIP_1) | instid1(VALU_DEP_2)
	v_div_scale_f32 v14, null, v15, v15, 1.0
	v_div_scale_f32 v19, vcc_lo, 1.0, v15, 1.0
	v_rcp_f32_e32 v17, v14
	s_delay_alu instid0(TRANS32_DEP_1) | instskip(NEXT) | instid1(VALU_DEP_1)
	v_fma_f32 v18, -v14, v17, 1.0
	v_fmac_f32_e32 v17, v18, v17
	s_delay_alu instid0(VALU_DEP_1) | instskip(NEXT) | instid1(VALU_DEP_1)
	v_mul_f32_e32 v18, v19, v17
	v_fma_f32 v20, -v14, v18, v19
	s_delay_alu instid0(VALU_DEP_1) | instskip(NEXT) | instid1(VALU_DEP_1)
	v_fmac_f32_e32 v18, v20, v17
	v_fma_f32 v14, -v14, v18, v19
	s_wait_alu 0xfffd
	s_delay_alu instid0(VALU_DEP_1) | instskip(NEXT) | instid1(VALU_DEP_1)
	v_div_fmas_f32 v14, v14, v17, v18
	v_div_fixup_f32 v15, v14, v15, 1.0
	s_delay_alu instid0(VALU_DEP_1)
	v_mul_f32_e32 v14, v16, v15
	v_xor_b32_e32 v15, 0x80000000, v15
.LBB191_44:                             ;   in Loop: Header=BB191_6 Depth=1
	s_wait_alu 0xfffe
	s_and_not1_saveexec_b32 s2, s2
	s_cbranch_execz .LBB191_2
; %bb.45:                               ;   in Loop: Header=BB191_6 Depth=1
	s_delay_alu instid0(VALU_DEP_1) | instskip(SKIP_1) | instid1(VALU_DEP_2)
	v_div_scale_f32 v16, null, v14, v14, v15
	v_div_scale_f32 v19, vcc_lo, v15, v14, v15
	v_rcp_f32_e32 v17, v16
	s_delay_alu instid0(TRANS32_DEP_1) | instskip(NEXT) | instid1(VALU_DEP_1)
	v_fma_f32 v18, -v16, v17, 1.0
	v_fmac_f32_e32 v17, v18, v17
	s_delay_alu instid0(VALU_DEP_1) | instskip(NEXT) | instid1(VALU_DEP_1)
	v_mul_f32_e32 v18, v19, v17
	v_fma_f32 v20, -v16, v18, v19
	s_delay_alu instid0(VALU_DEP_1) | instskip(NEXT) | instid1(VALU_DEP_1)
	v_fmac_f32_e32 v18, v20, v17
	v_fma_f32 v16, -v16, v18, v19
	s_wait_alu 0xfffd
	s_delay_alu instid0(VALU_DEP_1) | instskip(NEXT) | instid1(VALU_DEP_1)
	v_div_fmas_f32 v16, v16, v17, v18
	v_div_fixup_f32 v16, v16, v14, v15
	s_delay_alu instid0(VALU_DEP_1) | instskip(NEXT) | instid1(VALU_DEP_1)
	v_fmac_f32_e32 v14, v15, v16
	v_div_scale_f32 v15, null, v14, v14, 1.0
	s_delay_alu instid0(VALU_DEP_1) | instskip(NEXT) | instid1(TRANS32_DEP_1)
	v_rcp_f32_e32 v17, v15
	v_fma_f32 v18, -v15, v17, 1.0
	s_delay_alu instid0(VALU_DEP_1) | instskip(SKIP_1) | instid1(VALU_DEP_1)
	v_fmac_f32_e32 v17, v18, v17
	v_div_scale_f32 v18, vcc_lo, 1.0, v14, 1.0
	v_mul_f32_e32 v19, v18, v17
	s_delay_alu instid0(VALU_DEP_1) | instskip(NEXT) | instid1(VALU_DEP_1)
	v_fma_f32 v20, -v15, v19, v18
	v_fmac_f32_e32 v19, v20, v17
	s_delay_alu instid0(VALU_DEP_1) | instskip(SKIP_1) | instid1(VALU_DEP_1)
	v_fma_f32 v15, -v15, v19, v18
	s_wait_alu 0xfffd
	v_div_fmas_f32 v15, v15, v17, v19
	s_delay_alu instid0(VALU_DEP_1) | instskip(NEXT) | instid1(VALU_DEP_1)
	v_div_fixup_f32 v14, v15, v14, 1.0
	v_mul_f32_e64 v15, v16, -v14
	s_branch .LBB191_2
.LBB191_46:
	s_endpgm
	.section	.rodata,"a",@progbits
	.p2align	6, 0x0
	.amdhsa_kernel _ZL40rocblas_trsm_block_backward_substitutionI19rocblas_complex_numIfES1_PKPKS1_PKPS1_Lb1ELb0ELb0EEv18rocblas_operation_llT0_T1_lllT2_lllib
		.amdhsa_group_segment_fixed_size 0
		.amdhsa_private_segment_fixed_size 0
		.amdhsa_kernarg_size 360
		.amdhsa_user_sgpr_count 2
		.amdhsa_user_sgpr_dispatch_ptr 0
		.amdhsa_user_sgpr_queue_ptr 0
		.amdhsa_user_sgpr_kernarg_segment_ptr 1
		.amdhsa_user_sgpr_dispatch_id 0
		.amdhsa_user_sgpr_private_segment_size 0
		.amdhsa_wavefront_size32 1
		.amdhsa_uses_dynamic_stack 0
		.amdhsa_enable_private_segment 0
		.amdhsa_system_sgpr_workgroup_id_x 1
		.amdhsa_system_sgpr_workgroup_id_y 1
		.amdhsa_system_sgpr_workgroup_id_z 1
		.amdhsa_system_sgpr_workgroup_info 0
		.amdhsa_system_vgpr_workitem_id 1
		.amdhsa_next_free_vgpr 31
		.amdhsa_next_free_sgpr 46
		.amdhsa_reserve_vcc 1
		.amdhsa_float_round_mode_32 0
		.amdhsa_float_round_mode_16_64 0
		.amdhsa_float_denorm_mode_32 3
		.amdhsa_float_denorm_mode_16_64 3
		.amdhsa_fp16_overflow 0
		.amdhsa_workgroup_processor_mode 1
		.amdhsa_memory_ordered 1
		.amdhsa_forward_progress 1
		.amdhsa_inst_pref_size 25
		.amdhsa_round_robin_scheduling 0
		.amdhsa_exception_fp_ieee_invalid_op 0
		.amdhsa_exception_fp_denorm_src 0
		.amdhsa_exception_fp_ieee_div_zero 0
		.amdhsa_exception_fp_ieee_overflow 0
		.amdhsa_exception_fp_ieee_underflow 0
		.amdhsa_exception_fp_ieee_inexact 0
		.amdhsa_exception_int_div_zero 0
	.end_amdhsa_kernel
	.section	.text._ZL40rocblas_trsm_block_backward_substitutionI19rocblas_complex_numIfES1_PKPKS1_PKPS1_Lb1ELb0ELb0EEv18rocblas_operation_llT0_T1_lllT2_lllib,"axG",@progbits,_ZL40rocblas_trsm_block_backward_substitutionI19rocblas_complex_numIfES1_PKPKS1_PKPS1_Lb1ELb0ELb0EEv18rocblas_operation_llT0_T1_lllT2_lllib,comdat
.Lfunc_end191:
	.size	_ZL40rocblas_trsm_block_backward_substitutionI19rocblas_complex_numIfES1_PKPKS1_PKPS1_Lb1ELb0ELb0EEv18rocblas_operation_llT0_T1_lllT2_lllib, .Lfunc_end191-_ZL40rocblas_trsm_block_backward_substitutionI19rocblas_complex_numIfES1_PKPKS1_PKPS1_Lb1ELb0ELb0EEv18rocblas_operation_llT0_T1_lllT2_lllib
                                        ; -- End function
	.set _ZL40rocblas_trsm_block_backward_substitutionI19rocblas_complex_numIfES1_PKPKS1_PKPS1_Lb1ELb0ELb0EEv18rocblas_operation_llT0_T1_lllT2_lllib.num_vgpr, 31
	.set _ZL40rocblas_trsm_block_backward_substitutionI19rocblas_complex_numIfES1_PKPKS1_PKPS1_Lb1ELb0ELb0EEv18rocblas_operation_llT0_T1_lllT2_lllib.num_agpr, 0
	.set _ZL40rocblas_trsm_block_backward_substitutionI19rocblas_complex_numIfES1_PKPKS1_PKPS1_Lb1ELb0ELb0EEv18rocblas_operation_llT0_T1_lllT2_lllib.numbered_sgpr, 46
	.set _ZL40rocblas_trsm_block_backward_substitutionI19rocblas_complex_numIfES1_PKPKS1_PKPS1_Lb1ELb0ELb0EEv18rocblas_operation_llT0_T1_lllT2_lllib.num_named_barrier, 0
	.set _ZL40rocblas_trsm_block_backward_substitutionI19rocblas_complex_numIfES1_PKPKS1_PKPS1_Lb1ELb0ELb0EEv18rocblas_operation_llT0_T1_lllT2_lllib.private_seg_size, 0
	.set _ZL40rocblas_trsm_block_backward_substitutionI19rocblas_complex_numIfES1_PKPKS1_PKPS1_Lb1ELb0ELb0EEv18rocblas_operation_llT0_T1_lllT2_lllib.uses_vcc, 1
	.set _ZL40rocblas_trsm_block_backward_substitutionI19rocblas_complex_numIfES1_PKPKS1_PKPS1_Lb1ELb0ELb0EEv18rocblas_operation_llT0_T1_lllT2_lllib.uses_flat_scratch, 0
	.set _ZL40rocblas_trsm_block_backward_substitutionI19rocblas_complex_numIfES1_PKPKS1_PKPS1_Lb1ELb0ELb0EEv18rocblas_operation_llT0_T1_lllT2_lllib.has_dyn_sized_stack, 0
	.set _ZL40rocblas_trsm_block_backward_substitutionI19rocblas_complex_numIfES1_PKPKS1_PKPS1_Lb1ELb0ELb0EEv18rocblas_operation_llT0_T1_lllT2_lllib.has_recursion, 0
	.set _ZL40rocblas_trsm_block_backward_substitutionI19rocblas_complex_numIfES1_PKPKS1_PKPS1_Lb1ELb0ELb0EEv18rocblas_operation_llT0_T1_lllT2_lllib.has_indirect_call, 0
	.section	.AMDGPU.csdata,"",@progbits
; Kernel info:
; codeLenInByte = 3076
; TotalNumSgprs: 48
; NumVgprs: 31
; ScratchSize: 0
; MemoryBound: 0
; FloatMode: 240
; IeeeMode: 1
; LDSByteSize: 0 bytes/workgroup (compile time only)
; SGPRBlocks: 0
; VGPRBlocks: 3
; NumSGPRsForWavesPerEU: 48
; NumVGPRsForWavesPerEU: 31
; Occupancy: 16
; WaveLimiterHint : 1
; COMPUTE_PGM_RSRC2:SCRATCH_EN: 0
; COMPUTE_PGM_RSRC2:USER_SGPR: 2
; COMPUTE_PGM_RSRC2:TRAP_HANDLER: 0
; COMPUTE_PGM_RSRC2:TGID_X_EN: 1
; COMPUTE_PGM_RSRC2:TGID_Y_EN: 1
; COMPUTE_PGM_RSRC2:TGID_Z_EN: 1
; COMPUTE_PGM_RSRC2:TIDIG_COMP_CNT: 1
	.section	.text._ZL39rocblas_trsm_block_forward_substitutionI19rocblas_complex_numIfES1_PKPKS1_PKPS1_Lb1ELb0ELb1EEv18rocblas_operation_llT0_T1_lllT2_lllib,"axG",@progbits,_ZL39rocblas_trsm_block_forward_substitutionI19rocblas_complex_numIfES1_PKPKS1_PKPS1_Lb1ELb0ELb1EEv18rocblas_operation_llT0_T1_lllT2_lllib,comdat
	.globl	_ZL39rocblas_trsm_block_forward_substitutionI19rocblas_complex_numIfES1_PKPKS1_PKPS1_Lb1ELb0ELb1EEv18rocblas_operation_llT0_T1_lllT2_lllib ; -- Begin function _ZL39rocblas_trsm_block_forward_substitutionI19rocblas_complex_numIfES1_PKPKS1_PKPS1_Lb1ELb0ELb1EEv18rocblas_operation_llT0_T1_lllT2_lllib
	.p2align	8
	.type	_ZL39rocblas_trsm_block_forward_substitutionI19rocblas_complex_numIfES1_PKPKS1_PKPS1_Lb1ELb0ELb1EEv18rocblas_operation_llT0_T1_lllT2_lllib,@function
_ZL39rocblas_trsm_block_forward_substitutionI19rocblas_complex_numIfES1_PKPKS1_PKPS1_Lb1ELb0ELb1EEv18rocblas_operation_llT0_T1_lllT2_lllib: ; @_ZL39rocblas_trsm_block_forward_substitutionI19rocblas_complex_numIfES1_PKPKS1_PKPS1_Lb1ELb0ELb1EEv18rocblas_operation_llT0_T1_lllT2_lllib
; %bb.0:
	s_load_b64 s[2:3], s[0:1], 0x60
	s_lshr_b32 s16, ttmp7, 16
	s_wait_kmcnt 0x0
	s_cmp_ge_u32 s16, s2
	s_cbranch_scc1 .LBB192_23
; %bb.1:
	s_clause 0x3
	s_load_b32 s8, s[0:1], 0x0
	s_load_u16 s33, s[0:1], 0x76
	s_load_b64 s[28:29], s[0:1], 0x50
	s_load_b128 s[4:7], s[0:1], 0x8
	s_bitcmp1_b32 s3, 0
	v_bfe_u32 v1, v0, 10, 10
	s_cselect_b32 s3, -1, 0
	v_mov_b32_e32 v3, 0
	s_add_nc_u64 s[20:21], s[0:1], 0x68
	s_mov_b64 s[22:23], src_shared_base
	v_lshl_add_u32 v14, v1, 3, 0
	s_mov_b32 s17, 0
	s_mov_b64 s[24:25], 1
	s_wait_kmcnt 0x0
	s_cmp_lg_u32 s8, 0x71
	s_cselect_b32 s34, -1, 0
	s_and_b32 s8, ttmp7, 0xffff
	v_cmp_gt_i64_e64 s36, s[4:5], 1
	v_mad_co_u64_u32 v[4:5], null, s8, s33, v[1:2]
	s_clause 0x3
	s_load_b64 s[18:19], s[0:1], 0x18
	s_load_b128 s[8:11], s[0:1], 0x20
	s_load_b64 s[26:27], s[0:1], 0x30
	s_load_b128 s[12:15], s[0:1], 0x40
	v_and_b32_e32 v2, 0x3ff, v0
	s_lshl_b32 s1, s33, 3
	v_mov_b32_e32 v5, v3
	s_add_co_i32 s22, s1, 0
	v_cmp_gt_i64_e64 s1, s[4:5], 0
	v_mad_co_u64_u32 v[6:7], null, s28, v4, 0
	v_cmp_gt_i64_e64 s0, s[4:5], v[2:3]
	v_lshlrev_b32_e32 v16, 3, v2
	v_cmp_gt_i64_e32 vcc_lo, s[6:7], v[4:5]
	s_add_nc_u64 s[6:7], s[4:5], -1
	v_mov_b32_e32 v0, v7
	s_and_b32 s35, vcc_lo, s0
	s_wait_kmcnt 0x0
	s_lshl_b64 s[10:11], s[10:11], 3
	s_delay_alu instid0(VALU_DEP_1) | instskip(SKIP_2) | instid1(VALU_DEP_1)
	v_mad_co_u64_u32 v[7:8], null, s29, v4, v[0:1]
	v_lshlrev_b32_e32 v0, 3, v2
	s_lshl_b64 s[14:15], s[14:15], 3
	v_add_nc_u32_e32 v15, s22, v0
	s_delay_alu instid0(VALU_DEP_3)
	v_lshlrev_b64_e32 v[4:5], 3, v[6:7]
	s_branch .LBB192_4
.LBB192_2:                              ;   in Loop: Header=BB192_4 Depth=1
	flat_store_b64 v[6:7], v[8:9]
.LBB192_3:                              ;   in Loop: Header=BB192_4 Depth=1
	s_or_b32 exec_lo, exec_lo, s37
	s_add_co_i32 s16, s16, 0x10000
	s_delay_alu instid0(SALU_CYCLE_1)
	s_cmp_lt_u32 s16, s2
	s_cbranch_scc0 .LBB192_23
.LBB192_4:                              ; =>This Loop Header: Depth=1
                                        ;     Child Loop BB192_9 Depth 2
                                        ;     Child Loop BB192_16 Depth 2
	s_lshl_b64 s[28:29], s[16:17], 3
	s_wait_alu 0xfffe
	s_add_nc_u64 s[30:31], s[8:9], s[28:29]
	s_add_nc_u64 s[28:29], s[12:13], s[28:29]
	global_load_b64 v[8:9], v3, s[30:31]
	s_wait_loadcnt 0x1
	global_load_b64 v[6:7], v3, s[28:29]
	s_wait_loadcnt 0x1
	v_add_co_u32 v10, vcc_lo, v8, s10
	s_wait_alu 0xfffd
	v_add_co_ci_u32_e64 v11, null, s11, v9, vcc_lo
	s_and_not1_b32 vcc_lo, exec_lo, s3
	s_wait_alu 0xfffe
	s_cbranch_vccz .LBB192_6
; %bb.5:                                ;   in Loop: Header=BB192_4 Depth=1
	s_and_saveexec_b32 s37, s35
	s_cbranch_execz .LBB192_3
	s_branch .LBB192_12
.LBB192_6:                              ;   in Loop: Header=BB192_4 Depth=1
	s_and_not1_b32 vcc_lo, exec_lo, s1
	s_wait_alu 0xfffe
	s_cbranch_vccnz .LBB192_11
; %bb.7:                                ;   in Loop: Header=BB192_4 Depth=1
	v_mad_co_u64_u32 v[8:9], null, s26, v2, 0
	s_mov_b32 s26, 0
	v_mad_co_u64_u32 v[12:13], null, s27, v2, v[9:10]
	s_delay_alu instid0(VALU_DEP_1) | instskip(NEXT) | instid1(VALU_DEP_1)
	v_mov_b32_e32 v9, v12
	v_lshlrev_b64_e32 v[8:9], 3, v[8:9]
	s_delay_alu instid0(VALU_DEP_1) | instskip(SKIP_1) | instid1(VALU_DEP_2)
	v_add_co_u32 v8, vcc_lo, v10, v8
	s_wait_alu 0xfffd
	v_add_co_ci_u32_e64 v9, null, v11, v9, vcc_lo
	s_branch .LBB192_9
.LBB192_8:                              ;   in Loop: Header=BB192_9 Depth=2
	s_wait_alu 0xfffe
	s_or_b32 exec_lo, exec_lo, s27
	s_add_co_i32 s26, s26, s33
	s_wait_alu 0xfffe
	s_ashr_i32 s27, s26, 31
	s_wait_alu 0xfffe
	v_cmp_le_i64_e64 s27, s[4:5], s[26:27]
	s_and_b32 vcc_lo, exec_lo, s27
	s_wait_alu 0xfffe
	s_cbranch_vccnz .LBB192_11
.LBB192_9:                              ;   Parent Loop BB192_4 Depth=1
                                        ; =>  This Inner Loop Header: Depth=2
	s_wait_alu 0xfffe
	v_add_nc_u32_e32 v10, s26, v1
	s_delay_alu instid0(VALU_DEP_1)
	v_cmp_gt_i32_e32 vcc_lo, v2, v10
	s_and_b32 s28, s0, vcc_lo
	s_wait_alu 0xfffe
	s_and_saveexec_b32 s27, s28
	s_cbranch_execz .LBB192_8
; %bb.10:                               ;   in Loop: Header=BB192_9 Depth=2
	v_ashrrev_i32_e32 v13, 31, v10
	v_mul_lo_u32 v17, s25, v10
	v_mad_co_u64_u32 v[11:12], null, s24, v10, 0
	s_load_b32 s28, s[20:21], 0xc
	v_mul_lo_u32 v13, s24, v13
	s_delay_alu instid0(VALU_DEP_1) | instskip(NEXT) | instid1(VALU_DEP_1)
	v_add3_u32 v12, v12, v13, v17
	v_lshlrev_b64_e32 v[11:12], 3, v[11:12]
	s_wait_kmcnt 0x0
	s_and_b32 s28, s28, 0xffff
	s_delay_alu instid0(VALU_DEP_1) | instskip(SKIP_1) | instid1(VALU_DEP_2)
	v_add_co_u32 v11, vcc_lo, v8, v11
	s_wait_alu 0xfffd
	v_add_co_ci_u32_e64 v12, null, v9, v12, vcc_lo
	s_wait_alu 0xfffe
	v_mul_lo_u32 v10, v10, s28
	flat_load_b64 v[11:12], v[11:12]
	v_lshl_add_u32 v10, v10, 3, v15
	s_wait_loadcnt_dscnt 0x0
	ds_store_b64 v10, v[11:12]
	s_branch .LBB192_8
.LBB192_11:                             ;   in Loop: Header=BB192_4 Depth=1
	s_load_b32 s24, s[20:21], 0xc
	v_dual_mov_b32 v10, s22 :: v_dual_mov_b32 v11, s23
	s_mov_b32 s25, s17
	s_mov_b64 s[26:27], 1
	s_wait_kmcnt 0x0
	s_and_b32 s24, s24, 0xffff
	s_and_saveexec_b32 s37, s35
	s_cbranch_execz .LBB192_3
.LBB192_12:                             ;   in Loop: Header=BB192_4 Depth=1
	s_wait_loadcnt 0x0
	v_add_co_u32 v6, vcc_lo, v6, s14
	s_wait_alu 0xfffd
	v_add_co_ci_u32_e64 v7, null, s15, v7, vcc_lo
	s_delay_alu instid0(VALU_DEP_2) | instskip(SKIP_1) | instid1(VALU_DEP_2)
	v_add_co_u32 v6, vcc_lo, v6, v4
	s_wait_alu 0xfffd
	v_add_co_ci_u32_e64 v7, null, v7, v5, vcc_lo
	s_delay_alu instid0(VALU_DEP_2) | instskip(SKIP_1) | instid1(VALU_DEP_2)
	v_add_co_u32 v6, vcc_lo, v6, v16
	s_wait_alu 0xfffd
	v_add_co_ci_u32_e64 v7, null, 0, v7, vcc_lo
	s_and_not1_b32 vcc_lo, exec_lo, s36
	flat_load_b64 v[12:13], v[6:7]
	s_wait_loadcnt_dscnt 0x0
	v_mul_f32_e32 v9, s18, v13
	s_delay_alu instid0(VALU_DEP_1) | instskip(NEXT) | instid1(VALU_DEP_1)
	v_dual_mul_f32 v8, s19, v13 :: v_dual_fmac_f32 v9, s19, v12
	v_fma_f32 v8, s18, v12, -v8
	s_wait_alu 0xfffe
	s_cbranch_vccnz .LBB192_2
; %bb.13:                               ;   in Loop: Header=BB192_4 Depth=1
	v_mad_co_u64_u32 v[10:11], null, v0, s26, v[10:11]
	s_lshl_b64 s[28:29], s[24:25], 3
	s_mov_b64 s[30:31], 0
	v_mad_co_u64_u32 v[11:12], null, v0, s27, v[11:12]
	v_add_co_u32 v10, vcc_lo, v10, 4
	s_wait_alu 0xfffd
	s_delay_alu instid0(VALU_DEP_2)
	v_add_co_ci_u32_e64 v11, null, 0, v11, vcc_lo
	s_branch .LBB192_16
.LBB192_14:                             ;   in Loop: Header=BB192_16 Depth=2
	ds_load_b64 v[17:18], v14
	s_wait_loadcnt_dscnt 0x0
	v_dual_mul_f32 v19, v13, v18 :: v_dual_mul_f32 v18, v18, v12
	s_delay_alu instid0(VALU_DEP_1) | instskip(NEXT) | instid1(VALU_DEP_2)
	v_fma_f32 v12, v17, v12, -v19
	v_fmac_f32_e32 v18, v13, v17
	s_delay_alu instid0(VALU_DEP_1)
	v_dual_sub_f32 v8, v8, v12 :: v_dual_sub_f32 v9, v9, v18
.LBB192_15:                             ;   in Loop: Header=BB192_16 Depth=2
	s_or_b32 exec_lo, exec_lo, s38
	s_wait_alu 0xfffe
	v_add_co_u32 v10, vcc_lo, v10, s28
	s_wait_alu 0xfffd
	v_add_co_ci_u32_e64 v11, null, s29, v11, vcc_lo
	s_add_nc_u64 s[30:31], s[30:31], 1
	s_wait_alu 0xfffe
	s_cmp_eq_u64 s[6:7], s[30:31]
	s_cbranch_scc1 .LBB192_2
.LBB192_16:                             ;   Parent Loop BB192_4 Depth=1
                                        ; =>  This Inner Loop Header: Depth=2
	s_mov_b32 s38, exec_lo
	s_barrier_signal -1
	s_barrier_wait -1
	global_inv scope:SCOPE_SE
	s_wait_alu 0xfffe
	v_cmpx_eq_u64_e64 s[30:31], v[2:3]
; %bb.17:                               ;   in Loop: Header=BB192_16 Depth=2
	ds_store_b64 v14, v[8:9]
; %bb.18:                               ;   in Loop: Header=BB192_16 Depth=2
	s_or_b32 exec_lo, exec_lo, s38
	s_delay_alu instid0(SALU_CYCLE_1)
	s_mov_b32 s38, exec_lo
	s_wait_loadcnt_dscnt 0x0
	s_barrier_signal -1
	s_barrier_wait -1
	global_inv scope:SCOPE_SE
	v_cmpx_lt_u64_e64 s[30:31], v[2:3]
	s_cbranch_execz .LBB192_15
; %bb.19:                               ;   in Loop: Header=BB192_16 Depth=2
	s_and_b32 vcc_lo, exec_lo, s34
	s_mov_b32 s39, -1
                                        ; implicit-def: $vgpr12
	s_wait_alu 0xfffe
	s_cbranch_vccz .LBB192_21
; %bb.20:                               ;   in Loop: Header=BB192_16 Depth=2
	flat_load_b64 v[12:13], v[10:11] offset:-4
	s_mov_b32 s39, 0
.LBB192_21:                             ;   in Loop: Header=BB192_16 Depth=2
	s_delay_alu instid0(SALU_CYCLE_1)
	s_and_not1_b32 vcc_lo, exec_lo, s39
	s_wait_alu 0xfffe
	s_cbranch_vccnz .LBB192_14
; %bb.22:                               ;   in Loop: Header=BB192_16 Depth=2
	s_wait_loadcnt_dscnt 0x0
	flat_load_b64 v[12:13], v[10:11] offset:-4
	s_wait_loadcnt_dscnt 0x0
	v_xor_b32_e32 v13, 0x80000000, v13
	s_branch .LBB192_14
.LBB192_23:
	s_endpgm
	.section	.rodata,"a",@progbits
	.p2align	6, 0x0
	.amdhsa_kernel _ZL39rocblas_trsm_block_forward_substitutionI19rocblas_complex_numIfES1_PKPKS1_PKPS1_Lb1ELb0ELb1EEv18rocblas_operation_llT0_T1_lllT2_lllib
		.amdhsa_group_segment_fixed_size 0
		.amdhsa_private_segment_fixed_size 0
		.amdhsa_kernarg_size 360
		.amdhsa_user_sgpr_count 2
		.amdhsa_user_sgpr_dispatch_ptr 0
		.amdhsa_user_sgpr_queue_ptr 0
		.amdhsa_user_sgpr_kernarg_segment_ptr 1
		.amdhsa_user_sgpr_dispatch_id 0
		.amdhsa_user_sgpr_private_segment_size 0
		.amdhsa_wavefront_size32 1
		.amdhsa_uses_dynamic_stack 0
		.amdhsa_enable_private_segment 0
		.amdhsa_system_sgpr_workgroup_id_x 1
		.amdhsa_system_sgpr_workgroup_id_y 1
		.amdhsa_system_sgpr_workgroup_id_z 1
		.amdhsa_system_sgpr_workgroup_info 0
		.amdhsa_system_vgpr_workitem_id 1
		.amdhsa_next_free_vgpr 20
		.amdhsa_next_free_sgpr 40
		.amdhsa_reserve_vcc 1
		.amdhsa_float_round_mode_32 0
		.amdhsa_float_round_mode_16_64 0
		.amdhsa_float_denorm_mode_32 3
		.amdhsa_float_denorm_mode_16_64 3
		.amdhsa_fp16_overflow 0
		.amdhsa_workgroup_processor_mode 1
		.amdhsa_memory_ordered 1
		.amdhsa_forward_progress 1
		.amdhsa_inst_pref_size 10
		.amdhsa_round_robin_scheduling 0
		.amdhsa_exception_fp_ieee_invalid_op 0
		.amdhsa_exception_fp_denorm_src 0
		.amdhsa_exception_fp_ieee_div_zero 0
		.amdhsa_exception_fp_ieee_overflow 0
		.amdhsa_exception_fp_ieee_underflow 0
		.amdhsa_exception_fp_ieee_inexact 0
		.amdhsa_exception_int_div_zero 0
	.end_amdhsa_kernel
	.section	.text._ZL39rocblas_trsm_block_forward_substitutionI19rocblas_complex_numIfES1_PKPKS1_PKPS1_Lb1ELb0ELb1EEv18rocblas_operation_llT0_T1_lllT2_lllib,"axG",@progbits,_ZL39rocblas_trsm_block_forward_substitutionI19rocblas_complex_numIfES1_PKPKS1_PKPS1_Lb1ELb0ELb1EEv18rocblas_operation_llT0_T1_lllT2_lllib,comdat
.Lfunc_end192:
	.size	_ZL39rocblas_trsm_block_forward_substitutionI19rocblas_complex_numIfES1_PKPKS1_PKPS1_Lb1ELb0ELb1EEv18rocblas_operation_llT0_T1_lllT2_lllib, .Lfunc_end192-_ZL39rocblas_trsm_block_forward_substitutionI19rocblas_complex_numIfES1_PKPKS1_PKPS1_Lb1ELb0ELb1EEv18rocblas_operation_llT0_T1_lllT2_lllib
                                        ; -- End function
	.set _ZL39rocblas_trsm_block_forward_substitutionI19rocblas_complex_numIfES1_PKPKS1_PKPS1_Lb1ELb0ELb1EEv18rocblas_operation_llT0_T1_lllT2_lllib.num_vgpr, 20
	.set _ZL39rocblas_trsm_block_forward_substitutionI19rocblas_complex_numIfES1_PKPKS1_PKPS1_Lb1ELb0ELb1EEv18rocblas_operation_llT0_T1_lllT2_lllib.num_agpr, 0
	.set _ZL39rocblas_trsm_block_forward_substitutionI19rocblas_complex_numIfES1_PKPKS1_PKPS1_Lb1ELb0ELb1EEv18rocblas_operation_llT0_T1_lllT2_lllib.numbered_sgpr, 40
	.set _ZL39rocblas_trsm_block_forward_substitutionI19rocblas_complex_numIfES1_PKPKS1_PKPS1_Lb1ELb0ELb1EEv18rocblas_operation_llT0_T1_lllT2_lllib.num_named_barrier, 0
	.set _ZL39rocblas_trsm_block_forward_substitutionI19rocblas_complex_numIfES1_PKPKS1_PKPS1_Lb1ELb0ELb1EEv18rocblas_operation_llT0_T1_lllT2_lllib.private_seg_size, 0
	.set _ZL39rocblas_trsm_block_forward_substitutionI19rocblas_complex_numIfES1_PKPKS1_PKPS1_Lb1ELb0ELb1EEv18rocblas_operation_llT0_T1_lllT2_lllib.uses_vcc, 1
	.set _ZL39rocblas_trsm_block_forward_substitutionI19rocblas_complex_numIfES1_PKPKS1_PKPS1_Lb1ELb0ELb1EEv18rocblas_operation_llT0_T1_lllT2_lllib.uses_flat_scratch, 0
	.set _ZL39rocblas_trsm_block_forward_substitutionI19rocblas_complex_numIfES1_PKPKS1_PKPS1_Lb1ELb0ELb1EEv18rocblas_operation_llT0_T1_lllT2_lllib.has_dyn_sized_stack, 0
	.set _ZL39rocblas_trsm_block_forward_substitutionI19rocblas_complex_numIfES1_PKPKS1_PKPS1_Lb1ELb0ELb1EEv18rocblas_operation_llT0_T1_lllT2_lllib.has_recursion, 0
	.set _ZL39rocblas_trsm_block_forward_substitutionI19rocblas_complex_numIfES1_PKPKS1_PKPS1_Lb1ELb0ELb1EEv18rocblas_operation_llT0_T1_lllT2_lllib.has_indirect_call, 0
	.section	.AMDGPU.csdata,"",@progbits
; Kernel info:
; codeLenInByte = 1192
; TotalNumSgprs: 42
; NumVgprs: 20
; ScratchSize: 0
; MemoryBound: 0
; FloatMode: 240
; IeeeMode: 1
; LDSByteSize: 0 bytes/workgroup (compile time only)
; SGPRBlocks: 0
; VGPRBlocks: 2
; NumSGPRsForWavesPerEU: 42
; NumVGPRsForWavesPerEU: 20
; Occupancy: 16
; WaveLimiterHint : 1
; COMPUTE_PGM_RSRC2:SCRATCH_EN: 0
; COMPUTE_PGM_RSRC2:USER_SGPR: 2
; COMPUTE_PGM_RSRC2:TRAP_HANDLER: 0
; COMPUTE_PGM_RSRC2:TGID_X_EN: 1
; COMPUTE_PGM_RSRC2:TGID_Y_EN: 1
; COMPUTE_PGM_RSRC2:TGID_Z_EN: 1
; COMPUTE_PGM_RSRC2:TIDIG_COMP_CNT: 1
	.section	.text._ZL40rocblas_trsm_block_backward_substitutionI19rocblas_complex_numIfES1_PKPKS1_PKPS1_Lb1ELb0ELb1EEv18rocblas_operation_llT0_T1_lllT2_lllib,"axG",@progbits,_ZL40rocblas_trsm_block_backward_substitutionI19rocblas_complex_numIfES1_PKPKS1_PKPS1_Lb1ELb0ELb1EEv18rocblas_operation_llT0_T1_lllT2_lllib,comdat
	.globl	_ZL40rocblas_trsm_block_backward_substitutionI19rocblas_complex_numIfES1_PKPKS1_PKPS1_Lb1ELb0ELb1EEv18rocblas_operation_llT0_T1_lllT2_lllib ; -- Begin function _ZL40rocblas_trsm_block_backward_substitutionI19rocblas_complex_numIfES1_PKPKS1_PKPS1_Lb1ELb0ELb1EEv18rocblas_operation_llT0_T1_lllT2_lllib
	.p2align	8
	.type	_ZL40rocblas_trsm_block_backward_substitutionI19rocblas_complex_numIfES1_PKPKS1_PKPS1_Lb1ELb0ELb1EEv18rocblas_operation_llT0_T1_lllT2_lllib,@function
_ZL40rocblas_trsm_block_backward_substitutionI19rocblas_complex_numIfES1_PKPKS1_PKPS1_Lb1ELb0ELb1EEv18rocblas_operation_llT0_T1_lllT2_lllib: ; @_ZL40rocblas_trsm_block_backward_substitutionI19rocblas_complex_numIfES1_PKPKS1_PKPS1_Lb1ELb0ELb1EEv18rocblas_operation_llT0_T1_lllT2_lllib
; %bb.0:
	s_load_b64 s[2:3], s[0:1], 0x60
	s_lshr_b32 s16, ttmp7, 16
	s_wait_kmcnt 0x0
	s_cmp_ge_u32 s16, s2
	s_cbranch_scc1 .LBB193_23
; %bb.1:
	s_mov_b64 s[24:25], src_shared_base
	s_clause 0x7
	s_load_b64 s[26:27], s[0:1], 0x50
	s_load_b32 s24, s[0:1], 0x0
	s_load_b128 s[4:7], s[0:1], 0x8
	s_load_b64 s[18:19], s[0:1], 0x18
	s_load_b128 s[8:11], s[0:1], 0x20
	s_load_u16 s33, s[0:1], 0x76
	s_load_b64 s[20:21], s[0:1], 0x30
	s_load_b128 s[12:15], s[0:1], 0x40
	v_dual_mov_b32 v3, 0 :: v_dual_and_b32 v2, 0x3ff, v0
	s_bitcmp1_b32 s3, 0
	v_bfe_u32 v1, v0, 10, 10
	s_cselect_b32 s3, -1, 0
	s_add_nc_u64 s[22:23], s[0:1], 0x68
	v_lshlrev_b32_e32 v10, 3, v2
	s_mov_b32 s17, 0
	v_lshl_add_u32 v0, v1, 3, 0
	v_lshlrev_b32_e32 v18, 3, v2
	s_wait_kmcnt 0x0
	v_mad_co_u64_u32 v[6:7], null, s26, v2, 0
	s_cmp_lg_u32 s24, 0x71
	v_cmp_gt_i64_e64 s35, s[4:5], 0
	s_cselect_b32 s34, -1, 0
	s_and_b32 s0, ttmp7, 0xffff
	s_lshl_b32 s1, s33, 3
	v_mad_co_u64_u32 v[8:9], null, s0, s33, v[1:2]
	v_mov_b32_e32 v9, v3
	s_add_co_i32 s24, s1, 0
	s_delay_alu instid0(SALU_CYCLE_1) | instskip(SKIP_3) | instid1(VALU_DEP_4)
	v_dual_mov_b32 v4, v7 :: v_dual_add_nc_u32 v17, s24, v10
	v_cmp_gt_i64_e64 s0, s[4:5], v[2:3]
	v_cmp_gt_i64_e64 s37, s[4:5], 1
	v_cmp_gt_i64_e32 vcc_lo, s[6:7], v[8:9]
	v_mad_co_u64_u32 v[4:5], null, s27, v2, v[4:5]
	v_or_b32_e32 v16, 4, v10
	s_add_nc_u64 s[26:27], s[4:5], -1
	s_lshl_b64 s[10:11], s[10:11], 3
	s_and_b32 s36, vcc_lo, s0
	s_wait_alu 0xfffe
	s_lshl_b64 s[6:7], s[26:27], 3
	s_lshl_b64 s[14:15], s[14:15], 3
	v_mov_b32_e32 v7, v4
	v_lshlrev_b64_e32 v[4:5], 3, v[8:9]
	s_delay_alu instid0(VALU_DEP_2)
	v_lshlrev_b64_e32 v[6:7], 3, v[6:7]
	s_branch .LBB193_4
.LBB193_2:                              ;   in Loop: Header=BB193_4 Depth=1
	flat_store_b64 v[8:9], v[10:11]
.LBB193_3:                              ;   in Loop: Header=BB193_4 Depth=1
	s_wait_alu 0xfffe
	s_or_b32 exec_lo, exec_lo, s1
	s_add_co_i32 s16, s16, 0x10000
	s_delay_alu instid0(SALU_CYCLE_1)
	s_cmp_lt_u32 s16, s2
	s_cbranch_scc0 .LBB193_23
.LBB193_4:                              ; =>This Loop Header: Depth=1
                                        ;     Child Loop BB193_9 Depth 2
                                        ;     Child Loop BB193_16 Depth 2
	s_lshl_b64 s[28:29], s[16:17], 3
	s_wait_alu 0xfffe
	s_add_nc_u64 s[30:31], s[8:9], s[28:29]
	s_add_nc_u64 s[28:29], s[12:13], s[28:29]
	global_load_b64 v[10:11], v3, s[30:31]
	s_wait_loadcnt 0x1
	global_load_b64 v[8:9], v3, s[28:29]
	s_mov_b64 s[28:29], s[20:21]
	s_wait_loadcnt 0x1
	v_add_co_u32 v12, vcc_lo, v10, s10
	s_wait_alu 0xfffd
	v_add_co_ci_u32_e64 v13, null, s11, v11, vcc_lo
	s_and_not1_b32 vcc_lo, exec_lo, s3
	s_wait_alu 0xfffe
	s_cbranch_vccz .LBB193_6
; %bb.5:                                ;   in Loop: Header=BB193_4 Depth=1
	s_and_saveexec_b32 s1, s36
	s_cbranch_execz .LBB193_3
	s_branch .LBB193_12
.LBB193_6:                              ;   in Loop: Header=BB193_4 Depth=1
	s_and_not1_b32 vcc_lo, exec_lo, s35
	s_wait_alu 0xfffe
	s_cbranch_vccnz .LBB193_11
; %bb.7:                                ;   in Loop: Header=BB193_4 Depth=1
	v_add_co_u32 v12, vcc_lo, v12, v18
	s_wait_alu 0xfffd
	v_add_co_ci_u32_e64 v13, null, 0, v13, vcc_lo
	s_mov_b32 s28, 0
	s_branch .LBB193_9
.LBB193_8:                              ;   in Loop: Header=BB193_9 Depth=2
	s_wait_alu 0xfffe
	s_or_b32 exec_lo, exec_lo, s1
	s_add_co_i32 s28, s28, s33
	s_wait_alu 0xfffe
	s_ashr_i32 s29, s28, 31
	s_wait_alu 0xfffe
	v_cmp_le_i64_e64 s1, s[4:5], s[28:29]
	s_and_b32 vcc_lo, exec_lo, s1
	s_wait_alu 0xfffe
	s_cbranch_vccnz .LBB193_11
.LBB193_9:                              ;   Parent Loop BB193_4 Depth=1
                                        ; =>  This Inner Loop Header: Depth=2
	s_wait_alu 0xfffe
	v_add_nc_u32_e32 v10, s28, v1
	s_delay_alu instid0(VALU_DEP_1) | instskip(SKIP_1) | instid1(VALU_DEP_2)
	v_ashrrev_i32_e32 v11, 31, v10
	v_cmp_lt_i32_e64 s1, v2, v10
	v_cmp_gt_i64_e32 vcc_lo, s[4:5], v[10:11]
	s_and_b32 s1, s1, vcc_lo
	s_wait_alu 0xfffe
	s_and_b32 s29, s0, s1
	s_wait_alu 0xfffe
	s_and_saveexec_b32 s1, s29
	s_cbranch_execz .LBB193_8
; %bb.10:                               ;   in Loop: Header=BB193_9 Depth=2
	v_mul_lo_u32 v19, s21, v10
	v_mul_lo_u32 v11, s20, v11
	v_mad_co_u64_u32 v[14:15], null, s20, v10, 0
	s_load_b32 s29, s[22:23], 0xc
	v_add3_u32 v15, v15, v11, v19
	s_delay_alu instid0(VALU_DEP_1) | instskip(NEXT) | instid1(VALU_DEP_1)
	v_lshlrev_b64_e32 v[14:15], 3, v[14:15]
	v_add_co_u32 v14, vcc_lo, v12, v14
	s_wait_alu 0xfffd
	s_delay_alu instid0(VALU_DEP_2)
	v_add_co_ci_u32_e64 v15, null, v13, v15, vcc_lo
	s_wait_kmcnt 0x0
	s_and_b32 s29, s29, 0xffff
	s_wait_alu 0xfffe
	v_mul_lo_u32 v10, v10, s29
	flat_load_b64 v[14:15], v[14:15]
	v_lshl_add_u32 v10, v10, 3, v17
	s_wait_loadcnt_dscnt 0x0
	ds_store_b64 v10, v[14:15]
	s_branch .LBB193_8
.LBB193_11:                             ;   in Loop: Header=BB193_4 Depth=1
	s_load_b32 s1, s[22:23], 0xc
	v_dual_mov_b32 v12, s24 :: v_dual_mov_b32 v13, s25
	s_mov_b32 s29, s17
	s_wait_kmcnt 0x0
	s_and_b32 s28, s1, 0xffff
	s_and_saveexec_b32 s1, s36
	s_cbranch_execz .LBB193_3
.LBB193_12:                             ;   in Loop: Header=BB193_4 Depth=1
	s_wait_loadcnt 0x0
	v_add_co_u32 v8, vcc_lo, v8, s14
	s_wait_alu 0xfffd
	v_add_co_ci_u32_e64 v9, null, s15, v9, vcc_lo
	s_delay_alu instid0(VALU_DEP_2) | instskip(SKIP_1) | instid1(VALU_DEP_2)
	v_add_co_u32 v8, vcc_lo, v8, v6
	s_wait_alu 0xfffd
	v_add_co_ci_u32_e64 v9, null, v9, v7, vcc_lo
	s_delay_alu instid0(VALU_DEP_2) | instskip(SKIP_1) | instid1(VALU_DEP_2)
	v_add_co_u32 v8, vcc_lo, v8, v4
	s_wait_alu 0xfffd
	v_add_co_ci_u32_e64 v9, null, v9, v5, vcc_lo
	s_and_not1_b32 vcc_lo, exec_lo, s37
	flat_load_b64 v[14:15], v[8:9]
	s_wait_loadcnt_dscnt 0x0
	v_mul_f32_e32 v11, s18, v15
	s_delay_alu instid0(VALU_DEP_1) | instskip(NEXT) | instid1(VALU_DEP_1)
	v_dual_mul_f32 v10, s19, v15 :: v_dual_fmac_f32 v11, s19, v14
	v_fma_f32 v10, s18, v14, -v10
	s_wait_alu 0xfffe
	s_cbranch_vccnz .LBB193_2
; %bb.13:                               ;   in Loop: Header=BB193_4 Depth=1
	v_add_co_u32 v12, vcc_lo, v12, v16
	s_wait_alu 0xfffd
	v_add_co_ci_u32_e64 v13, null, 0, v13, vcc_lo
	s_mul_i32 s30, s7, s28
	s_mul_i32 s31, s6, s29
	v_mad_co_u64_u32 v[12:13], null, s6, s28, v[12:13]
	s_lshl_b64 s[28:29], s[28:29], 3
	s_wait_alu 0xfffe
	s_sub_nc_u64 s[28:29], 0, s[28:29]
	v_add3_u32 v13, s31, s30, v13
	s_mov_b64 s[30:31], s[26:27]
	s_branch .LBB193_16
.LBB193_14:                             ;   in Loop: Header=BB193_16 Depth=2
	ds_load_b64 v[19:20], v0
	s_wait_loadcnt_dscnt 0x0
	v_dual_mul_f32 v21, v15, v20 :: v_dual_mul_f32 v20, v20, v14
	s_delay_alu instid0(VALU_DEP_1) | instskip(NEXT) | instid1(VALU_DEP_2)
	v_fma_f32 v14, v19, v14, -v21
	v_fmac_f32_e32 v20, v15, v19
	s_delay_alu instid0(VALU_DEP_1)
	v_dual_sub_f32 v10, v10, v14 :: v_dual_sub_f32 v11, v11, v20
.LBB193_15:                             ;   in Loop: Header=BB193_16 Depth=2
	s_wait_alu 0xfffe
	s_or_b32 exec_lo, exec_lo, s38
	s_add_nc_u64 s[38:39], s[30:31], 1
	v_add_co_u32 v12, vcc_lo, v12, s28
	s_wait_alu 0xfffe
	v_cmp_lt_u64_e64 s38, s[38:39], 3
	s_wait_alu 0xfffd
	v_add_co_ci_u32_e64 v13, null, s29, v13, vcc_lo
	s_add_nc_u64 s[30:31], s[30:31], -1
	s_and_b32 vcc_lo, exec_lo, s38
	s_wait_alu 0xfffe
	s_cbranch_vccnz .LBB193_2
.LBB193_16:                             ;   Parent Loop BB193_4 Depth=1
                                        ; =>  This Inner Loop Header: Depth=2
	s_mov_b32 s38, exec_lo
	s_barrier_signal -1
	s_barrier_wait -1
	global_inv scope:SCOPE_SE
	s_wait_alu 0xfffe
	v_cmpx_eq_u64_e64 s[30:31], v[2:3]
; %bb.17:                               ;   in Loop: Header=BB193_16 Depth=2
	ds_store_b64 v0, v[10:11]
; %bb.18:                               ;   in Loop: Header=BB193_16 Depth=2
	s_or_b32 exec_lo, exec_lo, s38
	s_delay_alu instid0(SALU_CYCLE_1)
	s_mov_b32 s38, exec_lo
	s_wait_loadcnt_dscnt 0x0
	s_barrier_signal -1
	s_barrier_wait -1
	global_inv scope:SCOPE_SE
	v_cmpx_gt_i64_e64 s[30:31], v[2:3]
	s_cbranch_execz .LBB193_15
; %bb.19:                               ;   in Loop: Header=BB193_16 Depth=2
	s_and_b32 vcc_lo, exec_lo, s34
	s_mov_b32 s39, -1
                                        ; implicit-def: $vgpr14
	s_wait_alu 0xfffe
	s_cbranch_vccz .LBB193_21
; %bb.20:                               ;   in Loop: Header=BB193_16 Depth=2
	flat_load_b64 v[14:15], v[12:13] offset:-4
	s_mov_b32 s39, 0
.LBB193_21:                             ;   in Loop: Header=BB193_16 Depth=2
	s_wait_alu 0xfffe
	s_and_not1_b32 vcc_lo, exec_lo, s39
	s_wait_alu 0xfffe
	s_cbranch_vccnz .LBB193_14
; %bb.22:                               ;   in Loop: Header=BB193_16 Depth=2
	s_wait_loadcnt_dscnt 0x0
	flat_load_b64 v[14:15], v[12:13] offset:-4
	s_wait_loadcnt_dscnt 0x0
	v_xor_b32_e32 v15, 0x80000000, v15
	s_branch .LBB193_14
.LBB193_23:
	s_endpgm
	.section	.rodata,"a",@progbits
	.p2align	6, 0x0
	.amdhsa_kernel _ZL40rocblas_trsm_block_backward_substitutionI19rocblas_complex_numIfES1_PKPKS1_PKPS1_Lb1ELb0ELb1EEv18rocblas_operation_llT0_T1_lllT2_lllib
		.amdhsa_group_segment_fixed_size 0
		.amdhsa_private_segment_fixed_size 0
		.amdhsa_kernarg_size 360
		.amdhsa_user_sgpr_count 2
		.amdhsa_user_sgpr_dispatch_ptr 0
		.amdhsa_user_sgpr_queue_ptr 0
		.amdhsa_user_sgpr_kernarg_segment_ptr 1
		.amdhsa_user_sgpr_dispatch_id 0
		.amdhsa_user_sgpr_private_segment_size 0
		.amdhsa_wavefront_size32 1
		.amdhsa_uses_dynamic_stack 0
		.amdhsa_enable_private_segment 0
		.amdhsa_system_sgpr_workgroup_id_x 1
		.amdhsa_system_sgpr_workgroup_id_y 1
		.amdhsa_system_sgpr_workgroup_id_z 1
		.amdhsa_system_sgpr_workgroup_info 0
		.amdhsa_system_vgpr_workitem_id 1
		.amdhsa_next_free_vgpr 22
		.amdhsa_next_free_sgpr 40
		.amdhsa_reserve_vcc 1
		.amdhsa_float_round_mode_32 0
		.amdhsa_float_round_mode_16_64 0
		.amdhsa_float_denorm_mode_32 3
		.amdhsa_float_denorm_mode_16_64 3
		.amdhsa_fp16_overflow 0
		.amdhsa_workgroup_processor_mode 1
		.amdhsa_memory_ordered 1
		.amdhsa_forward_progress 1
		.amdhsa_inst_pref_size 10
		.amdhsa_round_robin_scheduling 0
		.amdhsa_exception_fp_ieee_invalid_op 0
		.amdhsa_exception_fp_denorm_src 0
		.amdhsa_exception_fp_ieee_div_zero 0
		.amdhsa_exception_fp_ieee_overflow 0
		.amdhsa_exception_fp_ieee_underflow 0
		.amdhsa_exception_fp_ieee_inexact 0
		.amdhsa_exception_int_div_zero 0
	.end_amdhsa_kernel
	.section	.text._ZL40rocblas_trsm_block_backward_substitutionI19rocblas_complex_numIfES1_PKPKS1_PKPS1_Lb1ELb0ELb1EEv18rocblas_operation_llT0_T1_lllT2_lllib,"axG",@progbits,_ZL40rocblas_trsm_block_backward_substitutionI19rocblas_complex_numIfES1_PKPKS1_PKPS1_Lb1ELb0ELb1EEv18rocblas_operation_llT0_T1_lllT2_lllib,comdat
.Lfunc_end193:
	.size	_ZL40rocblas_trsm_block_backward_substitutionI19rocblas_complex_numIfES1_PKPKS1_PKPS1_Lb1ELb0ELb1EEv18rocblas_operation_llT0_T1_lllT2_lllib, .Lfunc_end193-_ZL40rocblas_trsm_block_backward_substitutionI19rocblas_complex_numIfES1_PKPKS1_PKPS1_Lb1ELb0ELb1EEv18rocblas_operation_llT0_T1_lllT2_lllib
                                        ; -- End function
	.set _ZL40rocblas_trsm_block_backward_substitutionI19rocblas_complex_numIfES1_PKPKS1_PKPS1_Lb1ELb0ELb1EEv18rocblas_operation_llT0_T1_lllT2_lllib.num_vgpr, 22
	.set _ZL40rocblas_trsm_block_backward_substitutionI19rocblas_complex_numIfES1_PKPKS1_PKPS1_Lb1ELb0ELb1EEv18rocblas_operation_llT0_T1_lllT2_lllib.num_agpr, 0
	.set _ZL40rocblas_trsm_block_backward_substitutionI19rocblas_complex_numIfES1_PKPKS1_PKPS1_Lb1ELb0ELb1EEv18rocblas_operation_llT0_T1_lllT2_lllib.numbered_sgpr, 40
	.set _ZL40rocblas_trsm_block_backward_substitutionI19rocblas_complex_numIfES1_PKPKS1_PKPS1_Lb1ELb0ELb1EEv18rocblas_operation_llT0_T1_lllT2_lllib.num_named_barrier, 0
	.set _ZL40rocblas_trsm_block_backward_substitutionI19rocblas_complex_numIfES1_PKPKS1_PKPS1_Lb1ELb0ELb1EEv18rocblas_operation_llT0_T1_lllT2_lllib.private_seg_size, 0
	.set _ZL40rocblas_trsm_block_backward_substitutionI19rocblas_complex_numIfES1_PKPKS1_PKPS1_Lb1ELb0ELb1EEv18rocblas_operation_llT0_T1_lllT2_lllib.uses_vcc, 1
	.set _ZL40rocblas_trsm_block_backward_substitutionI19rocblas_complex_numIfES1_PKPKS1_PKPS1_Lb1ELb0ELb1EEv18rocblas_operation_llT0_T1_lllT2_lllib.uses_flat_scratch, 0
	.set _ZL40rocblas_trsm_block_backward_substitutionI19rocblas_complex_numIfES1_PKPKS1_PKPS1_Lb1ELb0ELb1EEv18rocblas_operation_llT0_T1_lllT2_lllib.has_dyn_sized_stack, 0
	.set _ZL40rocblas_trsm_block_backward_substitutionI19rocblas_complex_numIfES1_PKPKS1_PKPS1_Lb1ELb0ELb1EEv18rocblas_operation_llT0_T1_lllT2_lllib.has_recursion, 0
	.set _ZL40rocblas_trsm_block_backward_substitutionI19rocblas_complex_numIfES1_PKPKS1_PKPS1_Lb1ELb0ELb1EEv18rocblas_operation_llT0_T1_lllT2_lllib.has_indirect_call, 0
	.section	.AMDGPU.csdata,"",@progbits
; Kernel info:
; codeLenInByte = 1216
; TotalNumSgprs: 42
; NumVgprs: 22
; ScratchSize: 0
; MemoryBound: 0
; FloatMode: 240
; IeeeMode: 1
; LDSByteSize: 0 bytes/workgroup (compile time only)
; SGPRBlocks: 0
; VGPRBlocks: 2
; NumSGPRsForWavesPerEU: 42
; NumVGPRsForWavesPerEU: 22
; Occupancy: 16
; WaveLimiterHint : 1
; COMPUTE_PGM_RSRC2:SCRATCH_EN: 0
; COMPUTE_PGM_RSRC2:USER_SGPR: 2
; COMPUTE_PGM_RSRC2:TRAP_HANDLER: 0
; COMPUTE_PGM_RSRC2:TGID_X_EN: 1
; COMPUTE_PGM_RSRC2:TGID_Y_EN: 1
; COMPUTE_PGM_RSRC2:TGID_Z_EN: 1
; COMPUTE_PGM_RSRC2:TIDIG_COMP_CNT: 1
	.section	.text._ZL26setup_batched_array_kernelILi128E19rocblas_complex_numIfEEvPT0_lPS3_,"axG",@progbits,_ZL26setup_batched_array_kernelILi128E19rocblas_complex_numIfEEvPT0_lPS3_,comdat
	.globl	_ZL26setup_batched_array_kernelILi128E19rocblas_complex_numIfEEvPT0_lPS3_ ; -- Begin function _ZL26setup_batched_array_kernelILi128E19rocblas_complex_numIfEEvPT0_lPS3_
	.p2align	8
	.type	_ZL26setup_batched_array_kernelILi128E19rocblas_complex_numIfEEvPT0_lPS3_,@function
_ZL26setup_batched_array_kernelILi128E19rocblas_complex_numIfEEvPT0_lPS3_: ; @_ZL26setup_batched_array_kernelILi128E19rocblas_complex_numIfEEvPT0_lPS3_
; %bb.0:
	s_clause 0x1
	s_load_b128 s[4:7], s[0:1], 0x0
	s_load_b64 s[0:1], s[0:1], 0x10
	s_mov_b32 s2, ttmp9
	s_mov_b32 s3, 0
	s_wait_kmcnt 0x0
	s_mul_u64 s[6:7], s[6:7], s[2:3]
	s_lshl_b64 s[2:3], s[2:3], 3
	s_lshl_b64 s[6:7], s[6:7], 3
	s_add_nc_u64 s[0:1], s[0:1], s[2:3]
	s_add_nc_u64 s[4:5], s[4:5], s[6:7]
	v_mov_b32_e32 v2, 0
	v_dual_mov_b32 v0, s4 :: v_dual_mov_b32 v1, s5
	global_store_b64 v2, v[0:1], s[0:1]
	s_endpgm
	.section	.rodata,"a",@progbits
	.p2align	6, 0x0
	.amdhsa_kernel _ZL26setup_batched_array_kernelILi128E19rocblas_complex_numIfEEvPT0_lPS3_
		.amdhsa_group_segment_fixed_size 0
		.amdhsa_private_segment_fixed_size 0
		.amdhsa_kernarg_size 24
		.amdhsa_user_sgpr_count 2
		.amdhsa_user_sgpr_dispatch_ptr 0
		.amdhsa_user_sgpr_queue_ptr 0
		.amdhsa_user_sgpr_kernarg_segment_ptr 1
		.amdhsa_user_sgpr_dispatch_id 0
		.amdhsa_user_sgpr_private_segment_size 0
		.amdhsa_wavefront_size32 1
		.amdhsa_uses_dynamic_stack 0
		.amdhsa_enable_private_segment 0
		.amdhsa_system_sgpr_workgroup_id_x 1
		.amdhsa_system_sgpr_workgroup_id_y 0
		.amdhsa_system_sgpr_workgroup_id_z 0
		.amdhsa_system_sgpr_workgroup_info 0
		.amdhsa_system_vgpr_workitem_id 0
		.amdhsa_next_free_vgpr 3
		.amdhsa_next_free_sgpr 8
		.amdhsa_reserve_vcc 0
		.amdhsa_float_round_mode_32 0
		.amdhsa_float_round_mode_16_64 0
		.amdhsa_float_denorm_mode_32 3
		.amdhsa_float_denorm_mode_16_64 3
		.amdhsa_fp16_overflow 0
		.amdhsa_workgroup_processor_mode 1
		.amdhsa_memory_ordered 1
		.amdhsa_forward_progress 1
		.amdhsa_inst_pref_size 1
		.amdhsa_round_robin_scheduling 0
		.amdhsa_exception_fp_ieee_invalid_op 0
		.amdhsa_exception_fp_denorm_src 0
		.amdhsa_exception_fp_ieee_div_zero 0
		.amdhsa_exception_fp_ieee_overflow 0
		.amdhsa_exception_fp_ieee_underflow 0
		.amdhsa_exception_fp_ieee_inexact 0
		.amdhsa_exception_int_div_zero 0
	.end_amdhsa_kernel
	.section	.text._ZL26setup_batched_array_kernelILi128E19rocblas_complex_numIfEEvPT0_lPS3_,"axG",@progbits,_ZL26setup_batched_array_kernelILi128E19rocblas_complex_numIfEEvPT0_lPS3_,comdat
.Lfunc_end194:
	.size	_ZL26setup_batched_array_kernelILi128E19rocblas_complex_numIfEEvPT0_lPS3_, .Lfunc_end194-_ZL26setup_batched_array_kernelILi128E19rocblas_complex_numIfEEvPT0_lPS3_
                                        ; -- End function
	.set _ZL26setup_batched_array_kernelILi128E19rocblas_complex_numIfEEvPT0_lPS3_.num_vgpr, 3
	.set _ZL26setup_batched_array_kernelILi128E19rocblas_complex_numIfEEvPT0_lPS3_.num_agpr, 0
	.set _ZL26setup_batched_array_kernelILi128E19rocblas_complex_numIfEEvPT0_lPS3_.numbered_sgpr, 8
	.set _ZL26setup_batched_array_kernelILi128E19rocblas_complex_numIfEEvPT0_lPS3_.num_named_barrier, 0
	.set _ZL26setup_batched_array_kernelILi128E19rocblas_complex_numIfEEvPT0_lPS3_.private_seg_size, 0
	.set _ZL26setup_batched_array_kernelILi128E19rocblas_complex_numIfEEvPT0_lPS3_.uses_vcc, 0
	.set _ZL26setup_batched_array_kernelILi128E19rocblas_complex_numIfEEvPT0_lPS3_.uses_flat_scratch, 0
	.set _ZL26setup_batched_array_kernelILi128E19rocblas_complex_numIfEEvPT0_lPS3_.has_dyn_sized_stack, 0
	.set _ZL26setup_batched_array_kernelILi128E19rocblas_complex_numIfEEvPT0_lPS3_.has_recursion, 0
	.set _ZL26setup_batched_array_kernelILi128E19rocblas_complex_numIfEEvPT0_lPS3_.has_indirect_call, 0
	.section	.AMDGPU.csdata,"",@progbits
; Kernel info:
; codeLenInByte = 80
; TotalNumSgprs: 8
; NumVgprs: 3
; ScratchSize: 0
; MemoryBound: 0
; FloatMode: 240
; IeeeMode: 1
; LDSByteSize: 0 bytes/workgroup (compile time only)
; SGPRBlocks: 0
; VGPRBlocks: 0
; NumSGPRsForWavesPerEU: 8
; NumVGPRsForWavesPerEU: 3
; Occupancy: 16
; WaveLimiterHint : 0
; COMPUTE_PGM_RSRC2:SCRATCH_EN: 0
; COMPUTE_PGM_RSRC2:USER_SGPR: 2
; COMPUTE_PGM_RSRC2:TRAP_HANDLER: 0
; COMPUTE_PGM_RSRC2:TGID_X_EN: 1
; COMPUTE_PGM_RSRC2:TGID_Y_EN: 0
; COMPUTE_PGM_RSRC2:TGID_Z_EN: 0
; COMPUTE_PGM_RSRC2:TIDIG_COMP_CNT: 0
	.section	.text._ZL25rocblas_trtri_trsm_kernelILi128ELi16ELi8E19rocblas_complex_numIfEPKPKS1_PKPS1_Ev13rocblas_fill_17rocblas_diagonal_T3_lilT4_lli,"axG",@progbits,_ZL25rocblas_trtri_trsm_kernelILi128ELi16ELi8E19rocblas_complex_numIfEPKPKS1_PKPS1_Ev13rocblas_fill_17rocblas_diagonal_T3_lilT4_lli,comdat
	.globl	_ZL25rocblas_trtri_trsm_kernelILi128ELi16ELi8E19rocblas_complex_numIfEPKPKS1_PKPS1_Ev13rocblas_fill_17rocblas_diagonal_T3_lilT4_lli ; -- Begin function _ZL25rocblas_trtri_trsm_kernelILi128ELi16ELi8E19rocblas_complex_numIfEPKPKS1_PKPS1_Ev13rocblas_fill_17rocblas_diagonal_T3_lilT4_lli
	.p2align	8
	.type	_ZL25rocblas_trtri_trsm_kernelILi128ELi16ELi8E19rocblas_complex_numIfEPKPKS1_PKPS1_Ev13rocblas_fill_17rocblas_diagonal_T3_lilT4_lli,@function
_ZL25rocblas_trtri_trsm_kernelILi128ELi16ELi8E19rocblas_complex_numIfEPKPKS1_PKPS1_Ev13rocblas_fill_17rocblas_diagonal_T3_lilT4_lli: ; @_ZL25rocblas_trtri_trsm_kernelILi128ELi16ELi8E19rocblas_complex_numIfEPKPKS1_PKPS1_Ev13rocblas_fill_17rocblas_diagonal_T3_lilT4_lli
; %bb.0:
	s_load_b32 s92, s[0:1], 0x40
	s_lshr_b32 s48, ttmp7, 16
	s_wait_kmcnt 0x0
	s_cmp_ge_u32 s48, s92
	s_cbranch_scc1 .LBB195_141
; %bb.1:
	s_clause 0x3
	s_load_b32 s38, s[0:1], 0x18
	s_load_b64 s[4:5], s[0:1], 0x0
	s_load_b128 s[40:43], s[0:1], 0x8
	s_load_b128 s[44:47], s[0:1], 0x28
	v_cmp_gt_u32_e64 s1, 32, v0
	v_cmp_gt_u32_e32 vcc_lo, 16, v0
	v_dual_mov_b32 v4, 0 :: v_dual_and_b32 v5, 15, v0
	v_lshrrev_b32_e32 v6, 4, v0
	s_delay_alu instid0(VALU_DEP_4) | instskip(SKIP_1) | instid1(VALU_DEP_4)
	v_cndmask_b32_e64 v2, 0xffffffe0, -16, s1
	v_cndmask_b32_e64 v1, 0, 0x1800, s1
	v_xor_b32_e32 v11, 15, v5
	s_delay_alu instid0(VALU_DEP_4) | instskip(NEXT) | instid1(VALU_DEP_4)
	v_dual_mov_b32 v3, v4 :: v_dual_lshlrev_b32 v10, 7, v6
	v_cndmask_b32_e64 v2, v2, 0, vcc_lo
	s_delay_alu instid0(VALU_DEP_4)
	v_cndmask_b32_e64 v1, v1, 0x1000, vcc_lo
	v_lshlrev_b32_e32 v19, 3, v5
	v_bfi_b32 v9, v0, 0, 0xf0
	v_or_b32_e32 v12, v10, v5
	v_add_nc_u32_e32 v2, v0, v2
	s_wait_kmcnt 0x0
	s_ashr_i32 s39, s38, 31
	v_lshlrev_b32_e32 v11, 3, v11
	s_lshl_b64 s[52:53], s[38:39], 4
	v_add_nc_u32_e32 v43, 1, v6
	v_sub_nc_u32_e32 v13, 0xffffff10, v2
	v_sub_nc_u32_e32 v14, 0xffffff20, v2
	v_mad_i32_i24 v39, 0x88, v2, v1
	v_add_nc_u32_e32 v46, -1, v6
	v_add_nc_u32_e32 v48, -1, v5
	v_lshl_add_u32 v22, v13, 3, v1
	v_sub_nc_u32_e32 v13, 0xffffff30, v2
	v_lshl_add_u32 v23, v14, 3, v1
	v_sub_nc_u32_e32 v14, 0xffffff40, v2
	v_add_nc_u32_e32 v51, 1, v5
	s_lshl_b32 s50, ttmp9, 1
	v_lshl_add_u32 v24, v13, 3, v1
	v_sub_nc_u32_e32 v13, 0xffffff50, v2
	v_lshl_add_u32 v25, v14, 3, v1
	v_sub_nc_u32_e32 v14, 0xffffff60, v2
	s_mov_b32 s51, 0
	s_add_nc_u64 s[6:7], s[52:53], 16
	v_lshl_add_u32 v26, v13, 3, v1
	v_sub_nc_u32_e32 v13, 0xffffff70, v2
	v_lshl_add_u32 v27, v14, 3, v1
	v_sub_nc_u32_e32 v14, 0xffffff80, v2
	s_and_b32 s3, s50, 6
	s_mul_u64 s[88:89], s[6:7], s[50:51]
	v_lshl_add_u32 v28, v13, 3, v1
	v_sub_nc_u32_e32 v13, 0xffffff90, v2
	v_lshl_add_u32 v29, v14, 3, v1
	v_sub_nc_u32_e32 v14, 0xffffffa0, v2
	s_bfe_u32 s50, ttmp9, 0x1d0002
	v_cndmask_b32_e64 v8, s7, 0, vcc_lo
	v_lshl_add_u32 v30, v13, 3, v1
	v_sub_nc_u32_e32 v13, 0xffffffb0, v2
	v_lshl_add_u32 v31, v14, 3, v1
	v_sub_nc_u32_e32 v14, 0xffffffc0, v2
	v_cndmask_b32_e64 v7, s6, 0, vcc_lo
	s_lshl_b64 s[66:67], s[50:51], 17
	v_lshl_add_u32 v32, v13, 3, v1
	v_sub_nc_u32_e32 v13, 0xffffffd0, v2
	v_lshl_add_u32 v33, v14, 3, v1
	v_sub_nc_u32_e32 v14, 0xffffffe0, v2
	v_lshl_or_b32 v44, v9, 3, 0x1878
	v_or_b32_e32 v45, v10, v19
	v_lshl_add_u32 v34, v13, 3, v1
	v_lshlrev_b32_e32 v13, 7, v2
	v_lshl_add_u32 v35, v14, 3, v1
	v_mul_i32_i24_e32 v14, 0x88, v2
	s_cmp_lg_u32 s4, 0x7a
	v_lshlrev_b64_e32 v[7:8], 3, v[7:8]
	v_sub_nc_u32_e32 v40, v39, v13
	s_cselect_b32 s93, -1, 0
	v_sub_nc_u32_e32 v13, v14, v13
	v_lshlrev_b32_e32 v14, 3, v6
	s_lshl_b64 s[70:71], s[38:39], 7
	s_lshl_b64 s[72:73], s[38:39], 6
	;; [unrolled: 1-line block ×3, first 2 shown]
	v_add3_u32 v41, v13, v1, 0x80
	v_lshlrev_b32_e32 v13, 7, v5
	v_lshlrev_b64_e32 v[5:6], 3, v[2:3]
	v_mov_b32_e32 v3, 1.0
	v_lshlrev_b32_e32 v21, 3, v2
	v_sub_nc_u32_e32 v15, -16, v2
	v_sub_nc_u32_e32 v9, v11, v13
	s_cmp_lg_u32 s5, 0x84
	v_cmp_lt_u32_e64 s0, 31, v0
	v_sub_nc_u32_e32 v37, v1, v21
	v_cmp_gt_u32_e64 s2, 48, v0
	s_mul_i32 s49, s3, 0x810
	v_cmp_gt_u32_e64 s3, 0x100, v0
	v_lshl_or_b32 v20, v0, 3, 0x800
	v_cndmask_b32_e64 v0, 0x810, 0, vcc_lo
	v_cmp_gt_u32_e64 s4, 16, v2
	v_cmp_gt_u32_e64 s5, 15, v2
	;; [unrolled: 1-line block ×15, first 2 shown]
	v_lshl_add_u32 v36, v15, 3, v1
	v_cmp_eq_u32_e64 s19, 0, v2
	v_cmp_ne_u32_e64 s20, 0, v2
	v_add_nc_u32_e32 v38, v1, v21
	v_cmp_lt_u32_e64 s21, 1, v2
	v_cmp_lt_u32_e64 s22, 2, v2
	;; [unrolled: 1-line block ×14, first 2 shown]
	v_cmp_gt_i32_e64 s36, 16, v2
	v_cmp_lt_i32_e64 s37, -1, v2
	v_or_b32_e32 v42, 8, v1
	v_or3_b32 v47, v10, v14, 0x1000
	v_or_b32_e32 v49, 0x800, v45
	v_add_nc_u32_e32 v50, 0x1780, v9
	v_or_b32_e32 v52, 0x800, v10
	v_or_b32_e32 v53, 0x1800, v19
	v_add_nc_u32_e32 v54, 0x78, v37
	v_add_nc_u32_e32 v55, 1, v2
	v_lshlrev_b32_e32 v56, 3, v12
	s_cselect_b32 s94, -1, 0
	s_lshl_b64 s[84:85], s[38:39], 3
	s_mul_u64 s[54:55], s[38:39], 0x78
	s_mul_u64 s[56:57], s[38:39], 0x70
	;; [unrolled: 1-line block ×11, first 2 shown]
	s_sub_nc_u64 s[86:87], 0, s[84:85]
	s_lshl_b64 s[88:89], s[88:89], 3
	s_lshl_b64 s[42:43], s[42:43], 3
	s_lshl_b32 s95, s49, 3
	s_lshl_b64 s[46:47], s[46:47], 3
	s_branch .LBB195_3
.LBB195_2:                              ;   in Loop: Header=BB195_3 Depth=1
	s_wait_alu 0xfffe
	s_or_b32 exec_lo, exec_lo, s39
	s_add_co_i32 s48, s48, 0x10000
	s_wait_alu 0xfffe
	s_cmp_lt_u32 s48, s92
	s_cbranch_scc0 .LBB195_141
.LBB195_3:                              ; =>This Loop Header: Depth=1
                                        ;     Child Loop BB195_93 Depth 2
                                        ;       Child Loop BB195_98 Depth 3
                                        ;     Child Loop BB195_105 Depth 2
                                        ;     Child Loop BB195_111 Depth 2
	;; [unrolled: 1-line block ×6, first 2 shown]
	s_mov_b32 s49, s51
	s_wait_alu 0xfffe
	s_lshl_b64 s[38:39], s[48:49], 3
	s_wait_alu 0xfffe
	s_add_nc_u64 s[90:91], s[40:41], s[38:39]
	s_add_nc_u64 s[38:39], s[44:45], s[38:39]
	s_clause 0x1
	global_load_b64 v[11:12], v4, s[90:91]
	global_load_b64 v[9:10], v4, s[38:39]
	s_wait_loadcnt 0x1
	v_add_co_u32 v11, vcc_lo, v11, s88
	s_wait_alu 0xfffd
	v_add_co_ci_u32_e64 v12, null, s89, v12, vcc_lo
	s_delay_alu instid0(VALU_DEP_2) | instskip(SKIP_1) | instid1(VALU_DEP_2)
	v_add_co_u32 v11, vcc_lo, v11, s42
	s_wait_alu 0xfffd
	v_add_co_ci_u32_e64 v12, null, s43, v12, vcc_lo
	s_and_saveexec_b32 s38, s0
	s_wait_alu 0xfffe
	s_xor_b32 s38, exec_lo, s38
	s_cbranch_execz .LBB195_10
; %bb.4:                                ;   in Loop: Header=BB195_3 Depth=1
	s_and_saveexec_b32 s39, s2
	s_cbranch_execz .LBB195_9
; %bb.5:                                ;   in Loop: Header=BB195_3 Depth=1
	s_and_not1_b32 vcc_lo, exec_lo, s93
	s_mov_b32 s49, -1
	s_wait_alu 0xfffe
	s_cbranch_vccnz .LBB195_7
; %bb.6:                                ;   in Loop: Header=BB195_3 Depth=1
	v_add_co_u32 v13, vcc_lo, v11, s70
	s_wait_alu 0xfffd
	v_add_co_ci_u32_e64 v14, null, s71, v12, vcc_lo
	s_mov_b32 s49, 0
	v_add_co_u32 v13, vcc_lo, v13, v5
	s_wait_alu 0xfffd
	v_add_co_ci_u32_e64 v14, null, v14, v6, vcc_lo
	s_delay_alu instid0(VALU_DEP_2) | instskip(SKIP_1) | instid1(VALU_DEP_2)
	v_add_co_u32 v15, vcc_lo, v13, s54
	s_wait_alu 0xfffd
	v_add_co_ci_u32_e64 v16, null, s55, v14, vcc_lo
	flat_load_b64 v[17:18], v[15:16]
	v_add_co_u32 v15, vcc_lo, v15, s86
	s_wait_alu 0xfffd
	v_add_co_ci_u32_e64 v16, null, s87, v16, vcc_lo
	s_wait_loadcnt_dscnt 0x0
	ds_store_b64 v21, v[17:18] offset:1920
	flat_load_b64 v[17:18], v[15:16]
	v_add_co_u32 v15, vcc_lo, v15, s86
	s_wait_alu 0xfffd
	v_add_co_ci_u32_e64 v16, null, s87, v16, vcc_lo
	s_wait_loadcnt_dscnt 0x0
	ds_store_b64 v21, v[17:18] offset:1792
	;; [unrolled: 6-line block ×14, first 2 shown]
	flat_load_b64 v[15:16], v[15:16]
	s_wait_loadcnt_dscnt 0x0
	ds_store_b64 v21, v[15:16] offset:128
	flat_load_b64 v[13:14], v[13:14]
	s_wait_loadcnt_dscnt 0x0
	ds_store_b64 v21, v[13:14]
.LBB195_7:                              ;   in Loop: Header=BB195_3 Depth=1
	s_wait_alu 0xfffe
	s_and_not1_b32 vcc_lo, exec_lo, s49
	s_wait_alu 0xfffe
	s_cbranch_vccnz .LBB195_9
; %bb.8:                                ;   in Loop: Header=BB195_3 Depth=1
	v_add_co_u32 v11, vcc_lo, v11, v5
	s_wait_alu 0xfffd
	v_add_co_ci_u32_e64 v12, null, v12, v6, vcc_lo
	flat_load_b64 v[13:14], v[11:12] offset:128
	v_add_co_u32 v11, vcc_lo, v11, s84
	s_wait_alu 0xfffd
	v_add_co_ci_u32_e64 v12, null, s85, v12, vcc_lo
	s_wait_loadcnt_dscnt 0x0
	ds_store_b64 v21, v[13:14]
	flat_load_b64 v[13:14], v[11:12] offset:128
	v_add_co_u32 v11, vcc_lo, v11, s84
	s_wait_alu 0xfffd
	v_add_co_ci_u32_e64 v12, null, s85, v12, vcc_lo
	s_wait_loadcnt_dscnt 0x0
	ds_store_b64 v21, v[13:14] offset:128
	flat_load_b64 v[13:14], v[11:12] offset:128
	v_add_co_u32 v11, vcc_lo, v11, s84
	s_wait_alu 0xfffd
	v_add_co_ci_u32_e64 v12, null, s85, v12, vcc_lo
	s_wait_loadcnt_dscnt 0x0
	ds_store_b64 v21, v[13:14] offset:256
	flat_load_b64 v[13:14], v[11:12] offset:128
	v_add_co_u32 v11, vcc_lo, v11, s84
	s_wait_alu 0xfffd
	v_add_co_ci_u32_e64 v12, null, s85, v12, vcc_lo
	s_wait_loadcnt_dscnt 0x0
	ds_store_b64 v21, v[13:14] offset:384
	flat_load_b64 v[13:14], v[11:12] offset:128
	v_add_co_u32 v11, vcc_lo, v11, s84
	s_wait_alu 0xfffd
	v_add_co_ci_u32_e64 v12, null, s85, v12, vcc_lo
	s_wait_loadcnt_dscnt 0x0
	ds_store_b64 v21, v[13:14] offset:512
	flat_load_b64 v[13:14], v[11:12] offset:128
	v_add_co_u32 v11, vcc_lo, v11, s84
	s_wait_alu 0xfffd
	v_add_co_ci_u32_e64 v12, null, s85, v12, vcc_lo
	s_wait_loadcnt_dscnt 0x0
	ds_store_b64 v21, v[13:14] offset:640
	flat_load_b64 v[13:14], v[11:12] offset:128
	v_add_co_u32 v11, vcc_lo, v11, s84
	s_wait_alu 0xfffd
	v_add_co_ci_u32_e64 v12, null, s85, v12, vcc_lo
	s_wait_loadcnt_dscnt 0x0
	ds_store_b64 v21, v[13:14] offset:768
	flat_load_b64 v[13:14], v[11:12] offset:128
	v_add_co_u32 v11, vcc_lo, v11, s84
	s_wait_alu 0xfffd
	v_add_co_ci_u32_e64 v12, null, s85, v12, vcc_lo
	s_wait_loadcnt_dscnt 0x0
	ds_store_b64 v21, v[13:14] offset:896
	flat_load_b64 v[13:14], v[11:12] offset:128
	v_add_co_u32 v11, vcc_lo, v11, s84
	s_wait_alu 0xfffd
	v_add_co_ci_u32_e64 v12, null, s85, v12, vcc_lo
	s_wait_loadcnt_dscnt 0x0
	ds_store_b64 v21, v[13:14] offset:1024
	flat_load_b64 v[13:14], v[11:12] offset:128
	v_add_co_u32 v11, vcc_lo, v11, s84
	s_wait_alu 0xfffd
	v_add_co_ci_u32_e64 v12, null, s85, v12, vcc_lo
	s_wait_loadcnt_dscnt 0x0
	ds_store_b64 v21, v[13:14] offset:1152
	flat_load_b64 v[13:14], v[11:12] offset:128
	v_add_co_u32 v11, vcc_lo, v11, s84
	s_wait_alu 0xfffd
	v_add_co_ci_u32_e64 v12, null, s85, v12, vcc_lo
	s_wait_loadcnt_dscnt 0x0
	ds_store_b64 v21, v[13:14] offset:1280
	flat_load_b64 v[13:14], v[11:12] offset:128
	v_add_co_u32 v11, vcc_lo, v11, s84
	s_wait_alu 0xfffd
	v_add_co_ci_u32_e64 v12, null, s85, v12, vcc_lo
	s_wait_loadcnt_dscnt 0x0
	ds_store_b64 v21, v[13:14] offset:1408
	flat_load_b64 v[13:14], v[11:12] offset:128
	v_add_co_u32 v11, vcc_lo, v11, s84
	s_wait_alu 0xfffd
	v_add_co_ci_u32_e64 v12, null, s85, v12, vcc_lo
	s_wait_loadcnt_dscnt 0x0
	ds_store_b64 v21, v[13:14] offset:1536
	flat_load_b64 v[13:14], v[11:12] offset:128
	v_add_co_u32 v11, vcc_lo, v11, s84
	s_wait_alu 0xfffd
	v_add_co_ci_u32_e64 v12, null, s85, v12, vcc_lo
	s_wait_loadcnt_dscnt 0x0
	ds_store_b64 v21, v[13:14] offset:1664
	flat_load_b64 v[13:14], v[11:12] offset:128
	v_add_co_u32 v11, vcc_lo, v11, s84
	s_wait_alu 0xfffd
	v_add_co_ci_u32_e64 v12, null, s85, v12, vcc_lo
	s_wait_loadcnt_dscnt 0x0
	ds_store_b64 v21, v[13:14] offset:1792
	flat_load_b64 v[11:12], v[11:12] offset:128
	s_wait_loadcnt_dscnt 0x0
	ds_store_b64 v21, v[11:12] offset:1920
.LBB195_9:                              ;   in Loop: Header=BB195_3 Depth=1
	s_wait_alu 0xfffe
	s_or_b32 exec_lo, exec_lo, s39
                                        ; implicit-def: $vgpr11
                                        ; implicit-def: $vgpr12
.LBB195_10:                             ;   in Loop: Header=BB195_3 Depth=1
	s_wait_alu 0xfffe
	s_and_not1_saveexec_b32 s38, s38
	s_cbranch_execz .LBB195_77
; %bb.11:                               ;   in Loop: Header=BB195_3 Depth=1
	v_add_co_u32 v57, vcc_lo, v11, v7
	s_wait_alu 0xfffd
	v_add_co_ci_u32_e64 v58, null, v12, v8, vcc_lo
	s_and_not1_b32 vcc_lo, exec_lo, s93
	s_mov_b32 s39, -1
	s_wait_alu 0xfffe
	s_cbranch_vccnz .LBB195_45
; %bb.12:                               ;   in Loop: Header=BB195_3 Depth=1
	v_add_co_u32 v11, vcc_lo, v57, v5
	s_wait_alu 0xfffd
	v_add_co_ci_u32_e64 v12, null, v58, v6, vcc_lo
	v_dual_mov_b32 v13, 0 :: v_dual_mov_b32 v16, 0
	v_mov_b32_e32 v15, 0
	s_and_saveexec_b32 s39, s4
	s_cbranch_execz .LBB195_14
; %bb.13:                               ;   in Loop: Header=BB195_3 Depth=1
	v_add_co_u32 v14, vcc_lo, v11, s54
	s_wait_alu 0xfffd
	v_add_co_ci_u32_e64 v15, null, s55, v12, vcc_lo
	flat_load_b64 v[15:16], v[14:15]
.LBB195_14:                             ;   in Loop: Header=BB195_3 Depth=1
	s_wait_alu 0xfffe
	s_or_b32 exec_lo, exec_lo, s39
	v_mov_b32_e32 v14, 0
	s_wait_loadcnt_dscnt 0x0
	ds_store_b64 v22, v[15:16] offset:2040
	s_and_saveexec_b32 s39, s5
	s_cbranch_execz .LBB195_16
; %bb.15:                               ;   in Loop: Header=BB195_3 Depth=1
	v_add_co_u32 v13, vcc_lo, v11, s56
	s_wait_alu 0xfffd
	v_add_co_ci_u32_e64 v14, null, s57, v12, vcc_lo
	flat_load_b64 v[13:14], v[13:14]
.LBB195_16:                             ;   in Loop: Header=BB195_3 Depth=1
	s_wait_alu 0xfffe
	s_or_b32 exec_lo, exec_lo, s39
	v_dual_mov_b32 v15, 0 :: v_dual_mov_b32 v18, 0
	v_mov_b32_e32 v17, 0
	s_wait_loadcnt_dscnt 0x0
	ds_store_b64 v23, v[13:14] offset:2040
	s_and_saveexec_b32 s39, s6
	s_cbranch_execz .LBB195_18
; %bb.17:                               ;   in Loop: Header=BB195_3 Depth=1
	v_add_co_u32 v13, vcc_lo, v11, s58
	s_wait_alu 0xfffd
	v_add_co_ci_u32_e64 v14, null, s59, v12, vcc_lo
	flat_load_b64 v[17:18], v[13:14]
.LBB195_18:                             ;   in Loop: Header=BB195_3 Depth=1
	s_wait_alu 0xfffe
	s_or_b32 exec_lo, exec_lo, s39
	v_mov_b32_e32 v16, 0
	s_wait_loadcnt_dscnt 0x0
	ds_store_b64 v24, v[17:18] offset:2040
	s_and_saveexec_b32 s39, s7
	s_cbranch_execz .LBB195_20
; %bb.19:                               ;   in Loop: Header=BB195_3 Depth=1
	v_add_co_u32 v13, vcc_lo, v11, s60
	s_wait_alu 0xfffd
	v_add_co_ci_u32_e64 v14, null, s61, v12, vcc_lo
	flat_load_b64 v[15:16], v[13:14]
.LBB195_20:                             ;   in Loop: Header=BB195_3 Depth=1
	s_wait_alu 0xfffe
	s_or_b32 exec_lo, exec_lo, s39
	v_dual_mov_b32 v14, 0 :: v_dual_mov_b32 v17, 0
	v_mov_b32_e32 v18, 0
	s_wait_loadcnt_dscnt 0x0
	ds_store_b64 v25, v[15:16] offset:2040
	;; [unrolled: 27-line block ×7, first 2 shown]
	s_and_saveexec_b32 s39, s18
	s_cbranch_execz .LBB195_42
; %bb.41:                               ;   in Loop: Header=BB195_3 Depth=1
	v_add_co_u32 v13, vcc_lo, v11, s84
	s_wait_alu 0xfffd
	v_add_co_ci_u32_e64 v14, null, s85, v12, vcc_lo
	flat_load_b64 v[17:18], v[13:14]
.LBB195_42:                             ;   in Loop: Header=BB195_3 Depth=1
	s_wait_alu 0xfffe
	s_or_b32 exec_lo, exec_lo, s39
	v_mov_b32_e32 v16, 0
	s_wait_loadcnt_dscnt 0x0
	ds_store_b64 v36, v[17:18] offset:2040
	s_and_saveexec_b32 s39, s19
	s_cbranch_execz .LBB195_44
; %bb.43:                               ;   in Loop: Header=BB195_3 Depth=1
	flat_load_b64 v[15:16], v[11:12]
.LBB195_44:                             ;   in Loop: Header=BB195_3 Depth=1
	s_wait_alu 0xfffe
	s_or_b32 exec_lo, exec_lo, s39
	s_mov_b32 s39, 0
	s_wait_loadcnt_dscnt 0x0
	ds_store_b64 v37, v[15:16] offset:2040
.LBB195_45:                             ;   in Loop: Header=BB195_3 Depth=1
	s_wait_alu 0xfffe
	s_and_b32 vcc_lo, exec_lo, s39
	s_wait_alu 0xfffe
	s_cbranch_vccz .LBB195_77
; %bb.46:                               ;   in Loop: Header=BB195_3 Depth=1
	v_add_co_u32 v11, vcc_lo, v57, v5
	s_wait_alu 0xfffd
	v_add_co_ci_u32_e64 v12, null, v58, v6, vcc_lo
	v_dual_mov_b32 v13, 0 :: v_dual_mov_b32 v16, 0
	v_mov_b32_e32 v15, 0
	flat_load_b64 v[17:18], v[11:12]
	s_wait_loadcnt_dscnt 0x0
	ds_store_b64 v38, v[17:18]
	s_and_saveexec_b32 s39, s20
	s_cbranch_execz .LBB195_48
; %bb.47:                               ;   in Loop: Header=BB195_3 Depth=1
	v_add_co_u32 v14, vcc_lo, v11, s84
	s_wait_alu 0xfffd
	v_add_co_ci_u32_e64 v15, null, s85, v12, vcc_lo
	flat_load_b64 v[15:16], v[14:15]
.LBB195_48:                             ;   in Loop: Header=BB195_3 Depth=1
	s_wait_alu 0xfffe
	s_or_b32 exec_lo, exec_lo, s39
	v_mov_b32_e32 v14, 0
	s_wait_loadcnt_dscnt 0x0
	ds_store_b64 v38, v[15:16] offset:128
	s_and_saveexec_b32 s39, s21
	s_cbranch_execz .LBB195_50
; %bb.49:                               ;   in Loop: Header=BB195_3 Depth=1
	v_add_co_u32 v13, vcc_lo, v11, s52
	s_wait_alu 0xfffd
	v_add_co_ci_u32_e64 v14, null, s53, v12, vcc_lo
	flat_load_b64 v[13:14], v[13:14]
.LBB195_50:                             ;   in Loop: Header=BB195_3 Depth=1
	s_wait_alu 0xfffe
	s_or_b32 exec_lo, exec_lo, s39
	v_dual_mov_b32 v15, 0 :: v_dual_mov_b32 v18, 0
	v_mov_b32_e32 v17, 0
	s_wait_loadcnt_dscnt 0x0
	ds_store_b64 v38, v[13:14] offset:256
	s_and_saveexec_b32 s39, s22
	s_cbranch_execz .LBB195_52
; %bb.51:                               ;   in Loop: Header=BB195_3 Depth=1
	v_add_co_u32 v13, vcc_lo, v11, s82
	s_wait_alu 0xfffd
	v_add_co_ci_u32_e64 v14, null, s83, v12, vcc_lo
	flat_load_b64 v[17:18], v[13:14]
.LBB195_52:                             ;   in Loop: Header=BB195_3 Depth=1
	s_wait_alu 0xfffe
	s_or_b32 exec_lo, exec_lo, s39
	v_mov_b32_e32 v16, 0
	s_wait_loadcnt_dscnt 0x0
	ds_store_b64 v38, v[17:18] offset:384
	s_and_saveexec_b32 s39, s23
	s_cbranch_execz .LBB195_54
; %bb.53:                               ;   in Loop: Header=BB195_3 Depth=1
	v_add_co_u32 v13, vcc_lo, v11, s80
	s_wait_alu 0xfffd
	v_add_co_ci_u32_e64 v14, null, s81, v12, vcc_lo
	flat_load_b64 v[15:16], v[13:14]
.LBB195_54:                             ;   in Loop: Header=BB195_3 Depth=1
	s_wait_alu 0xfffe
	s_or_b32 exec_lo, exec_lo, s39
	v_dual_mov_b32 v14, 0 :: v_dual_mov_b32 v17, 0
	v_mov_b32_e32 v18, 0
	s_wait_loadcnt_dscnt 0x0
	ds_store_b64 v38, v[15:16] offset:512
	;; [unrolled: 27-line block ×6, first 2 shown]
	s_and_saveexec_b32 s39, s33
	s_cbranch_execz .LBB195_72
; %bb.71:                               ;   in Loop: Header=BB195_3 Depth=1
	v_add_co_u32 v14, vcc_lo, v11, s58
	s_wait_alu 0xfffd
	v_add_co_ci_u32_e64 v15, null, s59, v12, vcc_lo
	flat_load_b64 v[16:17], v[14:15]
.LBB195_72:                             ;   in Loop: Header=BB195_3 Depth=1
	s_wait_alu 0xfffe
	s_or_b32 exec_lo, exec_lo, s39
	v_mov_b32_e32 v14, 0
	s_wait_loadcnt_dscnt 0x0
	ds_store_b64 v38, v[16:17] offset:1664
	s_and_saveexec_b32 s39, s34
	s_cbranch_execz .LBB195_74
; %bb.73:                               ;   in Loop: Header=BB195_3 Depth=1
	v_add_co_u32 v13, vcc_lo, v11, s56
	s_wait_alu 0xfffd
	v_add_co_ci_u32_e64 v14, null, s57, v12, vcc_lo
	flat_load_b64 v[13:14], v[13:14]
.LBB195_74:                             ;   in Loop: Header=BB195_3 Depth=1
	s_wait_alu 0xfffe
	s_or_b32 exec_lo, exec_lo, s39
	v_dual_mov_b32 v15, 0 :: v_dual_mov_b32 v16, 0
	s_wait_loadcnt_dscnt 0x0
	ds_store_b64 v38, v[13:14] offset:1792
	s_and_saveexec_b32 s39, s35
	s_cbranch_execz .LBB195_76
; %bb.75:                               ;   in Loop: Header=BB195_3 Depth=1
	v_add_co_u32 v11, vcc_lo, v11, s54
	s_wait_alu 0xfffd
	v_add_co_ci_u32_e64 v12, null, s55, v12, vcc_lo
	flat_load_b64 v[15:16], v[11:12]
.LBB195_76:                             ;   in Loop: Header=BB195_3 Depth=1
	s_wait_alu 0xfffe
	s_or_b32 exec_lo, exec_lo, s39
	s_wait_loadcnt_dscnt 0x0
	ds_store_b64 v38, v[15:16] offset:1920
.LBB195_77:                             ;   in Loop: Header=BB195_3 Depth=1
	s_wait_alu 0xfffe
	s_or_b32 exec_lo, exec_lo, s38
	s_wait_loadcnt_dscnt 0x0
	s_barrier_signal -1
	s_barrier_wait -1
	global_inv scope:SCOPE_SE
	s_and_saveexec_b32 s39, s1
	s_cbranch_execz .LBB195_90
; %bb.78:                               ;   in Loop: Header=BB195_3 Depth=1
	s_and_b32 vcc_lo, exec_lo, s94
	s_mov_b32 s38, -1
	s_wait_alu 0xfffe
	s_cbranch_vccz .LBB195_88
; %bb.79:                               ;   in Loop: Header=BB195_3 Depth=1
	ds_load_b64 v[11:12], v39
	s_wait_dscnt 0x0
	v_cmp_neq_f32_e32 vcc_lo, 0, v11
	v_cmp_neq_f32_e64 s38, 0, v12
	s_or_b32 s38, vcc_lo, s38
	s_wait_alu 0xfffe
	s_and_saveexec_b32 s49, s38
	s_wait_alu 0xfffe
	s_xor_b32 s38, exec_lo, s49
	s_cbranch_execz .LBB195_85
; %bb.80:                               ;   in Loop: Header=BB195_3 Depth=1
	v_cmp_ngt_f32_e64 s49, |v11|, |v12|
                                        ; implicit-def: $vgpr13
	s_and_saveexec_b32 s50, s49
	s_wait_alu 0xfffe
	s_xor_b32 s49, exec_lo, s50
	s_cbranch_execz .LBB195_82
; %bb.81:                               ;   in Loop: Header=BB195_3 Depth=1
	v_div_scale_f32 v13, null, v12, v12, v11
	v_div_scale_f32 v16, vcc_lo, v11, v12, v11
	s_delay_alu instid0(VALU_DEP_2) | instskip(NEXT) | instid1(TRANS32_DEP_1)
	v_rcp_f32_e32 v14, v13
	v_fma_f32 v15, -v13, v14, 1.0
	s_delay_alu instid0(VALU_DEP_1) | instskip(NEXT) | instid1(VALU_DEP_1)
	v_fmac_f32_e32 v14, v15, v14
	v_mul_f32_e32 v15, v16, v14
	s_delay_alu instid0(VALU_DEP_1) | instskip(NEXT) | instid1(VALU_DEP_1)
	v_fma_f32 v17, -v13, v15, v16
	v_fmac_f32_e32 v15, v17, v14
	s_delay_alu instid0(VALU_DEP_1) | instskip(SKIP_1) | instid1(VALU_DEP_1)
	v_fma_f32 v13, -v13, v15, v16
	s_wait_alu 0xfffd
	v_div_fmas_f32 v13, v13, v14, v15
	s_delay_alu instid0(VALU_DEP_1) | instskip(NEXT) | instid1(VALU_DEP_1)
	v_div_fixup_f32 v13, v13, v12, v11
	v_fmac_f32_e32 v12, v11, v13
	s_delay_alu instid0(VALU_DEP_1) | instskip(SKIP_1) | instid1(VALU_DEP_2)
	v_div_scale_f32 v11, null, v12, v12, 1.0
	v_div_scale_f32 v16, vcc_lo, 1.0, v12, 1.0
	v_rcp_f32_e32 v14, v11
	s_delay_alu instid0(TRANS32_DEP_1) | instskip(NEXT) | instid1(VALU_DEP_1)
	v_fma_f32 v15, -v11, v14, 1.0
	v_fmac_f32_e32 v14, v15, v14
	s_delay_alu instid0(VALU_DEP_1) | instskip(NEXT) | instid1(VALU_DEP_1)
	v_mul_f32_e32 v15, v16, v14
	v_fma_f32 v17, -v11, v15, v16
	s_delay_alu instid0(VALU_DEP_1) | instskip(NEXT) | instid1(VALU_DEP_1)
	v_fmac_f32_e32 v15, v17, v14
	v_fma_f32 v11, -v11, v15, v16
	s_wait_alu 0xfffd
	s_delay_alu instid0(VALU_DEP_1) | instskip(NEXT) | instid1(VALU_DEP_1)
	v_div_fmas_f32 v11, v11, v14, v15
	v_div_fixup_f32 v11, v11, v12, 1.0
	s_delay_alu instid0(VALU_DEP_1)
	v_mul_f32_e32 v13, v13, v11
	v_xor_b32_e32 v14, 0x80000000, v11
                                        ; implicit-def: $vgpr11_vgpr12
.LBB195_82:                             ;   in Loop: Header=BB195_3 Depth=1
	s_wait_alu 0xfffe
	s_and_not1_saveexec_b32 s49, s49
	s_cbranch_execz .LBB195_84
; %bb.83:                               ;   in Loop: Header=BB195_3 Depth=1
	v_div_scale_f32 v13, null, v11, v11, v12
	v_div_scale_f32 v16, vcc_lo, v12, v11, v12
	s_delay_alu instid0(VALU_DEP_2) | instskip(NEXT) | instid1(TRANS32_DEP_1)
	v_rcp_f32_e32 v14, v13
	v_fma_f32 v15, -v13, v14, 1.0
	s_delay_alu instid0(VALU_DEP_1) | instskip(NEXT) | instid1(VALU_DEP_1)
	v_fmac_f32_e32 v14, v15, v14
	v_mul_f32_e32 v15, v16, v14
	s_delay_alu instid0(VALU_DEP_1) | instskip(NEXT) | instid1(VALU_DEP_1)
	v_fma_f32 v17, -v13, v15, v16
	v_fmac_f32_e32 v15, v17, v14
	s_delay_alu instid0(VALU_DEP_1) | instskip(SKIP_1) | instid1(VALU_DEP_1)
	v_fma_f32 v13, -v13, v15, v16
	s_wait_alu 0xfffd
	v_div_fmas_f32 v13, v13, v14, v15
	s_delay_alu instid0(VALU_DEP_1) | instskip(NEXT) | instid1(VALU_DEP_1)
	v_div_fixup_f32 v14, v13, v11, v12
	v_fmac_f32_e32 v11, v12, v14
	s_delay_alu instid0(VALU_DEP_1) | instskip(NEXT) | instid1(VALU_DEP_1)
	v_div_scale_f32 v12, null, v11, v11, 1.0
	v_rcp_f32_e32 v13, v12
	s_delay_alu instid0(TRANS32_DEP_1) | instskip(NEXT) | instid1(VALU_DEP_1)
	v_fma_f32 v15, -v12, v13, 1.0
	v_fmac_f32_e32 v13, v15, v13
	v_div_scale_f32 v15, vcc_lo, 1.0, v11, 1.0
	s_delay_alu instid0(VALU_DEP_1) | instskip(NEXT) | instid1(VALU_DEP_1)
	v_mul_f32_e32 v16, v15, v13
	v_fma_f32 v17, -v12, v16, v15
	s_delay_alu instid0(VALU_DEP_1) | instskip(NEXT) | instid1(VALU_DEP_1)
	v_fmac_f32_e32 v16, v17, v13
	v_fma_f32 v12, -v12, v16, v15
	s_wait_alu 0xfffd
	s_delay_alu instid0(VALU_DEP_1) | instskip(NEXT) | instid1(VALU_DEP_1)
	v_div_fmas_f32 v12, v12, v13, v16
	v_div_fixup_f32 v13, v12, v11, 1.0
	s_delay_alu instid0(VALU_DEP_1)
	v_mul_f32_e64 v14, v14, -v13
.LBB195_84:                             ;   in Loop: Header=BB195_3 Depth=1
	s_wait_alu 0xfffe
	s_or_b32 exec_lo, exec_lo, s49
	ds_store_b64 v39, v[13:14]
.LBB195_85:                             ;   in Loop: Header=BB195_3 Depth=1
	s_wait_alu 0xfffe
	s_and_not1_saveexec_b32 s38, s38
; %bb.86:                               ;   in Loop: Header=BB195_3 Depth=1
	ds_store_b64 v39, v[3:4]
; %bb.87:                               ;   in Loop: Header=BB195_3 Depth=1
	s_wait_alu 0xfffe
	s_or_b32 exec_lo, exec_lo, s38
	s_mov_b32 s38, 0
.LBB195_88:                             ;   in Loop: Header=BB195_3 Depth=1
	s_wait_alu 0xfffe
	s_and_not1_b32 vcc_lo, exec_lo, s38
	s_wait_alu 0xfffe
	s_cbranch_vccnz .LBB195_90
; %bb.89:                               ;   in Loop: Header=BB195_3 Depth=1
	ds_store_b64 v39, v[3:4]
.LBB195_90:                             ;   in Loop: Header=BB195_3 Depth=1
	s_wait_alu 0xfffe
	s_or_b32 exec_lo, exec_lo, s39
	s_wait_loadcnt_dscnt 0x0
	s_barrier_signal -1
	s_barrier_wait -1
	global_inv scope:SCOPE_SE
	s_and_saveexec_b32 s38, s1
	s_cbranch_execz .LBB195_102
; %bb.91:                               ;   in Loop: Header=BB195_3 Depth=1
	v_dual_mov_b32 v11, v42 :: v_dual_mov_b32 v12, v41
	s_mov_b32 s39, 0
	s_branch .LBB195_93
.LBB195_92:                             ;   in Loop: Header=BB195_93 Depth=2
	v_add_nc_u32_e32 v12, 0x80, v12
	v_add_nc_u32_e32 v11, 0x88, v11
	s_wait_alu 0xfffe
	s_cmp_eq_u32 s39, 16
	s_cbranch_scc1 .LBB195_102
.LBB195_93:                             ;   Parent Loop BB195_3 Depth=1
                                        ; =>  This Loop Header: Depth=2
                                        ;       Child Loop BB195_98 Depth 3
	v_dual_mov_b32 v13, 0 :: v_dual_mov_b32 v14, 0
	s_wait_alu 0xfffe
	s_mov_b32 s49, s39
	s_mov_b32 s39, exec_lo
	s_wait_alu 0xfffe
	v_cmpx_lt_i32_e64 s49, v2
	s_cbranch_execz .LBB195_95
; %bb.94:                               ;   in Loop: Header=BB195_93 Depth=2
	v_mad_co_u64_u32 v[13:14], null, 0x88, s49, v[1:2]
	v_lshl_add_u32 v14, s49, 7, v40
	ds_load_b64 v[14:15], v14
	ds_load_b64 v[16:17], v13
	s_wait_dscnt 0x0
	v_mul_f32_e32 v13, v17, v15
	v_mul_f32_e32 v15, v16, v15
	s_delay_alu instid0(VALU_DEP_2) | instskip(NEXT) | instid1(VALU_DEP_2)
	v_fma_f32 v13, v16, v14, -v13
	v_fmac_f32_e32 v15, v17, v14
	s_delay_alu instid0(VALU_DEP_1)
	v_dual_add_f32 v13, 0, v13 :: v_dual_add_f32 v14, 0, v15
.LBB195_95:                             ;   in Loop: Header=BB195_93 Depth=2
	s_or_b32 exec_lo, exec_lo, s39
	s_add_co_i32 s39, s49, 1
	s_cmp_gt_u32 s49, 14
	s_cbranch_scc1 .LBB195_92
; %bb.96:                               ;   in Loop: Header=BB195_93 Depth=2
	v_dual_mov_b32 v15, v11 :: v_dual_mov_b32 v16, v12
	s_lshl_b32 s49, s49, 7
	s_wait_alu 0xfffe
	s_mov_b32 s50, s39
	s_branch .LBB195_98
.LBB195_97:                             ;   in Loop: Header=BB195_98 Depth=3
	s_wait_alu 0xfffe
	s_or_b32 exec_lo, exec_lo, s90
	v_add_nc_u32_e32 v16, 0x80, v16
	v_add_nc_u32_e32 v15, 8, v15
	s_add_co_i32 s50, s50, 1
	s_wait_alu 0xfffe
	s_cmp_eq_u32 s50, 16
	s_cbranch_scc1 .LBB195_92
.LBB195_98:                             ;   Parent Loop BB195_3 Depth=1
                                        ;     Parent Loop BB195_93 Depth=2
                                        ; =>    This Inner Loop Header: Depth=3
	s_mov_b32 s90, exec_lo
	s_wait_alu 0xfffe
	v_cmpx_eq_u32_e64 s50, v2
	s_cbranch_execz .LBB195_100
; %bb.99:                               ;   in Loop: Header=BB195_98 Depth=3
	ds_load_b64 v[17:18], v39
	s_wait_dscnt 0x0
	v_dual_sub_f32 v58, 0, v13 :: v_dual_mul_f32 v57, v14, v18
	v_mul_f32_e32 v59, v14, v17
	s_delay_alu instid0(VALU_DEP_2) | instskip(NEXT) | instid1(VALU_DEP_2)
	v_fmac_f32_e32 v57, v58, v17
	v_fma_f32 v58, -v13, v18, -v59
	v_add_nc_u32_e32 v17, s49, v40
	ds_store_b64 v17, v[57:58]
.LBB195_100:                            ;   in Loop: Header=BB195_98 Depth=3
	s_or_b32 exec_lo, exec_lo, s90
	s_delay_alu instid0(SALU_CYCLE_1)
	s_mov_b32 s90, exec_lo
	v_cmpx_lt_i32_e64 s50, v2
	s_cbranch_execz .LBB195_97
; %bb.101:                              ;   in Loop: Header=BB195_98 Depth=3
	ds_load_b64 v[17:18], v16
	ds_load_b64 v[57:58], v15
	s_wait_dscnt 0x0
	v_mul_f32_e32 v59, v58, v18
	v_mul_f32_e32 v18, v57, v18
	s_delay_alu instid0(VALU_DEP_2) | instskip(NEXT) | instid1(VALU_DEP_2)
	v_fma_f32 v57, v57, v17, -v59
	v_fmac_f32_e32 v18, v58, v17
	s_delay_alu instid0(VALU_DEP_1)
	v_dual_add_f32 v13, v13, v57 :: v_dual_add_f32 v14, v14, v18
	s_branch .LBB195_97
.LBB195_102:                            ;   in Loop: Header=BB195_3 Depth=1
	s_wait_alu 0xfffe
	s_or_b32 exec_lo, exec_lo, s38
	s_delay_alu instid0(SALU_CYCLE_1)
	s_and_b32 vcc_lo, exec_lo, s93
	s_wait_loadcnt_dscnt 0x0
	s_barrier_signal -1
	s_barrier_wait -1
	global_inv scope:SCOPE_SE
	s_wait_alu 0xfffe
	s_cbranch_vccz .LBB195_107
; %bb.103:                              ;   in Loop: Header=BB195_3 Depth=1
	s_mov_b32 s39, 0
	s_mov_b32 s38, 0
                                        ; implicit-def: $vgpr12
	s_and_saveexec_b32 s49, s3
	s_cbranch_execz .LBB195_108
; %bb.104:                              ;   in Loop: Header=BB195_3 Depth=1
	v_dual_mov_b32 v12, 0 :: v_dual_mov_b32 v13, v19
	v_dual_mov_b32 v14, v44 :: v_dual_mov_b32 v15, v43
	v_mov_b32_e32 v11, 0
.LBB195_105:                            ;   Parent Loop BB195_3 Depth=1
                                        ; =>  This Inner Loop Header: Depth=2
	ds_load_b64 v[16:17], v13
	ds_load_b64 v[57:58], v14
	v_add_nc_u32_e32 v13, 0x80, v13
	v_add_nc_u32_e32 v15, -1, v15
	v_add_nc_u32_e32 v14, -8, v14
	s_delay_alu instid0(VALU_DEP_2)
	v_cmp_eq_u32_e32 vcc_lo, 0, v15
	s_wait_alu 0xfffe
	s_or_b32 s38, vcc_lo, s38
	s_wait_dscnt 0x0
	v_mul_f32_e32 v18, v58, v17
	v_mul_f32_e32 v17, v57, v17
	s_delay_alu instid0(VALU_DEP_2) | instskip(NEXT) | instid1(VALU_DEP_2)
	v_fma_f32 v18, v57, v16, -v18
	v_fmac_f32_e32 v17, v58, v16
	s_delay_alu instid0(VALU_DEP_1)
	v_dual_add_f32 v11, v11, v18 :: v_dual_add_f32 v12, v12, v17
	s_wait_alu 0xfffe
	s_and_not1_b32 exec_lo, exec_lo, s38
	s_cbranch_execnz .LBB195_105
; %bb.106:                              ;   in Loop: Header=BB195_3 Depth=1
	s_or_b32 exec_lo, exec_lo, s38
	s_delay_alu instid0(SALU_CYCLE_1) | instskip(SKIP_1) | instid1(SALU_CYCLE_1)
	s_mov_b32 s38, exec_lo
	s_or_b32 exec_lo, exec_lo, s49
	s_and_b32 vcc_lo, exec_lo, s39
	s_wait_alu 0xfffe
	s_cbranch_vccnz .LBB195_109
	s_branch .LBB195_114
.LBB195_107:                            ;   in Loop: Header=BB195_3 Depth=1
	s_mov_b32 s38, 0
                                        ; implicit-def: $vgpr12
	s_cbranch_execnz .LBB195_109
	s_branch .LBB195_114
.LBB195_108:                            ;   in Loop: Header=BB195_3 Depth=1
	s_wait_alu 0xfffe
	s_or_b32 exec_lo, exec_lo, s49
	s_delay_alu instid0(SALU_CYCLE_1)
	s_and_b32 vcc_lo, exec_lo, s39
	s_wait_alu 0xfffe
	s_cbranch_vccz .LBB195_114
.LBB195_109:                            ;   in Loop: Header=BB195_3 Depth=1
                                        ; implicit-def: $vgpr12
	s_and_saveexec_b32 s39, s3
	s_cbranch_execz .LBB195_113
; %bb.110:                              ;   in Loop: Header=BB195_3 Depth=1
	v_dual_mov_b32 v12, 0 :: v_dual_mov_b32 v13, v45
	v_dual_mov_b32 v14, v47 :: v_dual_mov_b32 v15, v46
	v_mov_b32_e32 v11, 0
	s_mov_b32 s49, 0
.LBB195_111:                            ;   Parent Loop BB195_3 Depth=1
                                        ; =>  This Inner Loop Header: Depth=2
	ds_load_b64 v[16:17], v13
	ds_load_b64 v[57:58], v14
	v_add_nc_u32_e32 v13, 0x80, v13
	v_add_nc_u32_e32 v15, 1, v15
	;; [unrolled: 1-line block ×3, first 2 shown]
	s_delay_alu instid0(VALU_DEP_2)
	v_cmp_lt_u32_e32 vcc_lo, 14, v15
	s_wait_alu 0xfffe
	s_or_b32 s49, vcc_lo, s49
	s_wait_dscnt 0x0
	v_mul_f32_e32 v18, v58, v17
	v_mul_f32_e32 v17, v57, v17
	s_delay_alu instid0(VALU_DEP_2) | instskip(NEXT) | instid1(VALU_DEP_2)
	v_fma_f32 v18, v57, v16, -v18
	v_fmac_f32_e32 v17, v58, v16
	s_delay_alu instid0(VALU_DEP_1)
	v_dual_add_f32 v11, v11, v18 :: v_dual_add_f32 v12, v12, v17
	s_wait_alu 0xfffe
	s_and_not1_b32 exec_lo, exec_lo, s49
	s_cbranch_execnz .LBB195_111
; %bb.112:                              ;   in Loop: Header=BB195_3 Depth=1
	s_or_b32 exec_lo, exec_lo, s49
	s_delay_alu instid0(SALU_CYCLE_1)
	s_or_b32 s38, s38, exec_lo
.LBB195_113:                            ;   in Loop: Header=BB195_3 Depth=1
	s_wait_alu 0xfffe
	s_or_b32 exec_lo, exec_lo, s39
.LBB195_114:                            ;   in Loop: Header=BB195_3 Depth=1
	s_wait_alu 0xfffe
	s_and_saveexec_b32 s39, s38
; %bb.115:                              ;   in Loop: Header=BB195_3 Depth=1
	ds_store_b64 v20, v[11:12]
; %bb.116:                              ;   in Loop: Header=BB195_3 Depth=1
	s_wait_alu 0xfffe
	s_or_b32 exec_lo, exec_lo, s39
	s_delay_alu instid0(SALU_CYCLE_1)
	s_and_b32 vcc_lo, exec_lo, s93
	s_wait_loadcnt_dscnt 0x0
	s_barrier_signal -1
	s_barrier_wait -1
	global_inv scope:SCOPE_SE
	s_wait_alu 0xfffe
	s_cbranch_vccz .LBB195_121
; %bb.117:                              ;   in Loop: Header=BB195_3 Depth=1
	s_mov_b32 s38, 0
	s_mov_b32 s49, 0
                                        ; implicit-def: $vgpr12
                                        ; implicit-def: $vgpr11
	s_and_saveexec_b32 s39, s3
	s_cbranch_execz .LBB195_127
; %bb.118:                              ;   in Loop: Header=BB195_3 Depth=1
	v_dual_mov_b32 v11, 0 :: v_dual_mov_b32 v14, v49
	v_dual_mov_b32 v13, v50 :: v_dual_mov_b32 v12, 0
	v_mov_b32_e32 v15, v48
.LBB195_119:                            ;   Parent Loop BB195_3 Depth=1
                                        ; =>  This Inner Loop Header: Depth=2
	ds_load_b64 v[16:17], v13
	ds_load_b64 v[57:58], v14
	v_add_nc_u32_e32 v14, 8, v14
	v_add_nc_u32_e32 v15, 1, v15
	;; [unrolled: 1-line block ×3, first 2 shown]
	s_delay_alu instid0(VALU_DEP_2)
	v_cmp_lt_u32_e32 vcc_lo, 14, v15
	s_wait_alu 0xfffe
	s_or_b32 s49, vcc_lo, s49
	s_wait_dscnt 0x0
	v_mul_f32_e32 v18, v16, v57
	v_mul_f32_e32 v16, v16, v58
	s_delay_alu instid0(VALU_DEP_2) | instskip(NEXT) | instid1(VALU_DEP_2)
	v_fma_f32 v18, v17, v58, -v18
	v_fma_f32 v16, v57, -v17, -v16
	s_delay_alu instid0(VALU_DEP_1)
	v_dual_add_f32 v11, v11, v18 :: v_dual_add_f32 v12, v12, v16
	s_wait_alu 0xfffe
	s_and_not1_b32 exec_lo, exec_lo, s49
	s_cbranch_execnz .LBB195_119
; %bb.120:                              ;   in Loop: Header=BB195_3 Depth=1
	s_or_b32 exec_lo, exec_lo, s49
	s_delay_alu instid0(SALU_CYCLE_1) | instskip(SKIP_1) | instid1(SALU_CYCLE_1)
	s_mov_b32 s49, exec_lo
	s_or_b32 exec_lo, exec_lo, s39
	s_and_b32 vcc_lo, exec_lo, s38
	s_wait_alu 0xfffe
	s_cbranch_vccnz .LBB195_122
	s_branch .LBB195_128
.LBB195_121:                            ;   in Loop: Header=BB195_3 Depth=1
	s_mov_b32 s49, 0
                                        ; implicit-def: $vgpr12
                                        ; implicit-def: $vgpr11
	s_cbranch_execz .LBB195_128
.LBB195_122:                            ;   in Loop: Header=BB195_3 Depth=1
                                        ; implicit-def: $vgpr12
                                        ; implicit-def: $vgpr11
	s_and_saveexec_b32 s38, s3
	s_cbranch_execz .LBB195_126
; %bb.123:                              ;   in Loop: Header=BB195_3 Depth=1
	v_dual_mov_b32 v11, 0 :: v_dual_mov_b32 v14, v52
	v_dual_mov_b32 v13, v53 :: v_dual_mov_b32 v12, 0
	v_mov_b32_e32 v15, v51
	s_mov_b32 s39, 0
.LBB195_124:                            ;   Parent Loop BB195_3 Depth=1
                                        ; =>  This Inner Loop Header: Depth=2
	ds_load_b64 v[16:17], v13
	ds_load_b64 v[57:58], v14
	v_add_nc_u32_e32 v14, 8, v14
	v_add_nc_u32_e32 v15, -1, v15
	v_add_nc_u32_e32 v13, 0x80, v13
	s_delay_alu instid0(VALU_DEP_2)
	v_cmp_eq_u32_e32 vcc_lo, 0, v15
	s_wait_alu 0xfffe
	s_or_b32 s39, vcc_lo, s39
	s_wait_dscnt 0x0
	v_mul_f32_e32 v18, v16, v57
	v_mul_f32_e32 v16, v16, v58
	s_delay_alu instid0(VALU_DEP_2) | instskip(NEXT) | instid1(VALU_DEP_2)
	v_fma_f32 v18, v17, v58, -v18
	v_fma_f32 v16, v57, -v17, -v16
	s_delay_alu instid0(VALU_DEP_1)
	v_dual_add_f32 v11, v11, v18 :: v_dual_add_f32 v12, v12, v16
	s_wait_alu 0xfffe
	s_and_not1_b32 exec_lo, exec_lo, s39
	s_cbranch_execnz .LBB195_124
; %bb.125:                              ;   in Loop: Header=BB195_3 Depth=1
	s_or_b32 exec_lo, exec_lo, s39
	s_delay_alu instid0(SALU_CYCLE_1)
	s_or_b32 s49, s49, exec_lo
.LBB195_126:                            ;   in Loop: Header=BB195_3 Depth=1
	s_wait_alu 0xfffe
	s_or_b32 exec_lo, exec_lo, s38
	s_mov_b64 s[90:91], 0x80
	s_mov_b64 s[38:39], 0x84
	s_branch .LBB195_129
.LBB195_127:                            ;   in Loop: Header=BB195_3 Depth=1
	s_wait_alu 0xfffe
	s_or_b32 exec_lo, exec_lo, s39
	s_delay_alu instid0(SALU_CYCLE_1)
	s_and_b32 vcc_lo, exec_lo, s38
	s_wait_alu 0xfffe
	s_cbranch_vccnz .LBB195_122
.LBB195_128:                            ;   in Loop: Header=BB195_3 Depth=1
	s_mov_b64 s[90:91], 0x4000
	s_mov_b64 s[38:39], 0x4004
.LBB195_129:                            ;   in Loop: Header=BB195_3 Depth=1
	v_add_co_u32 v9, vcc_lo, v9, s66
	s_wait_alu 0xfffd
	v_add_co_ci_u32_e64 v10, null, s67, v10, vcc_lo
	s_delay_alu instid0(VALU_DEP_2) | instskip(SKIP_1) | instid1(VALU_DEP_2)
	v_add_co_u32 v9, vcc_lo, v9, s95
	s_wait_alu 0xfffd
	v_add_co_ci_u32_e64 v10, null, 0, v10, vcc_lo
	s_delay_alu instid0(VALU_DEP_2) | instskip(SKIP_1) | instid1(VALU_DEP_2)
	v_add_co_u32 v9, vcc_lo, v9, s46
	s_wait_alu 0xfffd
	v_add_co_ci_u32_e64 v10, null, s47, v10, vcc_lo
	s_wait_alu 0xfffe
	s_and_saveexec_b32 s50, s49
	s_cbranch_execz .LBB195_131
; %bb.130:                              ;   in Loop: Header=BB195_3 Depth=1
	v_add_co_u32 v15, vcc_lo, v9, v56
	s_wait_alu 0xfffd
	v_add_co_ci_u32_e64 v16, null, 0, v10, vcc_lo
	s_delay_alu instid0(VALU_DEP_2) | instskip(SKIP_1) | instid1(VALU_DEP_2)
	v_add_co_u32 v13, vcc_lo, v15, s90
	s_wait_alu 0xfffd
	v_add_co_ci_u32_e64 v14, null, s91, v16, vcc_lo
	v_add_co_u32 v15, vcc_lo, v15, s38
	s_wait_alu 0xfffd
	v_add_co_ci_u32_e64 v16, null, s39, v16, vcc_lo
	s_clause 0x1
	flat_store_b32 v[13:14], v11
	flat_store_b32 v[15:16], v12
.LBB195_131:                            ;   in Loop: Header=BB195_3 Depth=1
	s_wait_alu 0xfffe
	s_or_b32 exec_lo, exec_lo, s50
	s_and_saveexec_b32 s39, s1
	s_cbranch_execz .LBB195_2
; %bb.132:                              ;   in Loop: Header=BB195_3 Depth=1
	s_and_not1_b32 vcc_lo, exec_lo, s93
	s_mov_b32 s38, -1
	s_wait_alu 0xfffe
	s_cbranch_vccnz .LBB195_137
; %bb.133:                              ;   in Loop: Header=BB195_3 Depth=1
	s_and_saveexec_b32 s49, s36
	s_cbranch_execz .LBB195_136
; %bb.134:                              ;   in Loop: Header=BB195_3 Depth=1
	v_lshlrev_b32_e32 v11, 3, v0
	v_mov_b32_e32 v13, v54
	s_mov_b32 s50, 16
	s_mov_b32 s90, 0
	s_delay_alu instid0(VALU_DEP_2) | instskip(SKIP_2) | instid1(VALU_DEP_2)
	v_add_co_u32 v11, vcc_lo, v9, v11
	s_wait_alu 0xfffd
	v_add_co_ci_u32_e64 v12, null, 0, v10, vcc_lo
	v_add_co_u32 v11, vcc_lo, v11, v5
	s_wait_alu 0xfffd
	s_delay_alu instid0(VALU_DEP_2)
	v_add_co_ci_u32_e64 v12, null, v12, v6, vcc_lo
.LBB195_135:                            ;   Parent Loop BB195_3 Depth=1
                                        ; =>  This Inner Loop Header: Depth=2
	ds_load_b64 v[14:15], v13
	s_wait_alu 0xfffe
	s_add_co_i32 s50, s50, -1
	v_add_nc_u32_e32 v13, 0x80, v13
	s_wait_alu 0xfffe
	s_lshl_b64 s[96:97], s[50:51], 10
	v_cmp_le_i32_e32 vcc_lo, s50, v2
	s_wait_alu 0xfffe
	v_add_co_u32 v16, s38, v11, s96
	s_wait_alu 0xf1ff
	v_add_co_ci_u32_e64 v17, null, s97, v12, s38
	s_or_b32 s90, vcc_lo, s90
	s_wait_dscnt 0x0
	flat_store_b64 v[16:17], v[14:15]
	s_wait_alu 0xfffe
	s_and_not1_b32 exec_lo, exec_lo, s90
	s_cbranch_execnz .LBB195_135
.LBB195_136:                            ;   in Loop: Header=BB195_3 Depth=1
	s_wait_alu 0xfffe
	s_or_b32 exec_lo, exec_lo, s49
	s_mov_b32 s38, 0
.LBB195_137:                            ;   in Loop: Header=BB195_3 Depth=1
	s_wait_alu 0xfffe
	s_and_not1_b32 vcc_lo, exec_lo, s38
	s_wait_alu 0xfffe
	s_cbranch_vccnz .LBB195_2
; %bb.138:                              ;   in Loop: Header=BB195_3 Depth=1
	s_and_b32 exec_lo, exec_lo, s37
	s_cbranch_execz .LBB195_2
; %bb.139:                              ;   in Loop: Header=BB195_3 Depth=1
	v_dual_mov_b32 v12, v55 :: v_dual_lshlrev_b32 v11, 3, v0
	s_mov_b32 s49, 0
	s_delay_alu instid0(VALU_DEP_1) | instskip(SKIP_3) | instid1(VALU_DEP_3)
	v_add_co_u32 v9, vcc_lo, v9, v11
	s_wait_alu 0xfffd
	v_add_co_ci_u32_e64 v10, null, 0, v10, vcc_lo
	v_mov_b32_e32 v11, v40
	v_add_co_u32 v9, vcc_lo, v9, v5
	s_wait_alu 0xfffd
	s_delay_alu instid0(VALU_DEP_3)
	v_add_co_ci_u32_e64 v10, null, v10, v6, vcc_lo
.LBB195_140:                            ;   Parent Loop BB195_3 Depth=1
                                        ; =>  This Inner Loop Header: Depth=2
	ds_load_b64 v[13:14], v11
	v_add_nc_u32_e32 v12, -1, v12
	v_add_nc_u32_e32 v11, 0x80, v11
	s_delay_alu instid0(VALU_DEP_2)
	v_cmp_eq_u32_e32 vcc_lo, 0, v12
	s_wait_alu 0xfffe
	s_or_b32 s49, vcc_lo, s49
	s_wait_dscnt 0x0
	flat_store_b64 v[9:10], v[13:14]
	v_add_co_u32 v9, s38, 0x400, v9
	s_wait_alu 0xf1ff
	v_add_co_ci_u32_e64 v10, null, 0, v10, s38
	s_wait_alu 0xfffe
	s_and_not1_b32 exec_lo, exec_lo, s49
	s_cbranch_execnz .LBB195_140
	s_branch .LBB195_2
.LBB195_141:
	s_endpgm
	.section	.rodata,"a",@progbits
	.p2align	6, 0x0
	.amdhsa_kernel _ZL25rocblas_trtri_trsm_kernelILi128ELi16ELi8E19rocblas_complex_numIfEPKPKS1_PKPS1_Ev13rocblas_fill_17rocblas_diagonal_T3_lilT4_lli
		.amdhsa_group_segment_fixed_size 8192
		.amdhsa_private_segment_fixed_size 0
		.amdhsa_kernarg_size 68
		.amdhsa_user_sgpr_count 2
		.amdhsa_user_sgpr_dispatch_ptr 0
		.amdhsa_user_sgpr_queue_ptr 0
		.amdhsa_user_sgpr_kernarg_segment_ptr 1
		.amdhsa_user_sgpr_dispatch_id 0
		.amdhsa_user_sgpr_private_segment_size 0
		.amdhsa_wavefront_size32 1
		.amdhsa_uses_dynamic_stack 0
		.amdhsa_enable_private_segment 0
		.amdhsa_system_sgpr_workgroup_id_x 1
		.amdhsa_system_sgpr_workgroup_id_y 0
		.amdhsa_system_sgpr_workgroup_id_z 1
		.amdhsa_system_sgpr_workgroup_info 0
		.amdhsa_system_vgpr_workitem_id 0
		.amdhsa_next_free_vgpr 60
		.amdhsa_next_free_sgpr 98
		.amdhsa_reserve_vcc 1
		.amdhsa_float_round_mode_32 0
		.amdhsa_float_round_mode_16_64 0
		.amdhsa_float_denorm_mode_32 3
		.amdhsa_float_denorm_mode_16_64 3
		.amdhsa_fp16_overflow 0
		.amdhsa_workgroup_processor_mode 1
		.amdhsa_memory_ordered 1
		.amdhsa_forward_progress 1
		.amdhsa_inst_pref_size 59
		.amdhsa_round_robin_scheduling 0
		.amdhsa_exception_fp_ieee_invalid_op 0
		.amdhsa_exception_fp_denorm_src 0
		.amdhsa_exception_fp_ieee_div_zero 0
		.amdhsa_exception_fp_ieee_overflow 0
		.amdhsa_exception_fp_ieee_underflow 0
		.amdhsa_exception_fp_ieee_inexact 0
		.amdhsa_exception_int_div_zero 0
	.end_amdhsa_kernel
	.section	.text._ZL25rocblas_trtri_trsm_kernelILi128ELi16ELi8E19rocblas_complex_numIfEPKPKS1_PKPS1_Ev13rocblas_fill_17rocblas_diagonal_T3_lilT4_lli,"axG",@progbits,_ZL25rocblas_trtri_trsm_kernelILi128ELi16ELi8E19rocblas_complex_numIfEPKPKS1_PKPS1_Ev13rocblas_fill_17rocblas_diagonal_T3_lilT4_lli,comdat
.Lfunc_end195:
	.size	_ZL25rocblas_trtri_trsm_kernelILi128ELi16ELi8E19rocblas_complex_numIfEPKPKS1_PKPS1_Ev13rocblas_fill_17rocblas_diagonal_T3_lilT4_lli, .Lfunc_end195-_ZL25rocblas_trtri_trsm_kernelILi128ELi16ELi8E19rocblas_complex_numIfEPKPKS1_PKPS1_Ev13rocblas_fill_17rocblas_diagonal_T3_lilT4_lli
                                        ; -- End function
	.set _ZL25rocblas_trtri_trsm_kernelILi128ELi16ELi8E19rocblas_complex_numIfEPKPKS1_PKPS1_Ev13rocblas_fill_17rocblas_diagonal_T3_lilT4_lli.num_vgpr, 60
	.set _ZL25rocblas_trtri_trsm_kernelILi128ELi16ELi8E19rocblas_complex_numIfEPKPKS1_PKPS1_Ev13rocblas_fill_17rocblas_diagonal_T3_lilT4_lli.num_agpr, 0
	.set _ZL25rocblas_trtri_trsm_kernelILi128ELi16ELi8E19rocblas_complex_numIfEPKPKS1_PKPS1_Ev13rocblas_fill_17rocblas_diagonal_T3_lilT4_lli.numbered_sgpr, 98
	.set _ZL25rocblas_trtri_trsm_kernelILi128ELi16ELi8E19rocblas_complex_numIfEPKPKS1_PKPS1_Ev13rocblas_fill_17rocblas_diagonal_T3_lilT4_lli.num_named_barrier, 0
	.set _ZL25rocblas_trtri_trsm_kernelILi128ELi16ELi8E19rocblas_complex_numIfEPKPKS1_PKPS1_Ev13rocblas_fill_17rocblas_diagonal_T3_lilT4_lli.private_seg_size, 0
	.set _ZL25rocblas_trtri_trsm_kernelILi128ELi16ELi8E19rocblas_complex_numIfEPKPKS1_PKPS1_Ev13rocblas_fill_17rocblas_diagonal_T3_lilT4_lli.uses_vcc, 1
	.set _ZL25rocblas_trtri_trsm_kernelILi128ELi16ELi8E19rocblas_complex_numIfEPKPKS1_PKPS1_Ev13rocblas_fill_17rocblas_diagonal_T3_lilT4_lli.uses_flat_scratch, 1
	.set _ZL25rocblas_trtri_trsm_kernelILi128ELi16ELi8E19rocblas_complex_numIfEPKPKS1_PKPS1_Ev13rocblas_fill_17rocblas_diagonal_T3_lilT4_lli.has_dyn_sized_stack, 0
	.set _ZL25rocblas_trtri_trsm_kernelILi128ELi16ELi8E19rocblas_complex_numIfEPKPKS1_PKPS1_Ev13rocblas_fill_17rocblas_diagonal_T3_lilT4_lli.has_recursion, 0
	.set _ZL25rocblas_trtri_trsm_kernelILi128ELi16ELi8E19rocblas_complex_numIfEPKPKS1_PKPS1_Ev13rocblas_fill_17rocblas_diagonal_T3_lilT4_lli.has_indirect_call, 0
	.section	.AMDGPU.csdata,"",@progbits
; Kernel info:
; codeLenInByte = 7444
; TotalNumSgprs: 100
; NumVgprs: 60
; ScratchSize: 0
; MemoryBound: 0
; FloatMode: 240
; IeeeMode: 1
; LDSByteSize: 8192 bytes/workgroup (compile time only)
; SGPRBlocks: 0
; VGPRBlocks: 7
; NumSGPRsForWavesPerEU: 100
; NumVGPRsForWavesPerEU: 60
; Occupancy: 16
; WaveLimiterHint : 1
; COMPUTE_PGM_RSRC2:SCRATCH_EN: 0
; COMPUTE_PGM_RSRC2:USER_SGPR: 2
; COMPUTE_PGM_RSRC2:TRAP_HANDLER: 0
; COMPUTE_PGM_RSRC2:TGID_X_EN: 1
; COMPUTE_PGM_RSRC2:TGID_Y_EN: 0
; COMPUTE_PGM_RSRC2:TGID_Z_EN: 1
; COMPUTE_PGM_RSRC2:TIDIG_COMP_CNT: 0
	.section	.text._ZL18rocblas_trtri_fillILi128E19rocblas_complex_numIfEPKPS1_EvP15_rocblas_handle13rocblas_fill_ililT1_llii,"axG",@progbits,_ZL18rocblas_trtri_fillILi128E19rocblas_complex_numIfEPKPS1_EvP15_rocblas_handle13rocblas_fill_ililT1_llii,comdat
	.globl	_ZL18rocblas_trtri_fillILi128E19rocblas_complex_numIfEPKPS1_EvP15_rocblas_handle13rocblas_fill_ililT1_llii ; -- Begin function _ZL18rocblas_trtri_fillILi128E19rocblas_complex_numIfEPKPS1_EvP15_rocblas_handle13rocblas_fill_ililT1_llii
	.p2align	8
	.type	_ZL18rocblas_trtri_fillILi128E19rocblas_complex_numIfEPKPS1_EvP15_rocblas_handle13rocblas_fill_ililT1_llii,@function
_ZL18rocblas_trtri_fillILi128E19rocblas_complex_numIfEPKPS1_EvP15_rocblas_handle13rocblas_fill_ililT1_llii: ; @_ZL18rocblas_trtri_fillILi128E19rocblas_complex_numIfEPKPS1_EvP15_rocblas_handle13rocblas_fill_ililT1_llii
; %bb.0:
	s_load_b64 s[2:3], s[0:1], 0x40
	s_lshr_b32 s12, ttmp7, 16
	s_wait_kmcnt 0x0
	s_cmp_ge_u32 s12, s3
	s_cbranch_scc1 .LBB196_19
; %bb.1:
	s_clause 0x1
	s_load_b128 s[4:7], s[0:1], 0x8
	s_load_b32 s16, s[0:1], 0x18
	s_mov_b32 s14, ttmp9
	s_ashr_i32 s21, s2, 31
	s_mov_b32 s20, s2
	s_clause 0x1
	s_load_b128 s[8:11], s[0:1], 0x20
	s_load_b64 s[30:31], s[0:1], 0x30
	s_add_nc_u64 s[26:27], s[0:1], 0x48
	s_wait_kmcnt 0x0
	v_cvt_f32_u32_e32 v1, s6
	s_add_co_i32 s13, s5, -2
	s_cvt_f32_u32 s15, s7
	s_ashr_i32 s19, s5, 31
	s_add_co_i32 s24, s5, -1
	v_rcp_iflag_f32_e32 v3, v1
	v_cvt_f64_i32_e32 v[1:2], s13
	s_cvt_f32_u32 s13, s6
	s_mov_b32 s18, s5
	s_sub_co_i32 s5, 0, s6
	s_ashr_i32 s25, s24, 31
	s_wait_alu 0xfffe
	s_fmamk_f32 s2, s15, 0x4f800000, s13
	s_mov_b32 s15, 0
	s_mul_u64 s[20:21], s[6:7], s[20:21]
	s_lshl_b64 s[22:23], s[14:15], 7
	s_delay_alu instid0(SALU_CYCLE_1) | instskip(SKIP_3) | instid1(VALU_DEP_1)
	v_dual_mul_f32 v3, 0x4f7ffffe, v3 :: v_dual_mov_b32 v4, s23
	v_s_rcp_f32 s2, s2
	s_mul_u64 s[24:25], s[24:25], s[18:19]
	s_ashr_i32 s17, s16, 31
	v_cvt_u32_f32_e32 v6, v3
	v_or_b32_e32 v3, s22, v0
	s_lshl_b64 s[22:23], s[24:25], 2
	s_lshr_b64 s[24:25], s[24:25], 1
	s_mul_f32 s13, s2, 0x5f7ffffc
	v_mul_lo_u32 v5, s5, v6
	s_wait_alu 0xfffe
	s_add_nc_u64 s[22:23], s[22:23], -7
	s_lshl_b64 s[30:31], s[30:31], 3
	s_mul_f32 s2, s13, 0x2f800000
	s_sub_nc_u64 s[34:35], 0, s[6:7]
	s_wait_alu 0xfffe
	s_delay_alu instid0(SALU_CYCLE_1)
	s_trunc_f32 s5, s2
	v_mul_hi_u32 v0, v6, v5
	v_cmp_gt_u64_e64 s2, s[20:21], v[3:4]
	v_mov_b32_e32 v5, 0
	s_wait_alu 0xfffe
	s_fmamk_f32 s13, s5, 0xcf800000, s13
	s_cvt_u32_f32 s29, s5
	s_wait_alu 0xfffe
	s_delay_alu instid0(SALU_CYCLE_1)
	s_cvt_u32_f32 s28, s13
	v_add_nc_u32_e32 v0, v6, v0
	s_branch .LBB196_3
.LBB196_2:                              ;   in Loop: Header=BB196_3 Depth=1
	s_wait_alu 0xfffe
	s_or_b32 exec_lo, exec_lo, s1
	s_add_co_i32 s12, s12, 0x10000
	s_wait_alu 0xfffe
	s_cmp_lt_u32 s12, s3
	s_cbranch_scc0 .LBB196_19
.LBB196_3:                              ; =>This Loop Header: Depth=1
                                        ;     Child Loop BB196_6 Depth 2
	s_and_saveexec_b32 s1, s2
	s_cbranch_execz .LBB196_2
; %bb.4:                                ;   in Loop: Header=BB196_3 Depth=1
	s_mov_b32 s13, s15
	s_clause 0x1
	s_load_b32 s0, s[26:27], 0xc
	s_load_b32 s14, s[26:27], 0x0
	s_lshl_b64 s[36:37], s[12:13], 3
	v_dual_mov_b32 v8, v4 :: v_dual_mov_b32 v7, v3
	s_wait_alu 0xfffe
	s_add_nc_u64 s[36:37], s[10:11], s[36:37]
	s_mov_b32 s5, 0
	s_load_b64 s[38:39], s[36:37], 0x0
	s_mov_b32 s37, s15
	s_wait_kmcnt 0x0
	s_and_b32 s36, s0, 0xffff
	s_wait_alu 0xfffe
	s_mul_u64 s[36:37], s[36:37], s[14:15]
	s_add_nc_u64 s[38:39], s[38:39], s[30:31]
	s_branch .LBB196_6
.LBB196_5:                              ;   in Loop: Header=BB196_6 Depth=2
	v_add_co_u32 v7, vcc_lo, v7, s36
	s_wait_alu 0xfffd
	v_add_co_ci_u32_e64 v8, null, s37, v8, vcc_lo
	s_delay_alu instid0(VALU_DEP_1)
	v_cmp_le_u64_e32 vcc_lo, s[20:21], v[7:8]
	s_or_b32 s5, vcc_lo, s5
	s_wait_alu 0xfffe
	s_and_not1_b32 exec_lo, exec_lo, s5
	s_cbranch_execz .LBB196_2
.LBB196_6:                              ;   Parent Loop BB196_3 Depth=1
                                        ; =>  This Inner Loop Header: Depth=2
	v_or_b32_e32 v6, s7, v8
                                        ; implicit-def: $vgpr9_vgpr10
	s_mov_b32 s0, exec_lo
	s_delay_alu instid0(VALU_DEP_1)
	v_cmpx_ne_u64_e32 0, v[5:6]
	s_wait_alu 0xfffe
	s_xor_b32 s13, exec_lo, s0
	s_cbranch_execz .LBB196_8
; %bb.7:                                ;   in Loop: Header=BB196_6 Depth=2
	s_mul_u64 s[40:41], s[34:35], s[28:29]
	s_delay_alu instid0(SALU_CYCLE_1)
	s_mul_hi_u32 s43, s28, s41
	s_mul_i32 s42, s28, s41
	s_mul_hi_u32 s14, s28, s40
	s_mul_hi_u32 s0, s29, s40
	s_wait_alu 0xfffe
	s_add_nc_u64 s[42:43], s[14:15], s[42:43]
	s_mul_i32 s14, s29, s40
	s_mul_hi_u32 s33, s29, s41
	s_wait_alu 0xfffe
	s_add_co_u32 s14, s42, s14
	s_add_co_ci_u32 s14, s43, s0
	s_add_co_ci_u32 s43, s33, 0
	s_mul_i32 s42, s29, s41
	s_wait_alu 0xfffe
	s_add_nc_u64 s[40:41], s[14:15], s[42:43]
	s_delay_alu instid0(SALU_CYCLE_1) | instskip(SKIP_4) | instid1(SALU_CYCLE_1)
	s_add_co_u32 s40, s28, s40
	s_cselect_b32 s0, -1, 0
	s_wait_alu 0xfffe
	s_cmp_lg_u32 s0, 0
	s_add_co_ci_u32 s41, s29, s41
	s_mul_u64 s[42:43], s[34:35], s[40:41]
	s_delay_alu instid0(SALU_CYCLE_1)
	s_mul_hi_u32 s45, s40, s43
	s_mul_i32 s44, s40, s43
	s_mul_hi_u32 s14, s40, s42
	s_mul_i32 s33, s41, s42
	s_wait_alu 0xfffe
	s_add_nc_u64 s[44:45], s[14:15], s[44:45]
	s_mul_hi_u32 s0, s41, s42
	s_mul_hi_u32 s46, s41, s43
	s_add_co_u32 s14, s44, s33
	s_wait_alu 0xfffe
	s_add_co_ci_u32 s14, s45, s0
	s_mul_i32 s42, s41, s43
	s_add_co_ci_u32 s43, s46, 0
	s_wait_alu 0xfffe
	s_add_nc_u64 s[42:43], s[14:15], s[42:43]
	s_delay_alu instid0(SALU_CYCLE_1)
	s_add_co_u32 s0, s40, s42
	s_cselect_b32 s14, -1, 0
	s_wait_alu 0xfffe
	v_mul_hi_u32 v6, v7, s0
	s_cmp_lg_u32 s14, 0
	v_mad_co_u64_u32 v[11:12], null, v8, s0, 0
	s_add_co_ci_u32 s14, s41, s43
	s_wait_alu 0xfffe
	v_mad_co_u64_u32 v[9:10], null, v7, s14, 0
	v_mad_co_u64_u32 v[13:14], null, v8, s14, 0
	s_delay_alu instid0(VALU_DEP_2) | instskip(SKIP_1) | instid1(VALU_DEP_3)
	v_add_co_u32 v6, vcc_lo, v6, v9
	s_wait_alu 0xfffd
	v_add_co_ci_u32_e64 v9, null, 0, v10, vcc_lo
	s_delay_alu instid0(VALU_DEP_2) | instskip(SKIP_1) | instid1(VALU_DEP_2)
	v_add_co_u32 v6, vcc_lo, v6, v11
	s_wait_alu 0xfffd
	v_add_co_ci_u32_e32 v6, vcc_lo, v9, v12, vcc_lo
	s_wait_alu 0xfffd
	v_add_co_ci_u32_e32 v9, vcc_lo, 0, v14, vcc_lo
	s_delay_alu instid0(VALU_DEP_2) | instskip(SKIP_1) | instid1(VALU_DEP_2)
	v_add_co_u32 v6, vcc_lo, v6, v13
	s_wait_alu 0xfffd
	v_add_co_ci_u32_e64 v11, null, 0, v9, vcc_lo
	s_delay_alu instid0(VALU_DEP_2) | instskip(SKIP_1) | instid1(VALU_DEP_3)
	v_mul_lo_u32 v12, s7, v6
	v_mad_co_u64_u32 v[9:10], null, s6, v6, 0
	v_mul_lo_u32 v13, s6, v11
	s_delay_alu instid0(VALU_DEP_2) | instskip(NEXT) | instid1(VALU_DEP_2)
	v_sub_co_u32 v9, vcc_lo, v7, v9
	v_add3_u32 v10, v10, v13, v12
	v_add_co_u32 v13, s0, v6, 2
	s_wait_alu 0xf1ff
	v_add_co_ci_u32_e64 v14, null, 0, v11, s0
	s_delay_alu instid0(VALU_DEP_3) | instskip(SKIP_3) | instid1(VALU_DEP_3)
	v_sub_nc_u32_e32 v12, v8, v10
	v_sub_co_u32 v15, s0, v9, s6
	s_wait_alu 0xfffd
	v_sub_co_ci_u32_e64 v10, null, v8, v10, vcc_lo
	v_subrev_co_ci_u32_e64 v12, null, s7, v12, vcc_lo
	s_delay_alu instid0(VALU_DEP_3) | instskip(SKIP_1) | instid1(VALU_DEP_2)
	v_cmp_le_u32_e32 vcc_lo, s6, v15
	s_wait_alu 0xf1ff
	v_subrev_co_ci_u32_e64 v12, null, 0, v12, s0
	s_wait_alu 0xfffd
	v_cndmask_b32_e64 v15, 0, -1, vcc_lo
	v_cmp_eq_u32_e64 s0, s7, v10
	s_delay_alu instid0(VALU_DEP_3)
	v_cmp_le_u32_e32 vcc_lo, s7, v12
	s_wait_alu 0xfffd
	v_cndmask_b32_e64 v16, 0, -1, vcc_lo
	v_cmp_le_u32_e32 vcc_lo, s6, v9
	s_wait_alu 0xfffd
	v_cndmask_b32_e64 v9, 0, -1, vcc_lo
	;; [unrolled: 3-line block ×3, first 2 shown]
	v_cmp_eq_u32_e32 vcc_lo, s7, v12
	s_wait_alu 0xf1ff
	s_delay_alu instid0(VALU_DEP_2)
	v_cndmask_b32_e64 v9, v17, v9, s0
	s_wait_alu 0xfffd
	v_cndmask_b32_e32 v12, v16, v15, vcc_lo
	v_add_co_u32 v15, vcc_lo, v6, 1
	s_wait_alu 0xfffd
	v_add_co_ci_u32_e64 v16, null, 0, v11, vcc_lo
	s_delay_alu instid0(VALU_DEP_3) | instskip(SKIP_2) | instid1(VALU_DEP_3)
	v_cmp_ne_u32_e32 vcc_lo, 0, v12
	s_wait_alu 0xfffd
	v_cndmask_b32_e32 v12, v15, v13, vcc_lo
	v_cndmask_b32_e32 v10, v16, v14, vcc_lo
	v_cmp_ne_u32_e32 vcc_lo, 0, v9
	s_wait_alu 0xfffd
	s_delay_alu instid0(VALU_DEP_2)
	v_dual_cndmask_b32 v9, v6, v12 :: v_dual_cndmask_b32 v10, v11, v10
.LBB196_8:                              ;   in Loop: Header=BB196_6 Depth=2
	s_wait_alu 0xfffe
	s_and_not1_saveexec_b32 s0, s13
	s_cbranch_execz .LBB196_10
; %bb.9:                                ;   in Loop: Header=BB196_6 Depth=2
	v_mul_hi_u32 v6, v7, v0
	s_delay_alu instid0(VALU_DEP_1) | instskip(NEXT) | instid1(VALU_DEP_1)
	v_mul_lo_u32 v9, v6, s6
	v_sub_nc_u32_e32 v9, v7, v9
	s_delay_alu instid0(VALU_DEP_1) | instskip(SKIP_2) | instid1(VALU_DEP_2)
	v_subrev_nc_u32_e32 v11, s6, v9
	v_cmp_le_u32_e32 vcc_lo, s6, v9
	s_wait_alu 0xfffd
	v_dual_cndmask_b32 v9, v9, v11 :: v_dual_add_nc_u32 v10, 1, v6
	s_delay_alu instid0(VALU_DEP_1) | instskip(NEXT) | instid1(VALU_DEP_2)
	v_cndmask_b32_e32 v6, v6, v10, vcc_lo
	v_cmp_le_u32_e32 vcc_lo, s6, v9
	s_delay_alu instid0(VALU_DEP_2) | instskip(SKIP_1) | instid1(VALU_DEP_1)
	v_add_nc_u32_e32 v10, 1, v6
	s_wait_alu 0xfffd
	v_dual_cndmask_b32 v9, v6, v10 :: v_dual_mov_b32 v10, v5
.LBB196_10:                             ;   in Loop: Header=BB196_6 Depth=2
	s_wait_alu 0xfffe
	s_or_b32 exec_lo, exec_lo, s0
	s_delay_alu instid0(VALU_DEP_1) | instskip(NEXT) | instid1(VALU_DEP_2)
	v_mul_lo_u32 v6, v10, s6
	v_mul_lo_u32 v13, v9, s7
	v_mad_co_u64_u32 v[11:12], null, v9, s6, 0
	s_cmp_lt_i32 s4, 0x7a
	v_add3_u32 v6, v12, v13, v6
	v_sub_co_u32 v11, vcc_lo, v7, v11
	s_wait_alu 0xfffd
	s_delay_alu instid0(VALU_DEP_2)
	v_sub_co_ci_u32_e64 v12, null, v8, v6, vcc_lo
	s_cbranch_scc1 .LBB196_13
; %bb.11:                               ;   in Loop: Header=BB196_6 Depth=2
	s_mov_b32 s0, 0
	s_cmp_eq_u32 s4, 0x7a
	s_mov_b32 s13, 0
                                        ; implicit-def: $vgpr13_vgpr14
	s_cbranch_scc0 .LBB196_14
; %bb.12:                               ;   in Loop: Header=BB196_6 Depth=2
	v_lshlrev_b64_e32 v[13:14], 3, v[11:12]
	s_mov_b32 s13, -1
	s_delay_alu instid0(VALU_DEP_1) | instskip(SKIP_1) | instid1(VALU_DEP_2)
	v_sub_co_u32 v6, vcc_lo, s22, v13
	s_wait_alu 0xfffd
	v_sub_co_ci_u32_e64 v13, null, s23, v14, vcc_lo
	s_delay_alu instid0(VALU_DEP_2) | instskip(NEXT) | instid1(VALU_DEP_2)
	v_cvt_f64_u32_e32 v[15:16], v6
	v_cvt_f64_u32_e32 v[13:14], v13
	s_delay_alu instid0(VALU_DEP_1) | instskip(NEXT) | instid1(VALU_DEP_1)
	v_ldexp_f64 v[13:14], v[13:14], 32
	v_add_f64_e32 v[13:14], v[13:14], v[15:16]
	s_delay_alu instid0(VALU_DEP_1) | instskip(SKIP_2) | instid1(VALU_DEP_1)
	v_cmp_gt_f64_e32 vcc_lo, 0x10000000, v[13:14]
	s_wait_alu 0xfffd
	v_cndmask_b32_e64 v6, 0, 0x100, vcc_lo
	v_ldexp_f64 v[13:14], v[13:14], v6
	v_cndmask_b32_e64 v6, 0, 0xffffff80, vcc_lo
	s_delay_alu instid0(VALU_DEP_2) | instskip(SKIP_1) | instid1(TRANS32_DEP_1)
	v_rsq_f64_e32 v[15:16], v[13:14]
	v_cmp_class_f64_e64 vcc_lo, v[13:14], 0x260
	v_mul_f64_e32 v[17:18], v[13:14], v[15:16]
	v_mul_f64_e32 v[15:16], 0.5, v[15:16]
	s_delay_alu instid0(VALU_DEP_1) | instskip(NEXT) | instid1(VALU_DEP_1)
	v_fma_f64 v[19:20], -v[15:16], v[17:18], 0.5
	v_fma_f64 v[17:18], v[17:18], v[19:20], v[17:18]
	v_fma_f64 v[15:16], v[15:16], v[19:20], v[15:16]
	s_delay_alu instid0(VALU_DEP_2) | instskip(NEXT) | instid1(VALU_DEP_1)
	v_fma_f64 v[19:20], -v[17:18], v[17:18], v[13:14]
	v_fma_f64 v[17:18], v[19:20], v[15:16], v[17:18]
	s_delay_alu instid0(VALU_DEP_1) | instskip(NEXT) | instid1(VALU_DEP_1)
	v_fma_f64 v[19:20], -v[17:18], v[17:18], v[13:14]
	v_fma_f64 v[15:16], v[19:20], v[15:16], v[17:18]
	s_delay_alu instid0(VALU_DEP_1) | instskip(SKIP_2) | instid1(VALU_DEP_2)
	v_ldexp_f64 v[15:16], v[15:16], v6
	v_mul_lo_u32 v6, v10, s8
	s_wait_alu 0xfffd
	v_dual_cndmask_b32 v14, v16, v14 :: v_dual_cndmask_b32 v13, v15, v13
	s_delay_alu instid0(VALU_DEP_1) | instskip(NEXT) | instid1(VALU_DEP_1)
	v_fma_f64 v[13:14], v[13:14], 0.5, -0.5
	v_floor_f64_e32 v[13:14], v[13:14]
	s_delay_alu instid0(VALU_DEP_1) | instskip(NEXT) | instid1(VALU_DEP_1)
	v_add_f64_e64 v[13:14], v[1:2], -v[13:14]
	v_trunc_f64_e32 v[13:14], v[13:14]
	s_delay_alu instid0(VALU_DEP_1) | instskip(NEXT) | instid1(VALU_DEP_1)
	v_ldexp_f64 v[15:16], v[13:14], 0xffffffe0
	v_floor_f64_e32 v[15:16], v[15:16]
	s_delay_alu instid0(VALU_DEP_1) | instskip(SKIP_2) | instid1(VALU_DEP_3)
	v_fma_f64 v[13:14], 0xc1f00000, v[15:16], v[13:14]
	v_cvt_u32_f64_e32 v15, v[15:16]
	v_mad_co_u64_u32 v[16:17], null, v9, s8, 0
	v_cvt_u32_f64_e32 v14, v[13:14]
	v_mul_lo_u32 v13, v9, s9
	s_delay_alu instid0(VALU_DEP_1) | instskip(SKIP_1) | instid1(VALU_DEP_2)
	v_add3_u32 v17, v17, v13, v6
	v_mul_lo_u32 v6, v15, s16
	v_lshlrev_b64_e32 v[16:17], 3, v[16:17]
	v_sub_co_u32 v13, vcc_lo, s18, v14
	s_wait_alu 0xfffd
	v_sub_co_ci_u32_e64 v22, null, s19, v15, vcc_lo
	v_mul_lo_u32 v23, v14, s17
	v_mad_co_u64_u32 v[18:19], null, v14, s16, 0
	v_add_co_u32 v24, vcc_lo, v13, -1
	s_wait_alu 0xfffd
	v_add_co_ci_u32_e64 v25, null, -1, v22, vcc_lo
	v_sub_co_u32 v20, vcc_lo, v11, s24
	s_delay_alu instid0(VALU_DEP_4) | instskip(NEXT) | instid1(VALU_DEP_3)
	v_add3_u32 v19, v19, v23, v6
	v_mul_lo_u32 v6, v25, v13
	v_mul_lo_u32 v25, v24, v22
	v_mad_co_u64_u32 v[22:23], null, v24, v13, 0
	s_wait_alu 0xfffd
	v_subrev_co_ci_u32_e64 v21, null, s25, v12, vcc_lo
	v_lshlrev_b64_e32 v[18:19], 3, v[18:19]
	v_add_co_u32 v13, vcc_lo, s38, v16
	s_wait_alu 0xfffd
	v_add_co_ci_u32_e64 v16, null, s39, v17, vcc_lo
	v_lshlrev_b64_e32 v[20:21], 3, v[20:21]
	v_add3_u32 v23, v23, v25, v6
	v_add_co_u32 v6, vcc_lo, v13, v18
	s_wait_alu 0xfffd
	v_add_co_ci_u32_e64 v18, null, v16, v19, vcc_lo
	s_delay_alu instid0(VALU_DEP_3) | instskip(SKIP_4) | instid1(VALU_DEP_4)
	v_lshlrev_b64_e32 v[16:17], 2, v[22:23]
	v_lshlrev_b64_e32 v[13:14], 3, v[14:15]
	v_add_co_u32 v6, vcc_lo, v6, v20
	s_wait_alu 0xfffd
	v_add_co_ci_u32_e64 v15, null, v18, v21, vcc_lo
	v_and_b32_e32 v16, -8, v16
	s_delay_alu instid0(VALU_DEP_3) | instskip(SKIP_1) | instid1(VALU_DEP_3)
	v_add_co_u32 v6, vcc_lo, v6, v13
	s_wait_alu 0xfffd
	v_add_co_ci_u32_e64 v13, null, v15, v14, vcc_lo
	s_delay_alu instid0(VALU_DEP_2) | instskip(SKIP_1) | instid1(VALU_DEP_2)
	v_add_co_u32 v15, vcc_lo, v6, v16
	s_wait_alu 0xfffd
	v_add_co_ci_u32_e64 v16, null, v13, v17, vcc_lo
	s_delay_alu instid0(VALU_DEP_2) | instskip(SKIP_1) | instid1(VALU_DEP_2)
	v_add_co_u32 v13, vcc_lo, v15, 8
	s_wait_alu 0xfffd
	v_add_co_ci_u32_e64 v14, null, 0, v16, vcc_lo
	flat_store_b32 v[15:16], v5 offset:8
	s_branch .LBB196_14
.LBB196_13:                             ;   in Loop: Header=BB196_6 Depth=2
	s_mov_b32 s0, -1
	s_mov_b32 s13, 0
                                        ; implicit-def: $vgpr13_vgpr14
.LBB196_14:                             ;   in Loop: Header=BB196_6 Depth=2
	s_wait_alu 0xfffe
	s_and_b32 vcc_lo, exec_lo, s0
	s_wait_alu 0xfffe
	s_cbranch_vccz .LBB196_17
; %bb.15:                               ;   in Loop: Header=BB196_6 Depth=2
	s_cmp_eq_u32 s4, 0x79
                                        ; implicit-def: $vgpr13_vgpr14
	s_cbranch_scc0 .LBB196_17
; %bb.16:                               ;   in Loop: Header=BB196_6 Depth=2
	v_lshlrev_b64_e32 v[13:14], 3, v[11:12]
	s_mov_b32 s13, -1
	s_delay_alu instid0(VALU_DEP_1) | instskip(NEXT) | instid1(VALU_DEP_2)
	v_cvt_f64_u32_e32 v[14:15], v14
	v_or_b32_e32 v6, 1, v13
	s_delay_alu instid0(VALU_DEP_1) | instskip(NEXT) | instid1(VALU_DEP_3)
	v_cvt_f64_u32_e32 v[16:17], v6
	v_ldexp_f64 v[13:14], v[14:15], 32
	s_delay_alu instid0(VALU_DEP_1) | instskip(NEXT) | instid1(VALU_DEP_1)
	v_add_f64_e32 v[13:14], v[13:14], v[16:17]
	v_cmp_gt_f64_e32 vcc_lo, 0x10000000, v[13:14]
	s_wait_alu 0xfffd
	v_cndmask_b32_e64 v6, 0, 0x100, vcc_lo
	s_delay_alu instid0(VALU_DEP_1) | instskip(SKIP_1) | instid1(VALU_DEP_2)
	v_ldexp_f64 v[13:14], v[13:14], v6
	v_cndmask_b32_e64 v6, 0, 0xffffff80, vcc_lo
	v_rsq_f64_e32 v[15:16], v[13:14]
	v_cmp_class_f64_e64 vcc_lo, v[13:14], 0x260
	s_delay_alu instid0(TRANS32_DEP_1) | instskip(SKIP_1) | instid1(VALU_DEP_1)
	v_mul_f64_e32 v[17:18], v[13:14], v[15:16]
	v_mul_f64_e32 v[15:16], 0.5, v[15:16]
	v_fma_f64 v[19:20], -v[15:16], v[17:18], 0.5
	s_delay_alu instid0(VALU_DEP_1) | instskip(SKIP_1) | instid1(VALU_DEP_2)
	v_fma_f64 v[17:18], v[17:18], v[19:20], v[17:18]
	v_fma_f64 v[15:16], v[15:16], v[19:20], v[15:16]
	v_fma_f64 v[19:20], -v[17:18], v[17:18], v[13:14]
	s_delay_alu instid0(VALU_DEP_1) | instskip(NEXT) | instid1(VALU_DEP_1)
	v_fma_f64 v[17:18], v[19:20], v[15:16], v[17:18]
	v_fma_f64 v[19:20], -v[17:18], v[17:18], v[13:14]
	s_delay_alu instid0(VALU_DEP_1) | instskip(SKIP_1) | instid1(VALU_DEP_2)
	v_fma_f64 v[15:16], v[19:20], v[15:16], v[17:18]
	v_mul_lo_u32 v18, v9, s9
	v_ldexp_f64 v[15:16], v[15:16], v6
	v_mul_lo_u32 v6, v10, s8
	v_mad_co_u64_u32 v[9:10], null, v9, s8, 0
	s_delay_alu instid0(VALU_DEP_1) | instskip(NEXT) | instid1(VALU_DEP_1)
	v_add3_u32 v10, v10, v18, v6
	v_lshlrev_b64_e32 v[9:10], 3, v[9:10]
	s_wait_alu 0xfffd
	v_dual_cndmask_b32 v14, v16, v14 :: v_dual_cndmask_b32 v13, v15, v13
	s_delay_alu instid0(VALU_DEP_1) | instskip(NEXT) | instid1(VALU_DEP_1)
	v_add_f64_e32 v[13:14], -1.0, v[13:14]
	v_mul_f64_e32 v[13:14], 0.5, v[13:14]
	s_delay_alu instid0(VALU_DEP_1) | instskip(NEXT) | instid1(VALU_DEP_1)
	v_trunc_f64_e32 v[13:14], v[13:14]
	v_ldexp_f64 v[15:16], v[13:14], 0xffffffe0
	s_delay_alu instid0(VALU_DEP_1) | instskip(NEXT) | instid1(VALU_DEP_1)
	v_floor_f64_e32 v[15:16], v[15:16]
	v_fma_f64 v[13:14], 0xc1f00000, v[15:16], v[13:14]
	v_cvt_u32_f64_e32 v15, v[15:16]
	s_delay_alu instid0(VALU_DEP_2) | instskip(NEXT) | instid1(VALU_DEP_1)
	v_cvt_u32_f64_e32 v14, v[13:14]
	v_mad_co_u64_u32 v[16:17], null, v14, v14, v[14:15]
	v_mul_lo_u32 v19, v14, v15
	v_mul_lo_u32 v15, s16, v15
	;; [unrolled: 1-line block ×3, first 2 shown]
	v_mad_co_u64_u32 v[13:14], null, s16, v14, s[16:17]
	s_delay_alu instid0(VALU_DEP_4) | instskip(NEXT) | instid1(VALU_DEP_2)
	v_add3_u32 v17, v19, v17, v19
	v_add3_u32 v14, v20, v14, v15
	s_delay_alu instid0(VALU_DEP_2) | instskip(NEXT) | instid1(VALU_DEP_2)
	v_lshrrev_b64 v[15:16], 1, v[16:17]
	v_lshlrev_b64_e32 v[13:14], 3, v[13:14]
	s_delay_alu instid0(VALU_DEP_2) | instskip(SKIP_1) | instid1(VALU_DEP_3)
	v_sub_co_u32 v11, vcc_lo, v11, v15
	s_wait_alu 0xfffd
	v_sub_co_ci_u32_e64 v12, null, v12, v16, vcc_lo
	v_add_co_u32 v6, vcc_lo, s38, v9
	s_wait_alu 0xfffd
	v_add_co_ci_u32_e64 v15, null, s39, v10, vcc_lo
	s_delay_alu instid0(VALU_DEP_3) | instskip(NEXT) | instid1(VALU_DEP_3)
	v_lshlrev_b64_e32 v[9:10], 3, v[11:12]
	v_add_co_u32 v6, vcc_lo, v6, v13
	s_wait_alu 0xfffd
	s_delay_alu instid0(VALU_DEP_3) | instskip(NEXT) | instid1(VALU_DEP_2)
	v_add_co_ci_u32_e64 v11, null, v15, v14, vcc_lo
	v_add_co_u32 v13, vcc_lo, v6, v9
	s_wait_alu 0xfffd
	s_delay_alu instid0(VALU_DEP_2)
	v_add_co_ci_u32_e64 v14, null, v11, v10, vcc_lo
	flat_store_b32 v[13:14], v5
.LBB196_17:                             ;   in Loop: Header=BB196_6 Depth=2
	s_wait_alu 0xfffe
	s_and_b32 vcc_lo, exec_lo, s13
	s_wait_alu 0xfffe
	s_cbranch_vccz .LBB196_5
; %bb.18:                               ;   in Loop: Header=BB196_6 Depth=2
	flat_store_b32 v[13:14], v5 offset:4
	s_branch .LBB196_5
.LBB196_19:
	s_endpgm
	.section	.rodata,"a",@progbits
	.p2align	6, 0x0
	.amdhsa_kernel _ZL18rocblas_trtri_fillILi128E19rocblas_complex_numIfEPKPS1_EvP15_rocblas_handle13rocblas_fill_ililT1_llii
		.amdhsa_group_segment_fixed_size 0
		.amdhsa_private_segment_fixed_size 0
		.amdhsa_kernarg_size 328
		.amdhsa_user_sgpr_count 2
		.amdhsa_user_sgpr_dispatch_ptr 0
		.amdhsa_user_sgpr_queue_ptr 0
		.amdhsa_user_sgpr_kernarg_segment_ptr 1
		.amdhsa_user_sgpr_dispatch_id 0
		.amdhsa_user_sgpr_private_segment_size 0
		.amdhsa_wavefront_size32 1
		.amdhsa_uses_dynamic_stack 0
		.amdhsa_enable_private_segment 0
		.amdhsa_system_sgpr_workgroup_id_x 1
		.amdhsa_system_sgpr_workgroup_id_y 0
		.amdhsa_system_sgpr_workgroup_id_z 1
		.amdhsa_system_sgpr_workgroup_info 0
		.amdhsa_system_vgpr_workitem_id 0
		.amdhsa_next_free_vgpr 26
		.amdhsa_next_free_sgpr 47
		.amdhsa_reserve_vcc 1
		.amdhsa_float_round_mode_32 0
		.amdhsa_float_round_mode_16_64 0
		.amdhsa_float_denorm_mode_32 3
		.amdhsa_float_denorm_mode_16_64 3
		.amdhsa_fp16_overflow 0
		.amdhsa_workgroup_processor_mode 1
		.amdhsa_memory_ordered 1
		.amdhsa_forward_progress 1
		.amdhsa_inst_pref_size 20
		.amdhsa_round_robin_scheduling 0
		.amdhsa_exception_fp_ieee_invalid_op 0
		.amdhsa_exception_fp_denorm_src 0
		.amdhsa_exception_fp_ieee_div_zero 0
		.amdhsa_exception_fp_ieee_overflow 0
		.amdhsa_exception_fp_ieee_underflow 0
		.amdhsa_exception_fp_ieee_inexact 0
		.amdhsa_exception_int_div_zero 0
	.end_amdhsa_kernel
	.section	.text._ZL18rocblas_trtri_fillILi128E19rocblas_complex_numIfEPKPS1_EvP15_rocblas_handle13rocblas_fill_ililT1_llii,"axG",@progbits,_ZL18rocblas_trtri_fillILi128E19rocblas_complex_numIfEPKPS1_EvP15_rocblas_handle13rocblas_fill_ililT1_llii,comdat
.Lfunc_end196:
	.size	_ZL18rocblas_trtri_fillILi128E19rocblas_complex_numIfEPKPS1_EvP15_rocblas_handle13rocblas_fill_ililT1_llii, .Lfunc_end196-_ZL18rocblas_trtri_fillILi128E19rocblas_complex_numIfEPKPS1_EvP15_rocblas_handle13rocblas_fill_ililT1_llii
                                        ; -- End function
	.set _ZL18rocblas_trtri_fillILi128E19rocblas_complex_numIfEPKPS1_EvP15_rocblas_handle13rocblas_fill_ililT1_llii.num_vgpr, 26
	.set _ZL18rocblas_trtri_fillILi128E19rocblas_complex_numIfEPKPS1_EvP15_rocblas_handle13rocblas_fill_ililT1_llii.num_agpr, 0
	.set _ZL18rocblas_trtri_fillILi128E19rocblas_complex_numIfEPKPS1_EvP15_rocblas_handle13rocblas_fill_ililT1_llii.numbered_sgpr, 47
	.set _ZL18rocblas_trtri_fillILi128E19rocblas_complex_numIfEPKPS1_EvP15_rocblas_handle13rocblas_fill_ililT1_llii.num_named_barrier, 0
	.set _ZL18rocblas_trtri_fillILi128E19rocblas_complex_numIfEPKPS1_EvP15_rocblas_handle13rocblas_fill_ililT1_llii.private_seg_size, 0
	.set _ZL18rocblas_trtri_fillILi128E19rocblas_complex_numIfEPKPS1_EvP15_rocblas_handle13rocblas_fill_ililT1_llii.uses_vcc, 1
	.set _ZL18rocblas_trtri_fillILi128E19rocblas_complex_numIfEPKPS1_EvP15_rocblas_handle13rocblas_fill_ililT1_llii.uses_flat_scratch, 0
	.set _ZL18rocblas_trtri_fillILi128E19rocblas_complex_numIfEPKPS1_EvP15_rocblas_handle13rocblas_fill_ililT1_llii.has_dyn_sized_stack, 0
	.set _ZL18rocblas_trtri_fillILi128E19rocblas_complex_numIfEPKPS1_EvP15_rocblas_handle13rocblas_fill_ililT1_llii.has_recursion, 0
	.set _ZL18rocblas_trtri_fillILi128E19rocblas_complex_numIfEPKPS1_EvP15_rocblas_handle13rocblas_fill_ililT1_llii.has_indirect_call, 0
	.section	.AMDGPU.csdata,"",@progbits
; Kernel info:
; codeLenInByte = 2496
; TotalNumSgprs: 49
; NumVgprs: 26
; ScratchSize: 0
; MemoryBound: 0
; FloatMode: 240
; IeeeMode: 1
; LDSByteSize: 0 bytes/workgroup (compile time only)
; SGPRBlocks: 0
; VGPRBlocks: 3
; NumSGPRsForWavesPerEU: 49
; NumVGPRsForWavesPerEU: 26
; Occupancy: 16
; WaveLimiterHint : 1
; COMPUTE_PGM_RSRC2:SCRATCH_EN: 0
; COMPUTE_PGM_RSRC2:USER_SGPR: 2
; COMPUTE_PGM_RSRC2:TRAP_HANDLER: 0
; COMPUTE_PGM_RSRC2:TGID_X_EN: 1
; COMPUTE_PGM_RSRC2:TGID_Y_EN: 0
; COMPUTE_PGM_RSRC2:TGID_Z_EN: 1
; COMPUTE_PGM_RSRC2:TIDIG_COMP_CNT: 0
	.section	.text._ZL24rocblas_copy_matrix_trsmILi128ELi8E19rocblas_complex_numIfEPKPKS1_PKPS1_EviiiT2_ilT3_illli,"axG",@progbits,_ZL24rocblas_copy_matrix_trsmILi128ELi8E19rocblas_complex_numIfEPKPKS1_PKPS1_EviiiT2_ilT3_illli,comdat
	.globl	_ZL24rocblas_copy_matrix_trsmILi128ELi8E19rocblas_complex_numIfEPKPKS1_PKPS1_EviiiT2_ilT3_illli ; -- Begin function _ZL24rocblas_copy_matrix_trsmILi128ELi8E19rocblas_complex_numIfEPKPKS1_PKPS1_EviiiT2_ilT3_illli
	.p2align	8
	.type	_ZL24rocblas_copy_matrix_trsmILi128ELi8E19rocblas_complex_numIfEPKPKS1_PKPS1_EviiiT2_ilT3_illli,@function
_ZL24rocblas_copy_matrix_trsmILi128ELi8E19rocblas_complex_numIfEPKPKS1_PKPS1_EviiiT2_ilT3_illli: ; @_ZL24rocblas_copy_matrix_trsmILi128ELi8E19rocblas_complex_numIfEPKPKS1_PKPS1_EviiiT2_ilT3_illli
; %bb.0:
	s_load_b32 s22, s[0:1], 0x50
	s_lshr_b32 s2, ttmp7, 16
	s_wait_kmcnt 0x0
	s_cmp_ge_u32 s2, s22
	s_cbranch_scc1 .LBB197_6
; %bb.1:
	s_clause 0x2
	s_load_b96 s[8:10], s[0:1], 0x10
	s_load_b96 s[12:14], s[0:1], 0x28
	s_load_b64 s[18:19], s[0:1], 0x0
	v_dual_mov_b32 v1, 0 :: v_dual_and_b32 v2, 0x3ff, v0
	v_bfe_u32 v3, v0, 10, 10
	s_and_b32 s3, ttmp7, 0xffff
	s_load_b128 s[4:7], s[0:1], 0x40
	s_delay_alu instid0(VALU_DEP_2) | instskip(SKIP_3) | instid1(VALU_DEP_3)
	v_lshl_add_u32 v0, ttmp9, 7, v2
	s_add_nc_u64 s[16:17], s[0:1], 0x58
	v_lshl_add_u32 v2, s3, 3, v3
	v_mov_b32_e32 v3, v1
	v_lshlrev_b64_e32 v[4:5], 3, v[0:1]
	s_wait_kmcnt 0x0
	s_delay_alu instid0(VALU_DEP_3)
	v_mad_co_u64_u32 v[8:9], null, s10, v2, 0
	v_mad_co_u64_u32 v[6:7], null, s14, v2, 0
	s_ashr_i32 s15, s14, 31
	s_ashr_i32 s21, s10, 31
	s_mov_b32 s20, s10
	s_ashr_i32 s11, s19, 31
	v_mad_i32_i24 v9, s21, v2, v9
	s_mov_b32 s10, s19
	s_wait_alu 0xfffe
	v_mad_i32_i24 v7, s15, v2, v7
	s_ashr_i32 s19, s18, 31
	v_cmp_gt_u64_e64 s0, s[10:11], v[2:3]
	v_cmp_gt_u64_e32 vcc_lo, s[18:19], v[0:1]
	v_lshlrev_b64_e32 v[8:9], 3, v[8:9]
	v_lshlrev_b64_e32 v[6:7], 3, v[6:7]
	s_lshl_b64 s[6:7], s[6:7], 3
	s_lshl_b64 s[4:5], s[4:5], 3
	s_and_b32 s1, vcc_lo, s0
	s_delay_alu instid0(VALU_DEP_1) | instskip(NEXT) | instid1(VALU_DEP_1)
	v_add_co_u32 v0, vcc_lo, v6, s6
	v_add_co_ci_u32_e64 v6, null, s7, v7, vcc_lo
	v_add_co_u32 v7, vcc_lo, v8, s4
	s_wait_alu 0xfffd
	v_add_co_ci_u32_e64 v8, null, s5, v9, vcc_lo
	v_add_co_u32 v0, vcc_lo, v0, v4
	s_wait_alu 0xfffd
	;; [unrolled: 3-line block ×3, first 2 shown]
	v_add_co_ci_u32_e64 v12, null, v8, v5, vcc_lo
	s_lshl_b64 s[4:5], s[14:15], 3
	s_lshl_b64 s[6:7], s[20:21], 3
	s_mov_b32 s15, 0
	s_branch .LBB197_3
.LBB197_2:                              ;   in Loop: Header=BB197_3 Depth=1
	s_or_b32 exec_lo, exec_lo, s23
	s_add_co_i32 s2, s2, 0x10000
	s_wait_alu 0xfffe
	s_cmp_ge_u32 s2, s22
	s_cbranch_scc1 .LBB197_6
.LBB197_3:                              ; =>This Loop Header: Depth=1
                                        ;     Child Loop BB197_5 Depth 2
	s_wait_alu 0xfffe
	s_and_saveexec_b32 s23, s1
	s_cbranch_execz .LBB197_2
; %bb.4:                                ;   in Loop: Header=BB197_3 Depth=1
	s_mov_b32 s3, s15
	s_load_b32 s0, s[16:17], 0x4
	s_lshl_b64 s[18:19], s[2:3], 3
	v_dual_mov_b32 v9, v3 :: v_dual_mov_b32 v8, v2
	s_wait_alu 0xfffe
	s_add_nc_u64 s[20:21], s[12:13], s[18:19]
	s_add_nc_u64 s[18:19], s[8:9], s[18:19]
	s_clause 0x1
	global_load_b64 v[4:5], v1, s[20:21]
	global_load_b64 v[6:7], v1, s[18:19]
	s_mov_b32 s3, 0
	s_wait_kmcnt 0x0
	s_lshl_b32 s14, s0, 3
	s_wait_alu 0xfffe
	s_mul_u64 s[18:19], s[4:5], s[14:15]
	s_mul_u64 s[20:21], s[6:7], s[14:15]
	s_wait_loadcnt 0x1
	v_add_co_u32 v4, vcc_lo, v4, v0
	s_wait_alu 0xfffd
	v_add_co_ci_u32_e64 v5, null, v5, v10, vcc_lo
	s_wait_loadcnt 0x0
	v_add_co_u32 v6, vcc_lo, v6, v11
	s_wait_alu 0xfffd
	v_add_co_ci_u32_e64 v7, null, v7, v12, vcc_lo
.LBB197_5:                              ;   Parent Loop BB197_3 Depth=1
                                        ; =>  This Inner Loop Header: Depth=2
	flat_load_b64 v[13:14], v[6:7]
	v_add_co_u32 v8, vcc_lo, v8, s14
	s_wait_alu 0xfffd
	v_add_co_ci_u32_e64 v9, null, 0, v9, vcc_lo
	s_wait_alu 0xfffe
	v_add_co_u32 v6, vcc_lo, v6, s20
	s_wait_alu 0xfffd
	v_add_co_ci_u32_e64 v7, null, s21, v7, vcc_lo
	v_cmp_le_u64_e32 vcc_lo, s[10:11], v[8:9]
	s_or_b32 s3, vcc_lo, s3
	s_wait_loadcnt_dscnt 0x0
	flat_store_b64 v[4:5], v[13:14]
	v_add_co_u32 v4, s0, v4, s18
	s_wait_alu 0xf1ff
	v_add_co_ci_u32_e64 v5, null, s19, v5, s0
	s_wait_alu 0xfffe
	s_and_not1_b32 exec_lo, exec_lo, s3
	s_cbranch_execnz .LBB197_5
	s_branch .LBB197_2
.LBB197_6:
	s_endpgm
	.section	.rodata,"a",@progbits
	.p2align	6, 0x0
	.amdhsa_kernel _ZL24rocblas_copy_matrix_trsmILi128ELi8E19rocblas_complex_numIfEPKPKS1_PKPS1_EviiiT2_ilT3_illli
		.amdhsa_group_segment_fixed_size 0
		.amdhsa_private_segment_fixed_size 0
		.amdhsa_kernarg_size 344
		.amdhsa_user_sgpr_count 2
		.amdhsa_user_sgpr_dispatch_ptr 0
		.amdhsa_user_sgpr_queue_ptr 0
		.amdhsa_user_sgpr_kernarg_segment_ptr 1
		.amdhsa_user_sgpr_dispatch_id 0
		.amdhsa_user_sgpr_private_segment_size 0
		.amdhsa_wavefront_size32 1
		.amdhsa_uses_dynamic_stack 0
		.amdhsa_enable_private_segment 0
		.amdhsa_system_sgpr_workgroup_id_x 1
		.amdhsa_system_sgpr_workgroup_id_y 1
		.amdhsa_system_sgpr_workgroup_id_z 1
		.amdhsa_system_sgpr_workgroup_info 0
		.amdhsa_system_vgpr_workitem_id 1
		.amdhsa_next_free_vgpr 15
		.amdhsa_next_free_sgpr 24
		.amdhsa_reserve_vcc 1
		.amdhsa_float_round_mode_32 0
		.amdhsa_float_round_mode_16_64 0
		.amdhsa_float_denorm_mode_32 3
		.amdhsa_float_denorm_mode_16_64 3
		.amdhsa_fp16_overflow 0
		.amdhsa_workgroup_processor_mode 1
		.amdhsa_memory_ordered 1
		.amdhsa_forward_progress 1
		.amdhsa_inst_pref_size 5
		.amdhsa_round_robin_scheduling 0
		.amdhsa_exception_fp_ieee_invalid_op 0
		.amdhsa_exception_fp_denorm_src 0
		.amdhsa_exception_fp_ieee_div_zero 0
		.amdhsa_exception_fp_ieee_overflow 0
		.amdhsa_exception_fp_ieee_underflow 0
		.amdhsa_exception_fp_ieee_inexact 0
		.amdhsa_exception_int_div_zero 0
	.end_amdhsa_kernel
	.section	.text._ZL24rocblas_copy_matrix_trsmILi128ELi8E19rocblas_complex_numIfEPKPKS1_PKPS1_EviiiT2_ilT3_illli,"axG",@progbits,_ZL24rocblas_copy_matrix_trsmILi128ELi8E19rocblas_complex_numIfEPKPKS1_PKPS1_EviiiT2_ilT3_illli,comdat
.Lfunc_end197:
	.size	_ZL24rocblas_copy_matrix_trsmILi128ELi8E19rocblas_complex_numIfEPKPKS1_PKPS1_EviiiT2_ilT3_illli, .Lfunc_end197-_ZL24rocblas_copy_matrix_trsmILi128ELi8E19rocblas_complex_numIfEPKPKS1_PKPS1_EviiiT2_ilT3_illli
                                        ; -- End function
	.set _ZL24rocblas_copy_matrix_trsmILi128ELi8E19rocblas_complex_numIfEPKPKS1_PKPS1_EviiiT2_ilT3_illli.num_vgpr, 15
	.set _ZL24rocblas_copy_matrix_trsmILi128ELi8E19rocblas_complex_numIfEPKPKS1_PKPS1_EviiiT2_ilT3_illli.num_agpr, 0
	.set _ZL24rocblas_copy_matrix_trsmILi128ELi8E19rocblas_complex_numIfEPKPKS1_PKPS1_EviiiT2_ilT3_illli.numbered_sgpr, 24
	.set _ZL24rocblas_copy_matrix_trsmILi128ELi8E19rocblas_complex_numIfEPKPKS1_PKPS1_EviiiT2_ilT3_illli.num_named_barrier, 0
	.set _ZL24rocblas_copy_matrix_trsmILi128ELi8E19rocblas_complex_numIfEPKPKS1_PKPS1_EviiiT2_ilT3_illli.private_seg_size, 0
	.set _ZL24rocblas_copy_matrix_trsmILi128ELi8E19rocblas_complex_numIfEPKPKS1_PKPS1_EviiiT2_ilT3_illli.uses_vcc, 1
	.set _ZL24rocblas_copy_matrix_trsmILi128ELi8E19rocblas_complex_numIfEPKPKS1_PKPS1_EviiiT2_ilT3_illli.uses_flat_scratch, 0
	.set _ZL24rocblas_copy_matrix_trsmILi128ELi8E19rocblas_complex_numIfEPKPKS1_PKPS1_EviiiT2_ilT3_illli.has_dyn_sized_stack, 0
	.set _ZL24rocblas_copy_matrix_trsmILi128ELi8E19rocblas_complex_numIfEPKPKS1_PKPS1_EviiiT2_ilT3_illli.has_recursion, 0
	.set _ZL24rocblas_copy_matrix_trsmILi128ELi8E19rocblas_complex_numIfEPKPKS1_PKPS1_EviiiT2_ilT3_illli.has_indirect_call, 0
	.section	.AMDGPU.csdata,"",@progbits
; Kernel info:
; codeLenInByte = 612
; TotalNumSgprs: 26
; NumVgprs: 15
; ScratchSize: 0
; MemoryBound: 0
; FloatMode: 240
; IeeeMode: 1
; LDSByteSize: 0 bytes/workgroup (compile time only)
; SGPRBlocks: 0
; VGPRBlocks: 1
; NumSGPRsForWavesPerEU: 26
; NumVGPRsForWavesPerEU: 15
; Occupancy: 16
; WaveLimiterHint : 0
; COMPUTE_PGM_RSRC2:SCRATCH_EN: 0
; COMPUTE_PGM_RSRC2:USER_SGPR: 2
; COMPUTE_PGM_RSRC2:TRAP_HANDLER: 0
; COMPUTE_PGM_RSRC2:TGID_X_EN: 1
; COMPUTE_PGM_RSRC2:TGID_Y_EN: 1
; COMPUTE_PGM_RSRC2:TGID_Z_EN: 1
; COMPUTE_PGM_RSRC2:TIDIG_COMP_CNT: 1
	.section	.text._ZL23rocblas_set_matrix_trsmILi128ELi8E19rocblas_complex_numIdEPKPS1_EvlliT2_llT1_li,"axG",@progbits,_ZL23rocblas_set_matrix_trsmILi128ELi8E19rocblas_complex_numIdEPKPS1_EvlliT2_llT1_li,comdat
	.globl	_ZL23rocblas_set_matrix_trsmILi128ELi8E19rocblas_complex_numIdEPKPS1_EvlliT2_llT1_li ; -- Begin function _ZL23rocblas_set_matrix_trsmILi128ELi8E19rocblas_complex_numIdEPKPS1_EvlliT2_llT1_li
	.p2align	8
	.type	_ZL23rocblas_set_matrix_trsmILi128ELi8E19rocblas_complex_numIdEPKPS1_EvlliT2_llT1_li,@function
_ZL23rocblas_set_matrix_trsmILi128ELi8E19rocblas_complex_numIdEPKPS1_EvlliT2_llT1_li: ; @_ZL23rocblas_set_matrix_trsmILi128ELi8E19rocblas_complex_numIdEPKPS1_EvlliT2_llT1_li
; %bb.0:
	s_load_b32 s8, s[0:1], 0x48
	s_lshr_b32 s2, ttmp7, 16
	s_wait_kmcnt 0x0
	s_cmp_ge_u32 s2, s8
	s_cbranch_scc1 .LBB198_5
; %bb.1:
	s_clause 0x1
	s_load_b128 s[4:7], s[0:1], 0x18
	s_load_b128 s[12:15], s[0:1], 0x0
	v_bfe_u32 v1, v0, 10, 10
	s_and_b32 s3, ttmp7, 0xffff
	s_load_b64 s[10:11], s[0:1], 0x40
	v_and_b32_e32 v6, 0x3ff, v0
	v_mov_b32_e32 v0, 0
	v_lshl_add_u32 v1, s3, 3, v1
	s_mov_b32 s3, 0
	s_delay_alu instid0(VALU_DEP_3) | instskip(NEXT) | instid1(VALU_DEP_3)
	v_lshl_add_u32 v6, ttmp9, 7, v6
	v_mov_b32_e32 v7, v0
	s_wait_kmcnt 0x0
	v_mad_co_u64_u32 v[3:4], null, s6, v1, 0
	s_delay_alu instid0(VALU_DEP_2) | instskip(SKIP_1) | instid1(VALU_DEP_3)
	v_cmp_gt_u64_e32 vcc_lo, s[12:13], v[6:7]
	v_lshlrev_b64_e32 v[6:7], 4, v[6:7]
	v_mov_b32_e32 v2, v4
	s_delay_alu instid0(VALU_DEP_1) | instskip(SKIP_1) | instid1(VALU_DEP_1)
	v_mad_co_u64_u32 v[4:5], null, s7, v1, v[2:3]
	v_mov_b32_e32 v2, v0
	v_cmp_gt_u64_e64 s0, s[14:15], v[1:2]
	s_delay_alu instid0(VALU_DEP_3)
	v_lshlrev_b64_e32 v[4:5], 4, v[3:4]
	s_and_b32 s6, vcc_lo, s0
	s_lshl_b64 s[0:1], s[10:11], 4
	s_branch .LBB198_3
.LBB198_2:                              ;   in Loop: Header=BB198_3 Depth=1
	s_wait_alu 0xfffe
	s_or_b32 exec_lo, exec_lo, s7
	s_add_co_i32 s2, s2, 0x10000
	s_wait_alu 0xfffe
	s_cmp_lt_u32 s2, s8
	s_cbranch_scc0 .LBB198_5
.LBB198_3:                              ; =>This Inner Loop Header: Depth=1
	s_wait_alu 0xfffe
	s_and_saveexec_b32 s7, s6
	s_cbranch_execz .LBB198_2
; %bb.4:                                ;   in Loop: Header=BB198_3 Depth=1
	s_lshl_b64 s[10:11], s[2:3], 3
	v_dual_mov_b32 v1, v0 :: v_dual_mov_b32 v2, v0
	s_wait_alu 0xfffe
	s_add_nc_u64 s[10:11], s[4:5], s[10:11]
	s_load_b64 s[10:11], s[10:11], 0x0
	s_wait_kmcnt 0x0
	s_add_nc_u64 s[10:11], s[10:11], s[0:1]
	s_wait_alu 0xfffe
	v_add_co_u32 v3, vcc_lo, s10, v4
	s_wait_alu 0xfffd
	v_add_co_ci_u32_e64 v9, null, s11, v5, vcc_lo
	s_delay_alu instid0(VALU_DEP_2) | instskip(SKIP_1) | instid1(VALU_DEP_2)
	v_add_co_u32 v8, vcc_lo, v3, v6
	s_wait_alu 0xfffd
	v_add_co_ci_u32_e64 v9, null, v9, v7, vcc_lo
	v_mov_b32_e32 v3, v0
	flat_store_b128 v[8:9], v[0:3]
	s_branch .LBB198_2
.LBB198_5:
	s_endpgm
	.section	.rodata,"a",@progbits
	.p2align	6, 0x0
	.amdhsa_kernel _ZL23rocblas_set_matrix_trsmILi128ELi8E19rocblas_complex_numIdEPKPS1_EvlliT2_llT1_li
		.amdhsa_group_segment_fixed_size 0
		.amdhsa_private_segment_fixed_size 0
		.amdhsa_kernarg_size 76
		.amdhsa_user_sgpr_count 2
		.amdhsa_user_sgpr_dispatch_ptr 0
		.amdhsa_user_sgpr_queue_ptr 0
		.amdhsa_user_sgpr_kernarg_segment_ptr 1
		.amdhsa_user_sgpr_dispatch_id 0
		.amdhsa_user_sgpr_private_segment_size 0
		.amdhsa_wavefront_size32 1
		.amdhsa_uses_dynamic_stack 0
		.amdhsa_enable_private_segment 0
		.amdhsa_system_sgpr_workgroup_id_x 1
		.amdhsa_system_sgpr_workgroup_id_y 1
		.amdhsa_system_sgpr_workgroup_id_z 1
		.amdhsa_system_sgpr_workgroup_info 0
		.amdhsa_system_vgpr_workitem_id 1
		.amdhsa_next_free_vgpr 10
		.amdhsa_next_free_sgpr 16
		.amdhsa_reserve_vcc 1
		.amdhsa_float_round_mode_32 0
		.amdhsa_float_round_mode_16_64 0
		.amdhsa_float_denorm_mode_32 3
		.amdhsa_float_denorm_mode_16_64 3
		.amdhsa_fp16_overflow 0
		.amdhsa_workgroup_processor_mode 1
		.amdhsa_memory_ordered 1
		.amdhsa_forward_progress 1
		.amdhsa_inst_pref_size 3
		.amdhsa_round_robin_scheduling 0
		.amdhsa_exception_fp_ieee_invalid_op 0
		.amdhsa_exception_fp_denorm_src 0
		.amdhsa_exception_fp_ieee_div_zero 0
		.amdhsa_exception_fp_ieee_overflow 0
		.amdhsa_exception_fp_ieee_underflow 0
		.amdhsa_exception_fp_ieee_inexact 0
		.amdhsa_exception_int_div_zero 0
	.end_amdhsa_kernel
	.section	.text._ZL23rocblas_set_matrix_trsmILi128ELi8E19rocblas_complex_numIdEPKPS1_EvlliT2_llT1_li,"axG",@progbits,_ZL23rocblas_set_matrix_trsmILi128ELi8E19rocblas_complex_numIdEPKPS1_EvlliT2_llT1_li,comdat
.Lfunc_end198:
	.size	_ZL23rocblas_set_matrix_trsmILi128ELi8E19rocblas_complex_numIdEPKPS1_EvlliT2_llT1_li, .Lfunc_end198-_ZL23rocblas_set_matrix_trsmILi128ELi8E19rocblas_complex_numIdEPKPS1_EvlliT2_llT1_li
                                        ; -- End function
	.set _ZL23rocblas_set_matrix_trsmILi128ELi8E19rocblas_complex_numIdEPKPS1_EvlliT2_llT1_li.num_vgpr, 10
	.set _ZL23rocblas_set_matrix_trsmILi128ELi8E19rocblas_complex_numIdEPKPS1_EvlliT2_llT1_li.num_agpr, 0
	.set _ZL23rocblas_set_matrix_trsmILi128ELi8E19rocblas_complex_numIdEPKPS1_EvlliT2_llT1_li.numbered_sgpr, 16
	.set _ZL23rocblas_set_matrix_trsmILi128ELi8E19rocblas_complex_numIdEPKPS1_EvlliT2_llT1_li.num_named_barrier, 0
	.set _ZL23rocblas_set_matrix_trsmILi128ELi8E19rocblas_complex_numIdEPKPS1_EvlliT2_llT1_li.private_seg_size, 0
	.set _ZL23rocblas_set_matrix_trsmILi128ELi8E19rocblas_complex_numIdEPKPS1_EvlliT2_llT1_li.uses_vcc, 1
	.set _ZL23rocblas_set_matrix_trsmILi128ELi8E19rocblas_complex_numIdEPKPS1_EvlliT2_llT1_li.uses_flat_scratch, 0
	.set _ZL23rocblas_set_matrix_trsmILi128ELi8E19rocblas_complex_numIdEPKPS1_EvlliT2_llT1_li.has_dyn_sized_stack, 0
	.set _ZL23rocblas_set_matrix_trsmILi128ELi8E19rocblas_complex_numIdEPKPS1_EvlliT2_llT1_li.has_recursion, 0
	.set _ZL23rocblas_set_matrix_trsmILi128ELi8E19rocblas_complex_numIdEPKPS1_EvlliT2_llT1_li.has_indirect_call, 0
	.section	.AMDGPU.csdata,"",@progbits
; Kernel info:
; codeLenInByte = 328
; TotalNumSgprs: 18
; NumVgprs: 10
; ScratchSize: 0
; MemoryBound: 0
; FloatMode: 240
; IeeeMode: 1
; LDSByteSize: 0 bytes/workgroup (compile time only)
; SGPRBlocks: 0
; VGPRBlocks: 1
; NumSGPRsForWavesPerEU: 18
; NumVGPRsForWavesPerEU: 10
; Occupancy: 16
; WaveLimiterHint : 1
; COMPUTE_PGM_RSRC2:SCRATCH_EN: 0
; COMPUTE_PGM_RSRC2:USER_SGPR: 2
; COMPUTE_PGM_RSRC2:TRAP_HANDLER: 0
; COMPUTE_PGM_RSRC2:TGID_X_EN: 1
; COMPUTE_PGM_RSRC2:TGID_Y_EN: 1
; COMPUTE_PGM_RSRC2:TGID_Z_EN: 1
; COMPUTE_PGM_RSRC2:TIDIG_COMP_CNT: 1
	.section	.text._ZL38rocblas_trsm_small_left_device_sharedBILi4ELi4ELb0E19rocblas_complex_numIdES1_PKPKS1_PKPS1_Ev13rocblas_fill_18rocblas_operation_17rocblas_diagonal_iiT3_T4_lilT5_lili,"axG",@progbits,_ZL38rocblas_trsm_small_left_device_sharedBILi4ELi4ELb0E19rocblas_complex_numIdES1_PKPKS1_PKPS1_Ev13rocblas_fill_18rocblas_operation_17rocblas_diagonal_iiT3_T4_lilT5_lili,comdat
	.globl	_ZL38rocblas_trsm_small_left_device_sharedBILi4ELi4ELb0E19rocblas_complex_numIdES1_PKPKS1_PKPS1_Ev13rocblas_fill_18rocblas_operation_17rocblas_diagonal_iiT3_T4_lilT5_lili ; -- Begin function _ZL38rocblas_trsm_small_left_device_sharedBILi4ELi4ELb0E19rocblas_complex_numIdES1_PKPKS1_PKPS1_Ev13rocblas_fill_18rocblas_operation_17rocblas_diagonal_iiT3_T4_lilT5_lili
	.p2align	8
	.type	_ZL38rocblas_trsm_small_left_device_sharedBILi4ELi4ELb0E19rocblas_complex_numIdES1_PKPKS1_PKPS1_Ev13rocblas_fill_18rocblas_operation_17rocblas_diagonal_iiT3_T4_lilT5_lili,@function
_ZL38rocblas_trsm_small_left_device_sharedBILi4ELi4ELb0E19rocblas_complex_numIdES1_PKPKS1_PKPS1_Ev13rocblas_fill_18rocblas_operation_17rocblas_diagonal_iiT3_T4_lilT5_lili: ; @_ZL38rocblas_trsm_small_left_device_sharedBILi4ELi4ELb0E19rocblas_complex_numIdES1_PKPKS1_PKPS1_Ev13rocblas_fill_18rocblas_operation_17rocblas_diagonal_iiT3_T4_lilT5_lili
; %bb.0:
	s_load_b32 s24, s[2:3], 0x68
	s_lshr_b32 s20, ttmp7, 16
	s_wait_kmcnt 0x0
	s_cmp_ge_u32 s20, s24
	s_cbranch_scc1 .LBB199_62
; %bb.1:
	s_clause 0x1
	s_load_b32 s22, s[2:3], 0x38
	s_load_b32 s30, s[2:3], 0x58
	s_load_b64 s[0:1], s[0:1], 0x4
	s_clause 0x1
	s_load_b128 s[16:19], s[2:3], 0x4
	s_load_b32 s21, s[2:3], 0x70
	v_bfe_u32 v2, v0, 10, 10
	s_clause 0x1
	s_load_b128 s[12:15], s[2:3], 0x48
	s_load_b256 s[4:11], s[2:3], 0x18
	v_and_b32_e32 v1, 0x3ff, v0
	v_bfe_u32 v0, v0, 20, 10
	v_mov_b32_e32 v15, 0
	s_mov_b32 s3, 0
	s_delay_alu instid0(VALU_DEP_3) | instskip(SKIP_1) | instid1(VALU_DEP_2)
	v_lshlrev_b32_e32 v12, 4, v1
	v_lshlrev_b32_e32 v4, 6, v1
	v_add_nc_u32_e32 v14, 0x100, v12
	s_delay_alu instid0(VALU_DEP_2)
	v_add_nc_u32_e32 v20, v12, v4
	s_wait_kmcnt 0x0
	s_ashr_i32 s23, s22, 31
	s_ashr_i32 s31, s30, 31
	s_lshr_b32 s0, s0, 16
	s_cmp_eq_u32 s16, 0x71
	v_mul_u32_u24_e32 v2, s1, v2
	s_mul_i32 s1, s0, s1
	s_cselect_b32 s0, -1, 0
	s_min_i32 s25, s18, 4
	s_wait_alu 0xfffe
	s_lshl_b32 s34, ttmp9, 2
	s_add_co_i32 s21, s21, -1
	s_add_co_i32 s26, s25, -1
	s_sub_co_i32 s2, s19, s34
	s_cmp_ge_u32 ttmp9, s21
	v_mul_u32_u24_e32 v3, s1, v1
	s_cselect_b32 s2, s2, 4
	s_ashr_i32 s35, s34, 31
	s_cmp_lg_u32 s17, 0x84
	v_cmp_gt_i32_e32 vcc_lo, s2, v1
	s_cselect_b32 s27, -1, 0
	s_cmp_gt_i32 s18, 0
	v_add3_u32 v0, v3, v2, v0
	s_cselect_b32 s2, -1, 0
	s_cmp_lg_u32 s16, 0x6f
	v_cmp_gt_i32_e64 s1, s25, v1
	s_cselect_b32 s28, -1, 0
	s_lshl_b64 s[16:17], s[34:35], 4
	s_lshl_b64 s[18:19], s[10:11], 4
	v_or_b32_e32 v2, s16, v12
	s_lshl_b64 s[10:11], s[14:15], 4
	v_lshl_add_u32 v13, v0, 6, 0x200
	v_mad_co_i64_i32 v[0:1], null, s30, v1, 0
	s_delay_alu instid0(VALU_DEP_3)
	v_mul_lo_u32 v5, v2, s31
	v_mad_co_u64_u32 v[2:3], null, v2, s30, s[10:11]
	s_wait_alu 0xfffe
	s_and_b32 s29, vcc_lo, s2
	v_add_co_u32 v6, s2, s18, v12
	s_wait_alu 0xf1ff
	v_add_co_ci_u32_e64 v16, null, s19, 0, s2
	s_mul_i32 s2, s17, s30
	v_lshlrev_b64_e32 v[8:9], 4, v[0:1]
	v_or_b32_e32 v17, 8, v6
	s_wait_alu 0xfffe
	v_add3_u32 v18, s2, v3, v5
	v_or_b32_e32 v19, 8, v2
	s_mul_u64 s[36:37], s[30:31], s[34:35]
	s_lshl_b32 s2, s25, 6
	s_lshl_b64 s[14:15], s[22:23], 4
	s_wait_alu 0xfffe
	s_sub_co_i32 s22, s2, 64
	s_lshl_b64 s[16:17], s[36:37], 4
	s_branch .LBB199_3
.LBB199_2:                              ;   in Loop: Header=BB199_3 Depth=1
	s_wait_alu 0xfffe
	s_or_b32 exec_lo, exec_lo, s2
	s_add_co_i32 s20, s20, 0x10000
	s_delay_alu instid0(SALU_CYCLE_1)
	s_cmp_lt_u32 s20, s24
	s_cbranch_scc0 .LBB199_62
.LBB199_3:                              ; =>This Loop Header: Depth=1
                                        ;     Child Loop BB199_5 Depth 2
                                        ;     Child Loop BB199_16 Depth 2
	;; [unrolled: 1-line block ×3, first 2 shown]
                                        ;       Child Loop BB199_23 Depth 3
                                        ;         Child Loop BB199_24 Depth 4
                                        ;         Child Loop BB199_27 Depth 4
                                        ;           Child Loop BB199_28 Depth 5
                                        ;         Child Loop BB199_32 Depth 4
                                        ;           Child Loop BB199_34 Depth 5
                                        ;     Child Loop BB199_42 Depth 2
                                        ;       Child Loop BB199_45 Depth 3
                                        ;         Child Loop BB199_46 Depth 4
                                        ;         Child Loop BB199_48 Depth 4
                                        ;           Child Loop BB199_49 Depth 5
                                        ;         Child Loop BB199_53 Depth 4
                                        ;           Child Loop BB199_55 Depth 5
                                        ;     Child Loop BB199_61 Depth 2
	s_mov_b32 s21, s3
	s_delay_alu instid0(SALU_CYCLE_1)
	s_lshl_b64 s[18:19], s[20:21], 3
	s_wait_alu 0xfffe
	s_add_nc_u64 s[30:31], s[12:13], s[18:19]
	global_load_b64 v[10:11], v15, s[30:31]
	s_and_saveexec_b32 s2, s1
	s_cbranch_execz .LBB199_14
; %bb.4:                                ;   in Loop: Header=BB199_3 Depth=1
	s_add_nc_u64 s[18:19], s[8:9], s[18:19]
	v_mov_b32_e32 v2, v12
	global_load_b64 v[0:1], v15, s[18:19]
	s_mov_b32 s18, s25
	s_wait_loadcnt 0x0
	v_add_co_u32 v0, vcc_lo, v0, v17
	s_wait_alu 0xfffd
	v_add_co_ci_u32_e64 v1, null, v1, v16, vcc_lo
.LBB199_5:                              ;   Parent Loop BB199_3 Depth=1
                                        ; =>  This Inner Loop Header: Depth=2
	flat_load_b128 v[3:6], v[0:1] offset:-8
	v_add_co_u32 v0, vcc_lo, v0, s14
	s_wait_alu 0xfffd
	v_add_co_ci_u32_e64 v1, null, s15, v1, vcc_lo
	s_wait_alu 0xfffe
	s_add_co_i32 s18, s18, -1
	s_wait_alu 0xfffe
	s_cmp_eq_u32 s18, 0
	s_wait_loadcnt_dscnt 0x0
	v_xor_b32_e32 v7, 0x80000000, v6
	s_delay_alu instid0(VALU_DEP_1)
	v_cndmask_b32_e64 v6, v6, v7, s0
	ds_store_b128 v2, v[3:6]
	v_add_nc_u32_e32 v2, 64, v2
	s_cbranch_scc0 .LBB199_5
; %bb.6:                                ;   in Loop: Header=BB199_3 Depth=1
	s_and_b32 vcc_lo, exec_lo, s27
	s_wait_alu 0xfffe
	s_cbranch_vccz .LBB199_12
; %bb.7:                                ;   in Loop: Header=BB199_3 Depth=1
	ds_load_b128 v[0:3], v20
                                        ; implicit-def: $vgpr6_vgpr7
	s_wait_dscnt 0x0
	v_cmp_ngt_f64_e64 s18, |v[0:1]|, |v[2:3]|
	s_and_saveexec_b32 s19, s18
	s_wait_alu 0xfffe
	s_xor_b32 s18, exec_lo, s19
	s_cbranch_execz .LBB199_9
; %bb.8:                                ;   in Loop: Header=BB199_3 Depth=1
	v_div_scale_f64 v[4:5], null, v[2:3], v[2:3], v[0:1]
	v_div_scale_f64 v[23:24], vcc_lo, v[0:1], v[2:3], v[0:1]
	s_delay_alu instid0(VALU_DEP_2) | instskip(NEXT) | instid1(TRANS32_DEP_1)
	v_rcp_f64_e32 v[6:7], v[4:5]
	v_fma_f64 v[21:22], -v[4:5], v[6:7], 1.0
	s_delay_alu instid0(VALU_DEP_1) | instskip(NEXT) | instid1(VALU_DEP_1)
	v_fma_f64 v[6:7], v[6:7], v[21:22], v[6:7]
	v_fma_f64 v[21:22], -v[4:5], v[6:7], 1.0
	s_delay_alu instid0(VALU_DEP_1) | instskip(NEXT) | instid1(VALU_DEP_1)
	v_fma_f64 v[6:7], v[6:7], v[21:22], v[6:7]
	v_mul_f64_e32 v[21:22], v[23:24], v[6:7]
	s_delay_alu instid0(VALU_DEP_1) | instskip(SKIP_1) | instid1(VALU_DEP_1)
	v_fma_f64 v[4:5], -v[4:5], v[21:22], v[23:24]
	s_wait_alu 0xfffd
	v_div_fmas_f64 v[4:5], v[4:5], v[6:7], v[21:22]
	s_delay_alu instid0(VALU_DEP_1) | instskip(NEXT) | instid1(VALU_DEP_1)
	v_div_fixup_f64 v[4:5], v[4:5], v[2:3], v[0:1]
	v_fma_f64 v[0:1], v[0:1], v[4:5], v[2:3]
	s_delay_alu instid0(VALU_DEP_1) | instskip(SKIP_1) | instid1(VALU_DEP_2)
	v_div_scale_f64 v[2:3], null, v[0:1], v[0:1], 1.0
	v_div_scale_f64 v[23:24], vcc_lo, 1.0, v[0:1], 1.0
	v_rcp_f64_e32 v[6:7], v[2:3]
	s_delay_alu instid0(TRANS32_DEP_1) | instskip(NEXT) | instid1(VALU_DEP_1)
	v_fma_f64 v[21:22], -v[2:3], v[6:7], 1.0
	v_fma_f64 v[6:7], v[6:7], v[21:22], v[6:7]
	s_delay_alu instid0(VALU_DEP_1) | instskip(NEXT) | instid1(VALU_DEP_1)
	v_fma_f64 v[21:22], -v[2:3], v[6:7], 1.0
	v_fma_f64 v[6:7], v[6:7], v[21:22], v[6:7]
	s_delay_alu instid0(VALU_DEP_1) | instskip(NEXT) | instid1(VALU_DEP_1)
	v_mul_f64_e32 v[21:22], v[23:24], v[6:7]
	v_fma_f64 v[2:3], -v[2:3], v[21:22], v[23:24]
	s_wait_alu 0xfffd
	s_delay_alu instid0(VALU_DEP_1) | instskip(SKIP_1) | instid1(VALU_DEP_2)
	v_div_fmas_f64 v[2:3], v[2:3], v[6:7], v[21:22]
	v_add_f64_e32 v[6:7], 0, v[4:5]
	v_div_fixup_f64 v[0:1], v[2:3], v[0:1], 1.0
	v_fma_f64 v[2:3], v[4:5], 0, -1.0
	s_delay_alu instid0(VALU_DEP_2) | instskip(NEXT) | instid1(VALU_DEP_2)
	v_mul_f64_e32 v[4:5], v[6:7], v[0:1]
	v_mul_f64_e32 v[6:7], v[2:3], v[0:1]
                                        ; implicit-def: $vgpr0_vgpr1
.LBB199_9:                              ;   in Loop: Header=BB199_3 Depth=1
	s_wait_alu 0xfffe
	s_and_not1_saveexec_b32 s18, s18
	s_cbranch_execz .LBB199_11
; %bb.10:                               ;   in Loop: Header=BB199_3 Depth=1
	v_div_scale_f64 v[4:5], null, v[0:1], v[0:1], v[2:3]
	v_div_scale_f64 v[23:24], vcc_lo, v[2:3], v[0:1], v[2:3]
	s_delay_alu instid0(VALU_DEP_2) | instskip(NEXT) | instid1(TRANS32_DEP_1)
	v_rcp_f64_e32 v[6:7], v[4:5]
	v_fma_f64 v[21:22], -v[4:5], v[6:7], 1.0
	s_delay_alu instid0(VALU_DEP_1) | instskip(NEXT) | instid1(VALU_DEP_1)
	v_fma_f64 v[6:7], v[6:7], v[21:22], v[6:7]
	v_fma_f64 v[21:22], -v[4:5], v[6:7], 1.0
	s_delay_alu instid0(VALU_DEP_1) | instskip(NEXT) | instid1(VALU_DEP_1)
	v_fma_f64 v[6:7], v[6:7], v[21:22], v[6:7]
	v_mul_f64_e32 v[21:22], v[23:24], v[6:7]
	s_delay_alu instid0(VALU_DEP_1) | instskip(SKIP_1) | instid1(VALU_DEP_1)
	v_fma_f64 v[4:5], -v[4:5], v[21:22], v[23:24]
	s_wait_alu 0xfffd
	v_div_fmas_f64 v[4:5], v[4:5], v[6:7], v[21:22]
	s_delay_alu instid0(VALU_DEP_1) | instskip(NEXT) | instid1(VALU_DEP_1)
	v_div_fixup_f64 v[4:5], v[4:5], v[0:1], v[2:3]
	v_fma_f64 v[0:1], v[2:3], v[4:5], v[0:1]
	s_delay_alu instid0(VALU_DEP_1) | instskip(SKIP_1) | instid1(VALU_DEP_2)
	v_div_scale_f64 v[2:3], null, v[0:1], v[0:1], 1.0
	v_div_scale_f64 v[23:24], vcc_lo, 1.0, v[0:1], 1.0
	v_rcp_f64_e32 v[6:7], v[2:3]
	s_delay_alu instid0(TRANS32_DEP_1) | instskip(NEXT) | instid1(VALU_DEP_1)
	v_fma_f64 v[21:22], -v[2:3], v[6:7], 1.0
	v_fma_f64 v[6:7], v[6:7], v[21:22], v[6:7]
	s_delay_alu instid0(VALU_DEP_1) | instskip(NEXT) | instid1(VALU_DEP_1)
	v_fma_f64 v[21:22], -v[2:3], v[6:7], 1.0
	v_fma_f64 v[6:7], v[6:7], v[21:22], v[6:7]
	s_delay_alu instid0(VALU_DEP_1) | instskip(NEXT) | instid1(VALU_DEP_1)
	v_mul_f64_e32 v[21:22], v[23:24], v[6:7]
	v_fma_f64 v[2:3], -v[2:3], v[21:22], v[23:24]
	s_wait_alu 0xfffd
	s_delay_alu instid0(VALU_DEP_1) | instskip(SKIP_1) | instid1(VALU_DEP_2)
	v_div_fmas_f64 v[2:3], v[2:3], v[6:7], v[21:22]
	v_fma_f64 v[6:7], v[4:5], 0, 1.0
	v_div_fixup_f64 v[0:1], v[2:3], v[0:1], 1.0
	v_add_f64_e64 v[2:3], -v[4:5], 0
	s_delay_alu instid0(VALU_DEP_2) | instskip(NEXT) | instid1(VALU_DEP_2)
	v_mul_f64_e32 v[4:5], v[6:7], v[0:1]
	v_mul_f64_e32 v[6:7], v[2:3], v[0:1]
.LBB199_11:                             ;   in Loop: Header=BB199_3 Depth=1
	s_wait_alu 0xfffe
	s_or_b32 exec_lo, exec_lo, s18
	s_branch .LBB199_13
.LBB199_12:                             ;   in Loop: Header=BB199_3 Depth=1
	v_mov_b32_e32 v6, 0
	v_dual_mov_b32 v7, 0 :: v_dual_mov_b32 v4, 0
	v_mov_b32_e32 v5, 0x3ff00000
.LBB199_13:                             ;   in Loop: Header=BB199_3 Depth=1
	ds_store_b128 v20, v[4:7]
.LBB199_14:                             ;   in Loop: Header=BB199_3 Depth=1
	s_wait_alu 0xfffe
	s_or_b32 exec_lo, exec_lo, s2
	s_and_saveexec_b32 s2, s29
	s_cbranch_execz .LBB199_17
; %bb.15:                               ;   in Loop: Header=BB199_3 Depth=1
	s_wait_loadcnt 0x0
	v_add_co_u32 v0, vcc_lo, v10, v19
	s_wait_alu 0xfffd
	v_add_co_ci_u32_e64 v1, null, v11, v18, vcc_lo
	v_mov_b32_e32 v2, v14
	s_mov_b32 s18, s25
.LBB199_16:                             ;   Parent Loop BB199_3 Depth=1
                                        ; =>  This Inner Loop Header: Depth=2
	flat_load_b128 v[3:6], v[0:1] offset:-8
	v_add_co_u32 v0, vcc_lo, v0, 16
	s_wait_alu 0xfffd
	v_add_co_ci_u32_e64 v1, null, 0, v1, vcc_lo
	s_wait_alu 0xfffe
	s_add_co_i32 s18, s18, -1
	s_wait_alu 0xfffe
	s_cmp_lg_u32 s18, 0
	s_wait_loadcnt_dscnt 0x0
	v_mul_f64_e32 v[21:22], s[6:7], v[5:6]
	v_mul_f64_e32 v[5:6], s[4:5], v[5:6]
	s_delay_alu instid0(VALU_DEP_2) | instskip(NEXT) | instid1(VALU_DEP_2)
	v_fma_f64 v[21:22], s[4:5], v[3:4], -v[21:22]
	v_fma_f64 v[23:24], s[6:7], v[3:4], v[5:6]
	ds_store_b128 v2, v[21:24]
	v_add_nc_u32_e32 v2, 64, v2
	s_cbranch_scc1 .LBB199_16
.LBB199_17:                             ;   in Loop: Header=BB199_3 Depth=1
	s_wait_alu 0xfffe
	s_or_b32 exec_lo, exec_lo, s2
	s_delay_alu instid0(SALU_CYCLE_1)
	s_and_not1_b32 vcc_lo, exec_lo, s28
	s_mov_b32 s2, -1
	; wave barrier
	s_wait_loadcnt_dscnt 0x0
	global_inv scope:SCOPE_SE
	s_wait_alu 0xfffe
	s_cbranch_vccnz .LBB199_39
; %bb.18:                               ;   in Loop: Header=BB199_3 Depth=1
	s_mov_b32 s2, 0
	s_wait_alu 0xfffe
	s_mov_b32 s18, s2
	s_branch .LBB199_20
.LBB199_19:                             ;   in Loop: Header=BB199_20 Depth=2
	s_cmp_lt_i32 s18, s25
	s_cselect_b32 s19, -1, 0
	s_add_co_i32 s21, s2, 1
	s_cmp_lt_u32 s2, 2
	s_cselect_b32 s2, -1, 0
	s_wait_alu 0xfffe
	s_and_b32 s2, s19, s2
	s_wait_alu 0xfffe
	s_and_b32 vcc_lo, exec_lo, s2
	s_mov_b32 s2, s21
	s_wait_alu 0xfffe
	s_cbranch_vccz .LBB199_38
.LBB199_20:                             ;   Parent Loop BB199_3 Depth=1
                                        ; =>  This Loop Header: Depth=2
                                        ;       Child Loop BB199_23 Depth 3
                                        ;         Child Loop BB199_24 Depth 4
                                        ;         Child Loop BB199_27 Depth 4
                                        ;           Child Loop BB199_28 Depth 5
                                        ;         Child Loop BB199_32 Depth 4
                                        ;           Child Loop BB199_34 Depth 5
	s_getpc_b64 s[30:31]
	s_wait_alu 0xfffe
	s_sext_i32_i16 s31, s31
	s_add_co_u32 s30, s30, __const._ZL38rocblas_trsm_small_left_device_sharedBILi4ELi4ELb0E19rocblas_complex_numIdES1_PKPKS1_PKPS1_Ev13rocblas_fill_18rocblas_operation_17rocblas_diagonal_iiT3_T4_lilT5_lili.step_sizes@rel32@lo+12
	s_wait_alu 0xfffe
	s_add_co_ci_u32 s31, s31, __const._ZL38rocblas_trsm_small_left_device_sharedBILi4ELi4ELb0E19rocblas_complex_numIdES1_PKPKS1_PKPS1_Ev13rocblas_fill_18rocblas_operation_17rocblas_diagonal_iiT3_T4_lilT5_lili.step_sizes@rel32@hi+24
	s_lshl_b64 s[34:35], s[2:3], 2
	s_wait_alu 0xfffe
	s_add_nc_u64 s[30:31], s[30:31], s[34:35]
	s_load_b32 s19, s[30:31], 0x0
	s_wait_kmcnt 0x0
	s_add_co_i32 s21, s19, -1
	s_delay_alu instid0(SALU_CYCLE_1)
	s_add_co_i32 s23, s21, s18
	s_wait_alu 0xfffe
	s_cmp_ge_i32 s23, s25
	s_cbranch_scc1 .LBB199_19
; %bb.21:                               ;   in Loop: Header=BB199_20 Depth=2
	s_lshl_b32 s23, s18, 6
	s_max_i32 s30, s19, 1
	s_wait_alu 0xfffe
	v_add_nc_u32_e32 v4, s23, v14
	s_lshl_b32 s31, s19, 6
	s_mul_i32 s33, s18, 0x50
	s_mul_i32 s34, s19, 0x50
	s_branch .LBB199_23
.LBB199_22:                             ;   in Loop: Header=BB199_23 Depth=3
	s_add_co_i32 s18, s18, s19
	v_add_nc_u32_e32 v4, s31, v4
	s_wait_alu 0xfffe
	s_add_co_i32 s35, s21, s18
	s_add_co_i32 s23, s23, s31
	;; [unrolled: 1-line block ×3, first 2 shown]
	s_wait_alu 0xfffe
	s_cmp_ge_i32 s35, s25
	s_cbranch_scc1 .LBB199_19
.LBB199_23:                             ;   Parent Loop BB199_3 Depth=1
                                        ;     Parent Loop BB199_20 Depth=2
                                        ; =>    This Loop Header: Depth=3
                                        ;         Child Loop BB199_24 Depth 4
                                        ;         Child Loop BB199_27 Depth 4
                                        ;           Child Loop BB199_28 Depth 5
                                        ;         Child Loop BB199_32 Depth 4
                                        ;           Child Loop BB199_34 Depth 5
	v_dual_mov_b32 v0, v13 :: v_dual_mov_b32 v1, v4
	s_wait_alu 0xfffe
	s_mov_b32 s35, s30
.LBB199_24:                             ;   Parent Loop BB199_3 Depth=1
                                        ;     Parent Loop BB199_20 Depth=2
                                        ;       Parent Loop BB199_23 Depth=3
                                        ; =>      This Inner Loop Header: Depth=4
	ds_load_b128 v[21:24], v1
	v_add_nc_u32_e32 v1, 64, v1
	s_wait_alu 0xfffe
	s_add_co_i32 s35, s35, -1
	s_wait_alu 0xfffe
	s_cmp_eq_u32 s35, 0
	s_wait_dscnt 0x0
	ds_store_b128 v0, v[21:24]
	v_add_nc_u32_e32 v0, 16, v0
	s_cbranch_scc0 .LBB199_24
; %bb.25:                               ;   in Loop: Header=BB199_23 Depth=3
	s_cmp_lt_i32 s18, 1
	s_cbranch_scc1 .LBB199_30
; %bb.26:                               ;   in Loop: Header=BB199_23 Depth=3
	s_mov_b32 s35, 0
	s_mov_b32 s36, s23
.LBB199_27:                             ;   Parent Loop BB199_3 Depth=1
                                        ;     Parent Loop BB199_20 Depth=2
                                        ;       Parent Loop BB199_23 Depth=3
                                        ; =>      This Loop Header: Depth=4
                                        ;           Child Loop BB199_28 Depth 5
	s_wait_alu 0xfffe
	v_lshl_add_u32 v0, s35, 6, v14
	v_mov_b32_e32 v5, v13
	s_mov_b32 s37, s36
	s_mov_b32 s38, s30
	ds_load_b128 v[0:3], v0
.LBB199_28:                             ;   Parent Loop BB199_3 Depth=1
                                        ;     Parent Loop BB199_20 Depth=2
                                        ;       Parent Loop BB199_23 Depth=3
                                        ;         Parent Loop BB199_27 Depth=4
                                        ; =>        This Inner Loop Header: Depth=5
	s_wait_alu 0xfffe
	v_mov_b32_e32 v6, s37
	s_add_co_i32 s38, s38, -1
	s_add_co_i32 s37, s37, 64
	s_wait_alu 0xfffe
	s_cmp_eq_u32 s38, 0
	ds_load_b128 v[21:24], v6
	s_wait_dscnt 0x0
	v_mul_f64_e32 v[6:7], v[2:3], v[23:24]
	v_mul_f64_e32 v[23:24], v[0:1], v[23:24]
	s_delay_alu instid0(VALU_DEP_2) | instskip(NEXT) | instid1(VALU_DEP_2)
	v_fma_f64 v[6:7], v[0:1], v[21:22], -v[6:7]
	v_fma_f64 v[25:26], v[2:3], v[21:22], v[23:24]
	ds_load_b128 v[21:24], v5
	s_wait_dscnt 0x0
	v_add_f64_e64 v[21:22], v[21:22], -v[6:7]
	v_add_f64_e64 v[23:24], v[23:24], -v[25:26]
	ds_store_b128 v5, v[21:24]
	v_add_nc_u32_e32 v5, 16, v5
	s_cbranch_scc0 .LBB199_28
; %bb.29:                               ;   in Loop: Header=BB199_27 Depth=4
	s_add_co_i32 s35, s35, 1
	s_add_co_i32 s36, s36, 16
	s_wait_alu 0xfffe
	s_cmp_eq_u32 s35, s18
	s_cbranch_scc0 .LBB199_27
.LBB199_30:                             ;   in Loop: Header=BB199_23 Depth=3
	s_lshl_b32 s35, s18, 6
	s_mov_b32 s36, 0
	s_mov_b32 s37, s33
	s_branch .LBB199_32
.LBB199_31:                             ;   in Loop: Header=BB199_32 Depth=4
	s_wait_alu 0xfffe
	s_mulk_i32 s39, 0x50
	s_add_co_i32 s36, s36, 1
	s_wait_alu 0xfffe
	v_mov_b32_e32 v6, s39
	s_add_co_i32 s37, s37, 64
	s_cmp_eq_u32 s36, s30
	ds_load_b128 v[21:24], v6
	s_wait_dscnt 0x0
	v_mul_f64_e32 v[6:7], v[23:24], v[2:3]
	v_mul_f64_e32 v[2:3], v[21:22], v[2:3]
	s_delay_alu instid0(VALU_DEP_2) | instskip(NEXT) | instid1(VALU_DEP_2)
	v_fma_f64 v[21:22], v[21:22], v[0:1], -v[6:7]
	v_fma_f64 v[23:24], v[23:24], v[0:1], v[2:3]
	v_add_nc_u32_e32 v0, s38, v14
	ds_store_b128 v5, v[21:24]
	ds_store_b128 v0, v[21:24]
	s_cbranch_scc1 .LBB199_22
.LBB199_32:                             ;   Parent Loop BB199_3 Depth=1
                                        ;     Parent Loop BB199_20 Depth=2
                                        ;       Parent Loop BB199_23 Depth=3
                                        ; =>      This Loop Header: Depth=4
                                        ;           Child Loop BB199_34 Depth 5
	s_wait_alu 0xfffe
	v_lshl_add_u32 v5, s36, 4, v13
	s_cmp_lg_u32 s36, 0
	s_cbranch_scc0 .LBB199_36
; %bb.33:                               ;   in Loop: Header=BB199_32 Depth=4
	ds_load_b128 v[0:3], v5
	v_mov_b32_e32 v6, v13
	s_add_co_i32 s39, s36, s18
	s_mov_b32 s40, s37
	s_wait_alu 0xfffe
	s_lshl_b32 s38, s39, 6
	s_mov_b32 s41, s36
.LBB199_34:                             ;   Parent Loop BB199_3 Depth=1
                                        ;     Parent Loop BB199_20 Depth=2
                                        ;       Parent Loop BB199_23 Depth=3
                                        ;         Parent Loop BB199_32 Depth=4
                                        ; =>        This Inner Loop Header: Depth=5
	v_mov_b32_e32 v7, s40
	s_wait_alu 0xfffe
	s_add_co_i32 s41, s41, -1
	s_add_co_i32 s40, s40, 16
	s_wait_alu 0xfffe
	s_cmp_eq_u32 s41, 0
	ds_load_b128 v[21:24], v6
	ds_load_b128 v[25:28], v7
	v_add_nc_u32_e32 v6, 16, v6
	s_wait_dscnt 0x0
	v_mul_f64_e32 v[29:30], v[27:28], v[23:24]
	v_mul_f64_e32 v[23:24], v[25:26], v[23:24]
	s_delay_alu instid0(VALU_DEP_2) | instskip(NEXT) | instid1(VALU_DEP_2)
	v_fma_f64 v[25:26], v[25:26], v[21:22], -v[29:30]
	v_fma_f64 v[21:22], v[27:28], v[21:22], v[23:24]
	s_delay_alu instid0(VALU_DEP_2) | instskip(NEXT) | instid1(VALU_DEP_2)
	v_add_f64_e64 v[0:1], v[0:1], -v[25:26]
	v_add_f64_e64 v[2:3], v[2:3], -v[21:22]
	ds_store_b128 v5, v[0:3]
	s_cbranch_scc0 .LBB199_34
; %bb.35:                               ;   in Loop: Header=BB199_32 Depth=4
	s_branch .LBB199_31
.LBB199_36:                             ;   in Loop: Header=BB199_32 Depth=4
                                        ; implicit-def: $vgpr0_vgpr1
                                        ; implicit-def: $sgpr39
                                        ; implicit-def: $sgpr38
	s_cbranch_execz .LBB199_31
; %bb.37:                               ;   in Loop: Header=BB199_32 Depth=4
	ds_load_b128 v[0:3], v13
	s_mov_b32 s38, s35
	s_mov_b32 s39, s18
	s_branch .LBB199_31
.LBB199_38:                             ;   in Loop: Header=BB199_3 Depth=1
	s_mov_b32 s2, 0
.LBB199_39:                             ;   in Loop: Header=BB199_3 Depth=1
	s_wait_alu 0xfffe
	s_and_b32 vcc_lo, exec_lo, s2
	s_wait_alu 0xfffe
	s_cbranch_vccz .LBB199_59
; %bb.40:                               ;   in Loop: Header=BB199_3 Depth=1
	s_mov_b32 s2, 0
	s_mov_b32 s18, s26
	s_branch .LBB199_42
.LBB199_41:                             ;   in Loop: Header=BB199_42 Depth=2
	s_cmp_gt_i32 s18, -1
	s_cselect_b32 s19, -1, 0
	s_add_co_i32 s21, s2, 1
	s_cmp_lt_u32 s2, 2
	s_cselect_b32 s2, -1, 0
	s_wait_alu 0xfffe
	s_and_b32 s2, s19, s2
	s_wait_alu 0xfffe
	s_and_not1_b32 vcc_lo, exec_lo, s2
	s_mov_b32 s2, s21
	s_wait_alu 0xfffe
	s_cbranch_vccnz .LBB199_59
.LBB199_42:                             ;   Parent Loop BB199_3 Depth=1
                                        ; =>  This Loop Header: Depth=2
                                        ;       Child Loop BB199_45 Depth 3
                                        ;         Child Loop BB199_46 Depth 4
                                        ;         Child Loop BB199_48 Depth 4
                                        ;           Child Loop BB199_49 Depth 5
                                        ;         Child Loop BB199_53 Depth 4
                                        ;           Child Loop BB199_55 Depth 5
	s_getpc_b64 s[30:31]
	s_wait_alu 0xfffe
	s_sext_i32_i16 s31, s31
	s_add_co_u32 s30, s30, __const._ZL38rocblas_trsm_small_left_device_sharedBILi4ELi4ELb0E19rocblas_complex_numIdES1_PKPKS1_PKPS1_Ev13rocblas_fill_18rocblas_operation_17rocblas_diagonal_iiT3_T4_lilT5_lili.step_sizes@rel32@lo+12
	s_wait_alu 0xfffe
	s_add_co_ci_u32 s31, s31, __const._ZL38rocblas_trsm_small_left_device_sharedBILi4ELi4ELb0E19rocblas_complex_numIdES1_PKPKS1_PKPS1_Ev13rocblas_fill_18rocblas_operation_17rocblas_diagonal_iiT3_T4_lilT5_lili.step_sizes@rel32@hi+24
	s_lshl_b64 s[34:35], s[2:3], 2
	s_wait_alu 0xfffe
	s_add_nc_u64 s[30:31], s[30:31], s[34:35]
	s_load_b32 s19, s[30:31], 0x0
	s_wait_kmcnt 0x0
	s_add_co_i32 s21, s19, -1
	s_delay_alu instid0(SALU_CYCLE_1)
	s_cmp_lt_i32 s18, s21
	s_cbranch_scc1 .LBB199_41
; %bb.43:                               ;   in Loop: Header=BB199_42 Depth=2
	v_lshl_add_u32 v4, s18, 6, v14
	s_lshl_b32 s30, s19, 6
	s_lshl_b32 s31, s18, 4
	;; [unrolled: 1-line block ×3, first 2 shown]
	s_max_i32 s23, s19, 1
	s_wait_alu 0xfffe
	s_sub_co_i32 s30, 0, s30
	s_add_co_i32 s31, s22, s31
	s_sub_co_i32 s33, 0, s33
	s_mul_i32 s34, s18, 0x50
	s_mul_i32 s35, s19, 0xffffffb0
	s_branch .LBB199_45
.LBB199_44:                             ;   in Loop: Header=BB199_45 Depth=3
	v_add_nc_u32_e32 v4, s30, v4
	s_sub_co_i32 s18, s18, s19
	s_add_co_i32 s31, s31, s33
	s_add_co_i32 s34, s34, s35
	s_wait_alu 0xfffe
	s_cmp_lt_i32 s18, s21
	s_cbranch_scc1 .LBB199_41
.LBB199_45:                             ;   Parent Loop BB199_3 Depth=1
                                        ;     Parent Loop BB199_42 Depth=2
                                        ; =>    This Loop Header: Depth=3
                                        ;         Child Loop BB199_46 Depth 4
                                        ;         Child Loop BB199_48 Depth 4
                                        ;           Child Loop BB199_49 Depth 5
                                        ;         Child Loop BB199_53 Depth 4
                                        ;           Child Loop BB199_55 Depth 5
	v_dual_mov_b32 v0, v13 :: v_dual_mov_b32 v1, v4
	s_mov_b32 s36, s23
.LBB199_46:                             ;   Parent Loop BB199_3 Depth=1
                                        ;     Parent Loop BB199_42 Depth=2
                                        ;       Parent Loop BB199_45 Depth=3
                                        ; =>      This Inner Loop Header: Depth=4
	ds_load_b128 v[21:24], v1
	v_subrev_nc_u32_e32 v1, 64, v1
	s_wait_alu 0xfffe
	s_add_co_i32 s36, s36, -1
	s_wait_alu 0xfffe
	s_cmp_eq_u32 s36, 0
	s_wait_dscnt 0x0
	ds_store_b128 v0, v[21:24]
	v_add_nc_u32_e32 v0, 16, v0
	s_cbranch_scc0 .LBB199_46
; %bb.47:                               ;   in Loop: Header=BB199_45 Depth=3
	s_cmp_le_i32 s26, s18
	s_mov_b32 s36, s31
	s_mov_b32 s37, s26
	s_cbranch_scc1 .LBB199_51
.LBB199_48:                             ;   Parent Loop BB199_3 Depth=1
                                        ;     Parent Loop BB199_42 Depth=2
                                        ;       Parent Loop BB199_45 Depth=3
                                        ; =>      This Loop Header: Depth=4
                                        ;           Child Loop BB199_49 Depth 5
	s_wait_alu 0xfffe
	v_lshl_add_u32 v0, s37, 6, v14
	v_mov_b32_e32 v5, v13
	s_mov_b32 s38, s36
	s_mov_b32 s39, s23
	ds_load_b128 v[0:3], v0
.LBB199_49:                             ;   Parent Loop BB199_3 Depth=1
                                        ;     Parent Loop BB199_42 Depth=2
                                        ;       Parent Loop BB199_45 Depth=3
                                        ;         Parent Loop BB199_48 Depth=4
                                        ; =>        This Inner Loop Header: Depth=5
	s_wait_alu 0xfffe
	v_mov_b32_e32 v6, s38
	s_add_co_i32 s39, s39, -1
	s_add_co_i32 s38, s38, -16
	s_wait_alu 0xfffe
	s_cmp_eq_u32 s39, 0
	ds_load_b128 v[21:24], v6
	s_wait_dscnt 0x0
	v_mul_f64_e32 v[6:7], v[2:3], v[23:24]
	v_mul_f64_e32 v[23:24], v[0:1], v[23:24]
	s_delay_alu instid0(VALU_DEP_2) | instskip(NEXT) | instid1(VALU_DEP_2)
	v_fma_f64 v[6:7], v[0:1], v[21:22], -v[6:7]
	v_fma_f64 v[25:26], v[2:3], v[21:22], v[23:24]
	ds_load_b128 v[21:24], v5
	s_wait_dscnt 0x0
	v_add_f64_e64 v[21:22], v[21:22], -v[6:7]
	v_add_f64_e64 v[23:24], v[23:24], -v[25:26]
	ds_store_b128 v5, v[21:24]
	v_add_nc_u32_e32 v5, 16, v5
	s_cbranch_scc0 .LBB199_49
; %bb.50:                               ;   in Loop: Header=BB199_48 Depth=4
	s_add_co_i32 s37, s37, -1
	s_sub_co_i32 s36, s36, 64
	s_wait_alu 0xfffe
	s_cmp_le_i32 s37, s18
	s_cbranch_scc0 .LBB199_48
.LBB199_51:                             ;   in Loop: Header=BB199_45 Depth=3
	s_mov_b32 s36, 0
	s_mov_b32 s37, s34
	s_branch .LBB199_53
.LBB199_52:                             ;   in Loop: Header=BB199_53 Depth=4
	s_wait_alu 0xfffe
	s_mul_i32 s39, s38, 0x50
	s_add_co_i32 s36, s36, 1
	s_wait_alu 0xfffe
	v_mov_b32_e32 v6, s39
	s_add_co_i32 s37, s37, -16
	s_cmp_eq_u32 s36, s23
	ds_load_b128 v[21:24], v6
	s_wait_dscnt 0x0
	v_mul_f64_e32 v[6:7], v[23:24], v[2:3]
	v_mul_f64_e32 v[2:3], v[21:22], v[2:3]
	s_delay_alu instid0(VALU_DEP_2) | instskip(NEXT) | instid1(VALU_DEP_2)
	v_fma_f64 v[21:22], v[21:22], v[0:1], -v[6:7]
	v_fma_f64 v[23:24], v[23:24], v[0:1], v[2:3]
	v_lshl_add_u32 v0, s38, 6, v14
	ds_store_b128 v5, v[21:24]
	ds_store_b128 v0, v[21:24]
	s_cbranch_scc1 .LBB199_44
.LBB199_53:                             ;   Parent Loop BB199_3 Depth=1
                                        ;     Parent Loop BB199_42 Depth=2
                                        ;       Parent Loop BB199_45 Depth=3
                                        ; =>      This Loop Header: Depth=4
                                        ;           Child Loop BB199_55 Depth 5
	s_wait_alu 0xfffe
	v_lshl_add_u32 v5, s36, 4, v13
	s_cmp_lg_u32 s36, 0
	s_cbranch_scc0 .LBB199_57
; %bb.54:                               ;   in Loop: Header=BB199_53 Depth=4
	ds_load_b128 v[0:3], v5
	v_mov_b32_e32 v6, v13
	s_sub_co_i32 s38, s18, s36
	s_mov_b32 s39, s37
	s_mov_b32 s40, s36
.LBB199_55:                             ;   Parent Loop BB199_3 Depth=1
                                        ;     Parent Loop BB199_42 Depth=2
                                        ;       Parent Loop BB199_45 Depth=3
                                        ;         Parent Loop BB199_53 Depth=4
                                        ; =>        This Inner Loop Header: Depth=5
	s_wait_alu 0xfffe
	v_mov_b32_e32 v7, s39
	s_add_co_i32 s40, s40, -1
	s_sub_co_i32 s39, s39, 64
	s_wait_alu 0xfffe
	s_cmp_eq_u32 s40, 0
	ds_load_b128 v[21:24], v6
	ds_load_b128 v[25:28], v7
	v_add_nc_u32_e32 v6, 16, v6
	s_wait_dscnt 0x0
	v_mul_f64_e32 v[29:30], v[27:28], v[23:24]
	v_mul_f64_e32 v[23:24], v[25:26], v[23:24]
	s_delay_alu instid0(VALU_DEP_2) | instskip(NEXT) | instid1(VALU_DEP_2)
	v_fma_f64 v[25:26], v[25:26], v[21:22], -v[29:30]
	v_fma_f64 v[21:22], v[27:28], v[21:22], v[23:24]
	s_delay_alu instid0(VALU_DEP_2) | instskip(NEXT) | instid1(VALU_DEP_2)
	v_add_f64_e64 v[0:1], v[0:1], -v[25:26]
	v_add_f64_e64 v[2:3], v[2:3], -v[21:22]
	ds_store_b128 v5, v[0:3]
	s_cbranch_scc0 .LBB199_55
; %bb.56:                               ;   in Loop: Header=BB199_53 Depth=4
	s_branch .LBB199_52
.LBB199_57:                             ;   in Loop: Header=BB199_53 Depth=4
                                        ; implicit-def: $vgpr0_vgpr1
                                        ; implicit-def: $sgpr38
	s_cbranch_execz .LBB199_52
; %bb.58:                               ;   in Loop: Header=BB199_53 Depth=4
	ds_load_b128 v[0:3], v13
	s_mov_b32 s38, s18
	s_branch .LBB199_52
.LBB199_59:                             ;   in Loop: Header=BB199_3 Depth=1
	; wave barrier
	s_wait_loadcnt_dscnt 0x0
	global_inv scope:SCOPE_SE
	s_and_saveexec_b32 s2, s29
	s_cbranch_execz .LBB199_2
; %bb.60:                               ;   in Loop: Header=BB199_3 Depth=1
	v_add_co_u32 v0, vcc_lo, v10, s10
	s_wait_alu 0xfffd
	v_add_co_ci_u32_e64 v1, null, s11, v11, vcc_lo
	v_mov_b32_e32 v2, v14
	s_delay_alu instid0(VALU_DEP_3) | instskip(SKIP_1) | instid1(VALU_DEP_3)
	v_add_co_u32 v0, vcc_lo, v0, s16
	s_wait_alu 0xfffd
	v_add_co_ci_u32_e64 v1, null, s17, v1, vcc_lo
	s_mov_b32 s18, s25
	v_add_co_u32 v0, vcc_lo, v0, v8
	s_wait_alu 0xfffd
	v_add_co_ci_u32_e64 v1, null, v1, v9, vcc_lo
.LBB199_61:                             ;   Parent Loop BB199_3 Depth=1
                                        ; =>  This Inner Loop Header: Depth=2
	ds_load_2addr_b64 v[3:6], v2 offset1:1
	v_add_nc_u32_e32 v2, 64, v2
	s_wait_alu 0xfffe
	s_add_co_i32 s18, s18, -1
	s_wait_alu 0xfffe
	s_cmp_lg_u32 s18, 0
	s_wait_dscnt 0x0
	flat_store_b128 v[0:1], v[3:6]
	v_add_co_u32 v0, vcc_lo, v0, 16
	s_wait_alu 0xfffd
	v_add_co_ci_u32_e64 v1, null, 0, v1, vcc_lo
	s_cbranch_scc1 .LBB199_61
	s_branch .LBB199_2
.LBB199_62:
	s_endpgm
	.section	.rodata,"a",@progbits
	.p2align	6, 0x0
	.amdhsa_kernel _ZL38rocblas_trsm_small_left_device_sharedBILi4ELi4ELb0E19rocblas_complex_numIdES1_PKPKS1_PKPS1_Ev13rocblas_fill_18rocblas_operation_17rocblas_diagonal_iiT3_T4_lilT5_lili
		.amdhsa_group_segment_fixed_size 768
		.amdhsa_private_segment_fixed_size 0
		.amdhsa_kernarg_size 368
		.amdhsa_user_sgpr_count 4
		.amdhsa_user_sgpr_dispatch_ptr 1
		.amdhsa_user_sgpr_queue_ptr 0
		.amdhsa_user_sgpr_kernarg_segment_ptr 1
		.amdhsa_user_sgpr_dispatch_id 0
		.amdhsa_user_sgpr_private_segment_size 0
		.amdhsa_wavefront_size32 1
		.amdhsa_uses_dynamic_stack 0
		.amdhsa_enable_private_segment 0
		.amdhsa_system_sgpr_workgroup_id_x 1
		.amdhsa_system_sgpr_workgroup_id_y 0
		.amdhsa_system_sgpr_workgroup_id_z 1
		.amdhsa_system_sgpr_workgroup_info 0
		.amdhsa_system_vgpr_workitem_id 2
		.amdhsa_next_free_vgpr 31
		.amdhsa_next_free_sgpr 42
		.amdhsa_reserve_vcc 1
		.amdhsa_float_round_mode_32 0
		.amdhsa_float_round_mode_16_64 0
		.amdhsa_float_denorm_mode_32 3
		.amdhsa_float_denorm_mode_16_64 3
		.amdhsa_fp16_overflow 0
		.amdhsa_workgroup_processor_mode 1
		.amdhsa_memory_ordered 1
		.amdhsa_forward_progress 1
		.amdhsa_inst_pref_size 25
		.amdhsa_round_robin_scheduling 0
		.amdhsa_exception_fp_ieee_invalid_op 0
		.amdhsa_exception_fp_denorm_src 0
		.amdhsa_exception_fp_ieee_div_zero 0
		.amdhsa_exception_fp_ieee_overflow 0
		.amdhsa_exception_fp_ieee_underflow 0
		.amdhsa_exception_fp_ieee_inexact 0
		.amdhsa_exception_int_div_zero 0
	.end_amdhsa_kernel
	.section	.text._ZL38rocblas_trsm_small_left_device_sharedBILi4ELi4ELb0E19rocblas_complex_numIdES1_PKPKS1_PKPS1_Ev13rocblas_fill_18rocblas_operation_17rocblas_diagonal_iiT3_T4_lilT5_lili,"axG",@progbits,_ZL38rocblas_trsm_small_left_device_sharedBILi4ELi4ELb0E19rocblas_complex_numIdES1_PKPKS1_PKPS1_Ev13rocblas_fill_18rocblas_operation_17rocblas_diagonal_iiT3_T4_lilT5_lili,comdat
.Lfunc_end199:
	.size	_ZL38rocblas_trsm_small_left_device_sharedBILi4ELi4ELb0E19rocblas_complex_numIdES1_PKPKS1_PKPS1_Ev13rocblas_fill_18rocblas_operation_17rocblas_diagonal_iiT3_T4_lilT5_lili, .Lfunc_end199-_ZL38rocblas_trsm_small_left_device_sharedBILi4ELi4ELb0E19rocblas_complex_numIdES1_PKPKS1_PKPS1_Ev13rocblas_fill_18rocblas_operation_17rocblas_diagonal_iiT3_T4_lilT5_lili
                                        ; -- End function
	.set _ZL38rocblas_trsm_small_left_device_sharedBILi4ELi4ELb0E19rocblas_complex_numIdES1_PKPKS1_PKPS1_Ev13rocblas_fill_18rocblas_operation_17rocblas_diagonal_iiT3_T4_lilT5_lili.num_vgpr, 31
	.set _ZL38rocblas_trsm_small_left_device_sharedBILi4ELi4ELb0E19rocblas_complex_numIdES1_PKPKS1_PKPS1_Ev13rocblas_fill_18rocblas_operation_17rocblas_diagonal_iiT3_T4_lilT5_lili.num_agpr, 0
	.set _ZL38rocblas_trsm_small_left_device_sharedBILi4ELi4ELb0E19rocblas_complex_numIdES1_PKPKS1_PKPS1_Ev13rocblas_fill_18rocblas_operation_17rocblas_diagonal_iiT3_T4_lilT5_lili.numbered_sgpr, 42
	.set _ZL38rocblas_trsm_small_left_device_sharedBILi4ELi4ELb0E19rocblas_complex_numIdES1_PKPKS1_PKPS1_Ev13rocblas_fill_18rocblas_operation_17rocblas_diagonal_iiT3_T4_lilT5_lili.num_named_barrier, 0
	.set _ZL38rocblas_trsm_small_left_device_sharedBILi4ELi4ELb0E19rocblas_complex_numIdES1_PKPKS1_PKPS1_Ev13rocblas_fill_18rocblas_operation_17rocblas_diagonal_iiT3_T4_lilT5_lili.private_seg_size, 0
	.set _ZL38rocblas_trsm_small_left_device_sharedBILi4ELi4ELb0E19rocblas_complex_numIdES1_PKPKS1_PKPS1_Ev13rocblas_fill_18rocblas_operation_17rocblas_diagonal_iiT3_T4_lilT5_lili.uses_vcc, 1
	.set _ZL38rocblas_trsm_small_left_device_sharedBILi4ELi4ELb0E19rocblas_complex_numIdES1_PKPKS1_PKPS1_Ev13rocblas_fill_18rocblas_operation_17rocblas_diagonal_iiT3_T4_lilT5_lili.uses_flat_scratch, 0
	.set _ZL38rocblas_trsm_small_left_device_sharedBILi4ELi4ELb0E19rocblas_complex_numIdES1_PKPKS1_PKPS1_Ev13rocblas_fill_18rocblas_operation_17rocblas_diagonal_iiT3_T4_lilT5_lili.has_dyn_sized_stack, 0
	.set _ZL38rocblas_trsm_small_left_device_sharedBILi4ELi4ELb0E19rocblas_complex_numIdES1_PKPKS1_PKPS1_Ev13rocblas_fill_18rocblas_operation_17rocblas_diagonal_iiT3_T4_lilT5_lili.has_recursion, 0
	.set _ZL38rocblas_trsm_small_left_device_sharedBILi4ELi4ELb0E19rocblas_complex_numIdES1_PKPKS1_PKPS1_Ev13rocblas_fill_18rocblas_operation_17rocblas_diagonal_iiT3_T4_lilT5_lili.has_indirect_call, 0
	.section	.AMDGPU.csdata,"",@progbits
; Kernel info:
; codeLenInByte = 3088
; TotalNumSgprs: 44
; NumVgprs: 31
; ScratchSize: 0
; MemoryBound: 0
; FloatMode: 240
; IeeeMode: 1
; LDSByteSize: 768 bytes/workgroup (compile time only)
; SGPRBlocks: 0
; VGPRBlocks: 3
; NumSGPRsForWavesPerEU: 44
; NumVGPRsForWavesPerEU: 31
; Occupancy: 16
; WaveLimiterHint : 0
; COMPUTE_PGM_RSRC2:SCRATCH_EN: 0
; COMPUTE_PGM_RSRC2:USER_SGPR: 4
; COMPUTE_PGM_RSRC2:TRAP_HANDLER: 0
; COMPUTE_PGM_RSRC2:TGID_X_EN: 1
; COMPUTE_PGM_RSRC2:TGID_Y_EN: 0
; COMPUTE_PGM_RSRC2:TGID_Z_EN: 1
; COMPUTE_PGM_RSRC2:TIDIG_COMP_CNT: 2
	.section	.text._ZL30rocblas_trsm_small_left_deviceILi4ELi4ELb0E19rocblas_complex_numIdES1_PKPKS1_PKPS1_Ev13rocblas_fill_18rocblas_operation_17rocblas_diagonal_iiT3_T4_lilT5_lili,"axG",@progbits,_ZL30rocblas_trsm_small_left_deviceILi4ELi4ELb0E19rocblas_complex_numIdES1_PKPKS1_PKPS1_Ev13rocblas_fill_18rocblas_operation_17rocblas_diagonal_iiT3_T4_lilT5_lili,comdat
	.globl	_ZL30rocblas_trsm_small_left_deviceILi4ELi4ELb0E19rocblas_complex_numIdES1_PKPKS1_PKPS1_Ev13rocblas_fill_18rocblas_operation_17rocblas_diagonal_iiT3_T4_lilT5_lili ; -- Begin function _ZL30rocblas_trsm_small_left_deviceILi4ELi4ELb0E19rocblas_complex_numIdES1_PKPKS1_PKPS1_Ev13rocblas_fill_18rocblas_operation_17rocblas_diagonal_iiT3_T4_lilT5_lili
	.p2align	8
	.type	_ZL30rocblas_trsm_small_left_deviceILi4ELi4ELb0E19rocblas_complex_numIdES1_PKPKS1_PKPS1_Ev13rocblas_fill_18rocblas_operation_17rocblas_diagonal_iiT3_T4_lilT5_lili,@function
_ZL30rocblas_trsm_small_left_deviceILi4ELi4ELb0E19rocblas_complex_numIdES1_PKPKS1_PKPS1_Ev13rocblas_fill_18rocblas_operation_17rocblas_diagonal_iiT3_T4_lilT5_lili: ; @_ZL30rocblas_trsm_small_left_deviceILi4ELi4ELb0E19rocblas_complex_numIdES1_PKPKS1_PKPS1_Ev13rocblas_fill_18rocblas_operation_17rocblas_diagonal_iiT3_T4_lilT5_lili
; %bb.0:
	s_load_b32 s30, s[2:3], 0x68
	s_lshr_b32 s20, ttmp7, 16
	s_wait_kmcnt 0x0
	s_cmp_ge_u32 s20, s30
	s_cbranch_scc1 .LBB200_58
; %bb.1:
	s_load_b32 s22, s[2:3], 0x38
	s_load_b64 s[0:1], s[0:1], 0x4
	s_clause 0x4
	s_load_b128 s[16:19], s[2:3], 0x4
	s_load_b32 s21, s[2:3], 0x70
	s_load_b128 s[12:15], s[2:3], 0x48
	s_load_b32 s24, s[2:3], 0x58
	s_load_b256 s[4:11], s[2:3], 0x18
	v_bfe_u32 v1, v0, 10, 10
	v_and_b32_e32 v2, 0x3ff, v0
	v_bfe_u32 v0, v0, 20, 10
	v_mov_b32_e32 v14, 0
	s_mov_b32 s36, 0
	s_delay_alu instid0(VALU_DEP_3) | instskip(SKIP_1) | instid1(VALU_DEP_1)
	v_lshlrev_b32_e32 v12, 4, v2
	v_lshlrev_b32_e32 v3, 6, v2
	v_add_nc_u32_e32 v19, v12, v3
	s_wait_kmcnt 0x0
	s_ashr_i32 s23, s22, 31
	s_lshr_b32 s0, s0, 16
	s_cmp_eq_u32 s16, 0x71
	v_mul_u32_u24_e32 v1, s1, v1
	s_mul_i32 s1, s0, s1
	s_cselect_b32 s0, -1, 0
	s_wait_alu 0xfffe
	s_lshl_b32 s2, ttmp9, 2
	v_mul_u32_u24_e32 v4, s1, v2
	v_or_b32_e32 v5, s2, v2
	s_min_i32 s3, s18, 4
	s_add_co_i32 s21, s21, -1
	s_wait_alu 0xfffe
	s_add_co_i32 s31, s3, -1
	v_add3_u32 v4, v4, v1, v0
	v_mad_co_i64_i32 v[0:1], null, s24, v5, 0
	s_sub_co_i32 s18, s19, s2
	s_cmp_ge_u32 ttmp9, s21
	v_cmp_gt_i32_e64 s1, s3, v2
	s_cselect_b32 s2, s18, 4
	s_cmp_lg_u32 s17, 0x84
	v_lshl_add_u32 v13, v4, 6, 0x100
	s_cselect_b32 s33, -1, 0
	s_cmp_lg_u32 s16, 0x6f
	v_lshlrev_b64_e32 v[8:9], 4, v[0:1]
	s_cselect_b32 s34, -1, 0
	s_lshl_b64 s[10:11], s[10:11], 4
	s_wait_alu 0xfffe
	v_cmp_gt_i32_e64 s2, s2, v2
	v_add_co_u32 v0, s10, s10, v12
	s_wait_alu 0xf1ff
	v_add_co_ci_u32_e64 v15, null, s11, 0, s10
	s_lshl_b64 s[10:11], s[14:15], 4
	v_or_b32_e32 v16, 8, v0
	s_wait_alu 0xfffe
	v_add_co_u32 v1, vcc_lo, v8, s10
	s_delay_alu instid0(VALU_DEP_1)
	v_add_co_ci_u32_e64 v17, null, s11, v9, vcc_lo
	s_lshl_b32 s16, s3, 6
	v_or_b32_e32 v18, 8, v1
	s_lshl_b64 s[14:15], s[22:23], 4
	s_sub_co_i32 s35, s16, 64
	s_mov_b32 s17, 0
	s_branch .LBB200_4
.LBB200_2:                              ;   in Loop: Header=BB200_4 Depth=1
	s_add_co_i32 s20, s20, 0x10000
	s_delay_alu instid0(SALU_CYCLE_1)
	s_cmp_ge_u32 s20, s30
	s_cselect_b32 s16, -1, 0
	s_wait_alu 0xfffe
	s_or_not1_b32 s16, s16, exec_lo
.LBB200_3:                              ;   in Loop: Header=BB200_4 Depth=1
	s_or_b32 exec_lo, exec_lo, s21
	s_wait_alu 0xfffe
	s_and_b32 s16, exec_lo, s16
	s_wait_alu 0xfffe
	s_or_b32 s36, s16, s36
	s_delay_alu instid0(SALU_CYCLE_1)
	s_and_not1_b32 exec_lo, exec_lo, s36
	s_cbranch_execz .LBB200_58
.LBB200_4:                              ; =>This Loop Header: Depth=1
                                        ;     Child Loop BB200_6 Depth 2
                                        ;     Child Loop BB200_19 Depth 2
                                        ;       Child Loop BB200_22 Depth 3
                                        ;         Child Loop BB200_23 Depth 4
                                        ;         Child Loop BB200_26 Depth 4
                                        ;           Child Loop BB200_27 Depth 5
                                        ;         Child Loop BB200_31 Depth 4
                                        ;           Child Loop BB200_33 Depth 5
                                        ;     Child Loop BB200_41 Depth 2
                                        ;       Child Loop BB200_44 Depth 3
                                        ;         Child Loop BB200_45 Depth 4
                                        ;         Child Loop BB200_47 Depth 4
                                        ;           Child Loop BB200_48 Depth 5
                                        ;         Child Loop BB200_52 Depth 4
                                        ;           Child Loop BB200_54 Depth 5
	s_mov_b32 s21, s17
	s_delay_alu instid0(SALU_CYCLE_1) | instskip(NEXT) | instid1(SALU_CYCLE_1)
	s_lshl_b64 s[18:19], s[20:21], 3
	s_add_nc_u64 s[22:23], s[12:13], s[18:19]
	global_load_b64 v[10:11], v14, s[22:23]
	s_and_saveexec_b32 s16, s1
	s_cbranch_execz .LBB200_15
; %bb.5:                                ;   in Loop: Header=BB200_4 Depth=1
	s_add_nc_u64 s[18:19], s[8:9], s[18:19]
	v_mov_b32_e32 v2, v12
	global_load_b64 v[0:1], v14, s[18:19]
	s_mov_b32 s18, s3
	s_wait_loadcnt 0x0
	v_add_co_u32 v0, vcc_lo, v0, v16
	s_wait_alu 0xfffd
	v_add_co_ci_u32_e64 v1, null, v1, v15, vcc_lo
.LBB200_6:                              ;   Parent Loop BB200_4 Depth=1
                                        ; =>  This Inner Loop Header: Depth=2
	flat_load_b128 v[3:6], v[0:1] offset:-8
	v_add_co_u32 v0, vcc_lo, v0, s14
	s_wait_alu 0xfffd
	v_add_co_ci_u32_e64 v1, null, s15, v1, vcc_lo
	s_add_co_i32 s18, s18, -1
	s_delay_alu instid0(SALU_CYCLE_1) | instskip(SKIP_2) | instid1(VALU_DEP_1)
	s_cmp_eq_u32 s18, 0
	s_wait_loadcnt_dscnt 0x0
	v_xor_b32_e32 v7, 0x80000000, v6
	v_cndmask_b32_e64 v6, v6, v7, s0
	ds_store_b128 v2, v[3:6]
	v_add_nc_u32_e32 v2, 64, v2
	s_cbranch_scc0 .LBB200_6
; %bb.7:                                ;   in Loop: Header=BB200_4 Depth=1
	s_and_b32 vcc_lo, exec_lo, s33
	s_wait_alu 0xfffe
	s_cbranch_vccz .LBB200_13
; %bb.8:                                ;   in Loop: Header=BB200_4 Depth=1
	ds_load_b128 v[0:3], v19
                                        ; implicit-def: $vgpr6_vgpr7
	s_wait_dscnt 0x0
	v_cmp_ngt_f64_e64 s18, |v[0:1]|, |v[2:3]|
	s_and_saveexec_b32 s19, s18
	s_delay_alu instid0(SALU_CYCLE_1)
	s_xor_b32 s18, exec_lo, s19
	s_cbranch_execz .LBB200_10
; %bb.9:                                ;   in Loop: Header=BB200_4 Depth=1
	v_div_scale_f64 v[4:5], null, v[2:3], v[2:3], v[0:1]
	v_div_scale_f64 v[22:23], vcc_lo, v[0:1], v[2:3], v[0:1]
	s_delay_alu instid0(VALU_DEP_2) | instskip(NEXT) | instid1(TRANS32_DEP_1)
	v_rcp_f64_e32 v[6:7], v[4:5]
	v_fma_f64 v[20:21], -v[4:5], v[6:7], 1.0
	s_delay_alu instid0(VALU_DEP_1) | instskip(NEXT) | instid1(VALU_DEP_1)
	v_fma_f64 v[6:7], v[6:7], v[20:21], v[6:7]
	v_fma_f64 v[20:21], -v[4:5], v[6:7], 1.0
	s_delay_alu instid0(VALU_DEP_1) | instskip(NEXT) | instid1(VALU_DEP_1)
	v_fma_f64 v[6:7], v[6:7], v[20:21], v[6:7]
	v_mul_f64_e32 v[20:21], v[22:23], v[6:7]
	s_delay_alu instid0(VALU_DEP_1) | instskip(SKIP_1) | instid1(VALU_DEP_1)
	v_fma_f64 v[4:5], -v[4:5], v[20:21], v[22:23]
	s_wait_alu 0xfffd
	v_div_fmas_f64 v[4:5], v[4:5], v[6:7], v[20:21]
	s_delay_alu instid0(VALU_DEP_1) | instskip(NEXT) | instid1(VALU_DEP_1)
	v_div_fixup_f64 v[4:5], v[4:5], v[2:3], v[0:1]
	v_fma_f64 v[0:1], v[0:1], v[4:5], v[2:3]
	s_delay_alu instid0(VALU_DEP_1) | instskip(SKIP_1) | instid1(VALU_DEP_2)
	v_div_scale_f64 v[2:3], null, v[0:1], v[0:1], 1.0
	v_div_scale_f64 v[22:23], vcc_lo, 1.0, v[0:1], 1.0
	v_rcp_f64_e32 v[6:7], v[2:3]
	s_delay_alu instid0(TRANS32_DEP_1) | instskip(NEXT) | instid1(VALU_DEP_1)
	v_fma_f64 v[20:21], -v[2:3], v[6:7], 1.0
	v_fma_f64 v[6:7], v[6:7], v[20:21], v[6:7]
	s_delay_alu instid0(VALU_DEP_1) | instskip(NEXT) | instid1(VALU_DEP_1)
	v_fma_f64 v[20:21], -v[2:3], v[6:7], 1.0
	v_fma_f64 v[6:7], v[6:7], v[20:21], v[6:7]
	s_delay_alu instid0(VALU_DEP_1) | instskip(NEXT) | instid1(VALU_DEP_1)
	v_mul_f64_e32 v[20:21], v[22:23], v[6:7]
	v_fma_f64 v[2:3], -v[2:3], v[20:21], v[22:23]
	s_wait_alu 0xfffd
	s_delay_alu instid0(VALU_DEP_1) | instskip(SKIP_1) | instid1(VALU_DEP_2)
	v_div_fmas_f64 v[2:3], v[2:3], v[6:7], v[20:21]
	v_add_f64_e32 v[6:7], 0, v[4:5]
	v_div_fixup_f64 v[0:1], v[2:3], v[0:1], 1.0
	v_fma_f64 v[2:3], v[4:5], 0, -1.0
	s_delay_alu instid0(VALU_DEP_2) | instskip(NEXT) | instid1(VALU_DEP_2)
	v_mul_f64_e32 v[4:5], v[6:7], v[0:1]
	v_mul_f64_e32 v[6:7], v[2:3], v[0:1]
                                        ; implicit-def: $vgpr0_vgpr1
.LBB200_10:                             ;   in Loop: Header=BB200_4 Depth=1
	s_and_not1_saveexec_b32 s18, s18
	s_cbranch_execz .LBB200_12
; %bb.11:                               ;   in Loop: Header=BB200_4 Depth=1
	v_div_scale_f64 v[4:5], null, v[0:1], v[0:1], v[2:3]
	v_div_scale_f64 v[22:23], vcc_lo, v[2:3], v[0:1], v[2:3]
	s_delay_alu instid0(VALU_DEP_2) | instskip(NEXT) | instid1(TRANS32_DEP_1)
	v_rcp_f64_e32 v[6:7], v[4:5]
	v_fma_f64 v[20:21], -v[4:5], v[6:7], 1.0
	s_delay_alu instid0(VALU_DEP_1) | instskip(NEXT) | instid1(VALU_DEP_1)
	v_fma_f64 v[6:7], v[6:7], v[20:21], v[6:7]
	v_fma_f64 v[20:21], -v[4:5], v[6:7], 1.0
	s_delay_alu instid0(VALU_DEP_1) | instskip(NEXT) | instid1(VALU_DEP_1)
	v_fma_f64 v[6:7], v[6:7], v[20:21], v[6:7]
	v_mul_f64_e32 v[20:21], v[22:23], v[6:7]
	s_delay_alu instid0(VALU_DEP_1) | instskip(SKIP_1) | instid1(VALU_DEP_1)
	v_fma_f64 v[4:5], -v[4:5], v[20:21], v[22:23]
	s_wait_alu 0xfffd
	v_div_fmas_f64 v[4:5], v[4:5], v[6:7], v[20:21]
	s_delay_alu instid0(VALU_DEP_1) | instskip(NEXT) | instid1(VALU_DEP_1)
	v_div_fixup_f64 v[4:5], v[4:5], v[0:1], v[2:3]
	v_fma_f64 v[0:1], v[2:3], v[4:5], v[0:1]
	s_delay_alu instid0(VALU_DEP_1) | instskip(SKIP_1) | instid1(VALU_DEP_2)
	v_div_scale_f64 v[2:3], null, v[0:1], v[0:1], 1.0
	v_div_scale_f64 v[22:23], vcc_lo, 1.0, v[0:1], 1.0
	v_rcp_f64_e32 v[6:7], v[2:3]
	s_delay_alu instid0(TRANS32_DEP_1) | instskip(NEXT) | instid1(VALU_DEP_1)
	v_fma_f64 v[20:21], -v[2:3], v[6:7], 1.0
	v_fma_f64 v[6:7], v[6:7], v[20:21], v[6:7]
	s_delay_alu instid0(VALU_DEP_1) | instskip(NEXT) | instid1(VALU_DEP_1)
	v_fma_f64 v[20:21], -v[2:3], v[6:7], 1.0
	v_fma_f64 v[6:7], v[6:7], v[20:21], v[6:7]
	s_delay_alu instid0(VALU_DEP_1) | instskip(NEXT) | instid1(VALU_DEP_1)
	v_mul_f64_e32 v[20:21], v[22:23], v[6:7]
	v_fma_f64 v[2:3], -v[2:3], v[20:21], v[22:23]
	s_wait_alu 0xfffd
	s_delay_alu instid0(VALU_DEP_1) | instskip(SKIP_1) | instid1(VALU_DEP_2)
	v_div_fmas_f64 v[2:3], v[2:3], v[6:7], v[20:21]
	v_fma_f64 v[6:7], v[4:5], 0, 1.0
	v_div_fixup_f64 v[0:1], v[2:3], v[0:1], 1.0
	v_add_f64_e64 v[2:3], -v[4:5], 0
	s_delay_alu instid0(VALU_DEP_2) | instskip(NEXT) | instid1(VALU_DEP_2)
	v_mul_f64_e32 v[4:5], v[6:7], v[0:1]
	v_mul_f64_e32 v[6:7], v[2:3], v[0:1]
.LBB200_12:                             ;   in Loop: Header=BB200_4 Depth=1
	s_or_b32 exec_lo, exec_lo, s18
	s_branch .LBB200_14
.LBB200_13:                             ;   in Loop: Header=BB200_4 Depth=1
	v_mov_b32_e32 v6, 0
	v_dual_mov_b32 v7, 0 :: v_dual_mov_b32 v4, 0
	v_mov_b32_e32 v5, 0x3ff00000
.LBB200_14:                             ;   in Loop: Header=BB200_4 Depth=1
	ds_store_b128 v19, v[4:7]
.LBB200_15:                             ;   in Loop: Header=BB200_4 Depth=1
	s_wait_alu 0xfffe
	s_or_b32 exec_lo, exec_lo, s16
	s_mov_b32 s16, -1
	; wave barrier
	s_wait_loadcnt_dscnt 0x0
	global_inv scope:SCOPE_SE
	s_and_saveexec_b32 s21, s2
	s_cbranch_execz .LBB200_3
; %bb.16:                               ;   in Loop: Header=BB200_4 Depth=1
	v_add_co_u32 v0, vcc_lo, v10, s10
	s_wait_alu 0xfffd
	v_add_co_ci_u32_e64 v1, null, s11, v11, vcc_lo
	s_delay_alu instid0(VALU_DEP_2) | instskip(SKIP_1) | instid1(VALU_DEP_2)
	v_add_co_u32 v6, vcc_lo, v0, v8
	s_wait_alu 0xfffd
	v_add_co_ci_u32_e64 v7, null, v1, v9, vcc_lo
	s_and_not1_b32 vcc_lo, exec_lo, s34
	s_wait_alu 0xfffe
	s_cbranch_vccnz .LBB200_38
; %bb.17:                               ;   in Loop: Header=BB200_4 Depth=1
	v_add_co_u32 v20, vcc_lo, v10, v18
	s_wait_alu 0xfffd
	v_add_co_ci_u32_e64 v21, null, v11, v17, vcc_lo
	s_mov_b32 s22, 0
	s_mov_b32 s18, 0
	s_branch .LBB200_19
.LBB200_18:                             ;   in Loop: Header=BB200_19 Depth=2
	s_cmp_lt_i32 s18, s3
	s_cselect_b32 s16, -1, 0
	s_add_co_i32 s19, s22, 1
	s_cmp_lt_u32 s22, 2
	s_cselect_b32 s22, -1, 0
	s_wait_alu 0xfffe
	s_and_b32 s16, s16, s22
	s_mov_b32 s22, s19
	s_wait_alu 0xfffe
	s_and_b32 vcc_lo, exec_lo, s16
	s_wait_alu 0xfffe
	s_cbranch_vccz .LBB200_37
.LBB200_19:                             ;   Parent Loop BB200_4 Depth=1
                                        ; =>  This Loop Header: Depth=2
                                        ;       Child Loop BB200_22 Depth 3
                                        ;         Child Loop BB200_23 Depth 4
                                        ;         Child Loop BB200_26 Depth 4
                                        ;           Child Loop BB200_27 Depth 5
                                        ;         Child Loop BB200_31 Depth 4
                                        ;           Child Loop BB200_33 Depth 5
	s_mov_b32 s23, s17
	s_getpc_b64 s[24:25]
	s_wait_alu 0xfffe
	s_sext_i32_i16 s25, s25
	s_add_co_u32 s24, s24, __const._ZL30rocblas_trsm_small_left_deviceILi4ELi4ELb0E19rocblas_complex_numIdES1_PKPKS1_PKPS1_Ev13rocblas_fill_18rocblas_operation_17rocblas_diagonal_iiT3_T4_lilT5_lili.step_sizes@rel32@lo+12
	s_wait_alu 0xfffe
	s_add_co_ci_u32 s25, s25, __const._ZL30rocblas_trsm_small_left_deviceILi4ELi4ELb0E19rocblas_complex_numIdES1_PKPKS1_PKPS1_Ev13rocblas_fill_18rocblas_operation_17rocblas_diagonal_iiT3_T4_lilT5_lili.step_sizes@rel32@hi+24
	s_lshl_b64 s[26:27], s[22:23], 2
	s_wait_alu 0xfffe
	s_add_nc_u64 s[24:25], s[24:25], s[26:27]
	s_load_b32 s24, s[24:25], 0x0
	s_wait_kmcnt 0x0
	s_add_co_i32 s23, s24, -1
	s_wait_alu 0xfffe
	s_add_co_i32 s16, s23, s18
	s_wait_alu 0xfffe
	s_cmp_ge_i32 s16, s3
	s_cbranch_scc1 .LBB200_18
; %bb.20:                               ;   in Loop: Header=BB200_19 Depth=2
	s_ashr_i32 s19, s18, 31
	s_ashr_i32 s25, s24, 31
	s_lshl_b64 s[26:27], s[18:19], 4
	s_max_i32 s37, s24, 1
	s_wait_alu 0xfffe
	v_add_co_u32 v4, vcc_lo, v20, s26
	s_wait_alu 0xfffd
	v_add_co_ci_u32_e64 v5, null, s27, v21, vcc_lo
	s_lshl_b64 s[26:27], s[24:25], 4
	s_lshl_b32 s19, s18, 6
	s_lshl_b32 s25, s24, 6
	s_mul_i32 s38, s18, 0x50
	s_mul_i32 s39, s24, 0x50
	s_branch .LBB200_22
.LBB200_21:                             ;   in Loop: Header=BB200_22 Depth=3
	v_add_co_u32 v4, vcc_lo, v4, s26
	s_add_co_i32 s18, s18, s24
	s_wait_alu 0xfffd
	v_add_co_ci_u32_e64 v5, null, s27, v5, vcc_lo
	s_add_co_i32 s16, s23, s18
	s_add_co_i32 s19, s19, s25
	;; [unrolled: 1-line block ×3, first 2 shown]
	s_wait_alu 0xfffe
	s_cmp_ge_i32 s16, s3
	s_cbranch_scc1 .LBB200_18
.LBB200_22:                             ;   Parent Loop BB200_4 Depth=1
                                        ;     Parent Loop BB200_19 Depth=2
                                        ; =>    This Loop Header: Depth=3
                                        ;         Child Loop BB200_23 Depth 4
                                        ;         Child Loop BB200_26 Depth 4
                                        ;           Child Loop BB200_27 Depth 5
                                        ;         Child Loop BB200_31 Depth 4
                                        ;           Child Loop BB200_33 Depth 5
	v_mov_b32_e32 v0, v4
	v_dual_mov_b32 v2, v13 :: v_dual_mov_b32 v1, v5
	s_mov_b32 s16, s37
.LBB200_23:                             ;   Parent Loop BB200_4 Depth=1
                                        ;     Parent Loop BB200_19 Depth=2
                                        ;       Parent Loop BB200_22 Depth=3
                                        ; =>      This Inner Loop Header: Depth=4
	flat_load_b128 v[22:25], v[0:1] offset:-8
	v_add_co_u32 v0, vcc_lo, v0, 16
	s_wait_alu 0xfffd
	v_add_co_ci_u32_e64 v1, null, 0, v1, vcc_lo
	s_wait_alu 0xfffe
	s_add_co_i32 s16, s16, -1
	s_wait_alu 0xfffe
	s_cmp_eq_u32 s16, 0
	s_wait_loadcnt_dscnt 0x0
	v_mul_f64_e32 v[26:27], s[6:7], v[24:25]
	v_mul_f64_e32 v[28:29], s[4:5], v[24:25]
	s_delay_alu instid0(VALU_DEP_2) | instskip(NEXT) | instid1(VALU_DEP_2)
	v_fma_f64 v[24:25], s[4:5], v[22:23], -v[26:27]
	v_fma_f64 v[26:27], s[6:7], v[22:23], v[28:29]
	ds_store_b128 v2, v[24:27]
	v_add_nc_u32_e32 v2, 16, v2
	s_cbranch_scc0 .LBB200_23
; %bb.24:                               ;   in Loop: Header=BB200_22 Depth=3
	s_cmp_lt_i32 s18, 1
	s_cbranch_scc1 .LBB200_29
; %bb.25:                               ;   in Loop: Header=BB200_22 Depth=3
	s_mov_b32 s16, 0
	s_mov_b32 s28, s19
.LBB200_26:                             ;   Parent Loop BB200_4 Depth=1
                                        ;     Parent Loop BB200_19 Depth=2
                                        ;       Parent Loop BB200_22 Depth=3
                                        ; =>      This Loop Header: Depth=4
                                        ;           Child Loop BB200_27 Depth 5
	s_wait_alu 0xfffe
	s_lshl_b64 s[40:41], s[16:17], 4
	v_mov_b32_e32 v22, v13
	s_wait_alu 0xfffe
	v_add_co_u32 v0, vcc_lo, v6, s40
	s_wait_alu 0xfffd
	v_add_co_ci_u32_e64 v1, null, s41, v7, vcc_lo
	s_mov_b32 s29, s28
	s_mov_b32 s40, s37
	flat_load_b128 v[0:3], v[0:1]
.LBB200_27:                             ;   Parent Loop BB200_4 Depth=1
                                        ;     Parent Loop BB200_19 Depth=2
                                        ;       Parent Loop BB200_22 Depth=3
                                        ;         Parent Loop BB200_26 Depth=4
                                        ; =>        This Inner Loop Header: Depth=5
	s_wait_alu 0xfffe
	v_mov_b32_e32 v23, s29
	s_add_co_i32 s40, s40, -1
	s_add_co_i32 s29, s29, 64
	s_wait_alu 0xfffe
	s_cmp_eq_u32 s40, 0
	ds_load_b128 v[23:26], v23
	s_wait_loadcnt_dscnt 0x0
	v_mul_f64_e32 v[27:28], v[2:3], v[25:26]
	v_mul_f64_e32 v[25:26], v[0:1], v[25:26]
	s_delay_alu instid0(VALU_DEP_2) | instskip(NEXT) | instid1(VALU_DEP_2)
	v_fma_f64 v[27:28], v[0:1], v[23:24], -v[27:28]
	v_fma_f64 v[29:30], v[2:3], v[23:24], v[25:26]
	ds_load_b128 v[23:26], v22
	s_wait_dscnt 0x0
	v_add_f64_e64 v[23:24], v[23:24], -v[27:28]
	v_add_f64_e64 v[25:26], v[25:26], -v[29:30]
	ds_store_b128 v22, v[23:26]
	v_add_nc_u32_e32 v22, 16, v22
	s_cbranch_scc0 .LBB200_27
; %bb.28:                               ;   in Loop: Header=BB200_26 Depth=4
	s_add_co_i32 s16, s16, 1
	s_add_co_i32 s28, s28, 16
	s_wait_alu 0xfffe
	s_cmp_eq_u32 s16, s18
	s_cbranch_scc0 .LBB200_26
.LBB200_29:                             ;   in Loop: Header=BB200_22 Depth=3
	s_mov_b32 s16, 0
	s_mov_b32 s40, s38
	s_branch .LBB200_31
.LBB200_30:                             ;   in Loop: Header=BB200_31 Depth=4
	s_wait_alu 0xfffe
	s_mul_i32 s29, s28, 0x50
	s_add_co_i32 s16, s16, 1
	s_wait_alu 0xfffe
	v_mov_b32_e32 v23, s29
	s_ashr_i32 s29, s28, 31
	s_add_co_i32 s40, s40, 64
	s_wait_alu 0xfffe
	s_lshl_b64 s[28:29], s[28:29], 4
	s_cmp_eq_u32 s16, s37
	ds_load_b128 v[23:26], v23
	s_wait_dscnt 0x0
	v_mul_f64_e32 v[27:28], v[25:26], v[2:3]
	v_mul_f64_e32 v[2:3], v[23:24], v[2:3]
	s_delay_alu instid0(VALU_DEP_2) | instskip(NEXT) | instid1(VALU_DEP_2)
	v_fma_f64 v[23:24], v[23:24], v[0:1], -v[27:28]
	v_fma_f64 v[25:26], v[25:26], v[0:1], v[2:3]
	s_wait_alu 0xfffe
	v_add_co_u32 v0, vcc_lo, v6, s28
	s_wait_alu 0xfffd
	v_add_co_ci_u32_e64 v1, null, s29, v7, vcc_lo
	ds_store_b128 v22, v[23:26]
	flat_store_b128 v[0:1], v[23:26]
	s_cbranch_scc1 .LBB200_21
.LBB200_31:                             ;   Parent Loop BB200_4 Depth=1
                                        ;     Parent Loop BB200_19 Depth=2
                                        ;       Parent Loop BB200_22 Depth=3
                                        ; =>      This Loop Header: Depth=4
                                        ;           Child Loop BB200_33 Depth 5
	s_wait_alu 0xfffe
	v_lshl_add_u32 v22, s16, 4, v13
	s_cmp_lg_u32 s16, 0
	s_cbranch_scc0 .LBB200_35
; %bb.32:                               ;   in Loop: Header=BB200_31 Depth=4
	ds_load_b128 v[0:3], v22
	v_mov_b32_e32 v23, v13
	s_add_co_i32 s28, s16, s18
	s_mov_b32 s29, s40
	s_mov_b32 s41, s16
.LBB200_33:                             ;   Parent Loop BB200_4 Depth=1
                                        ;     Parent Loop BB200_19 Depth=2
                                        ;       Parent Loop BB200_22 Depth=3
                                        ;         Parent Loop BB200_31 Depth=4
                                        ; =>        This Inner Loop Header: Depth=5
	s_wait_alu 0xfffe
	v_mov_b32_e32 v28, s29
	s_add_co_i32 s41, s41, -1
	s_add_co_i32 s29, s29, 16
	s_wait_alu 0xfffe
	s_cmp_eq_u32 s41, 0
	ds_load_b128 v[24:27], v23
	ds_load_b128 v[28:31], v28
	v_add_nc_u32_e32 v23, 16, v23
	s_wait_dscnt 0x0
	v_mul_f64_e32 v[32:33], v[30:31], v[26:27]
	v_mul_f64_e32 v[26:27], v[28:29], v[26:27]
	s_delay_alu instid0(VALU_DEP_2) | instskip(NEXT) | instid1(VALU_DEP_2)
	v_fma_f64 v[28:29], v[28:29], v[24:25], -v[32:33]
	v_fma_f64 v[24:25], v[30:31], v[24:25], v[26:27]
	s_delay_alu instid0(VALU_DEP_2) | instskip(NEXT) | instid1(VALU_DEP_2)
	v_add_f64_e64 v[0:1], v[0:1], -v[28:29]
	v_add_f64_e64 v[2:3], v[2:3], -v[24:25]
	ds_store_b128 v22, v[0:3]
	s_cbranch_scc0 .LBB200_33
; %bb.34:                               ;   in Loop: Header=BB200_31 Depth=4
	s_branch .LBB200_30
.LBB200_35:                             ;   in Loop: Header=BB200_31 Depth=4
                                        ; implicit-def: $vgpr0_vgpr1
                                        ; implicit-def: $sgpr28
	s_cbranch_execz .LBB200_30
; %bb.36:                               ;   in Loop: Header=BB200_31 Depth=4
	ds_load_b128 v[0:3], v13
	s_mov_b32 s28, s18
	s_branch .LBB200_30
.LBB200_37:                             ;   in Loop: Header=BB200_4 Depth=1
	s_mov_b32 s16, 0
.LBB200_38:                             ;   in Loop: Header=BB200_4 Depth=1
	s_wait_alu 0xfffe
	s_and_b32 vcc_lo, exec_lo, s16
	s_wait_alu 0xfffe
	s_cbranch_vccz .LBB200_2
; %bb.39:                               ;   in Loop: Header=BB200_4 Depth=1
	v_add_co_u32 v4, vcc_lo, v10, v18
	s_wait_alu 0xfffd
	v_add_co_ci_u32_e64 v5, null, v11, v17, vcc_lo
	s_mov_b32 s16, 0
	s_mov_b32 s18, s31
	s_branch .LBB200_41
.LBB200_40:                             ;   in Loop: Header=BB200_41 Depth=2
	s_cmp_gt_i32 s18, -1
	s_cselect_b32 s19, -1, 0
	s_add_co_i32 s22, s16, 1
	s_cmp_lt_u32 s16, 2
	s_cselect_b32 s16, -1, 0
	s_wait_alu 0xfffe
	s_and_b32 s16, s19, s16
	s_wait_alu 0xfffe
	s_and_not1_b32 vcc_lo, exec_lo, s16
	s_mov_b32 s16, s22
	s_wait_alu 0xfffe
	s_cbranch_vccnz .LBB200_2
.LBB200_41:                             ;   Parent Loop BB200_4 Depth=1
                                        ; =>  This Loop Header: Depth=2
                                        ;       Child Loop BB200_44 Depth 3
                                        ;         Child Loop BB200_45 Depth 4
                                        ;         Child Loop BB200_47 Depth 4
                                        ;           Child Loop BB200_48 Depth 5
                                        ;         Child Loop BB200_52 Depth 4
                                        ;           Child Loop BB200_54 Depth 5
	s_getpc_b64 s[22:23]
	s_wait_alu 0xfffe
	s_sext_i32_i16 s23, s23
	s_add_co_u32 s22, s22, __const._ZL30rocblas_trsm_small_left_deviceILi4ELi4ELb0E19rocblas_complex_numIdES1_PKPKS1_PKPS1_Ev13rocblas_fill_18rocblas_operation_17rocblas_diagonal_iiT3_T4_lilT5_lili.step_sizes@rel32@lo+12
	s_wait_alu 0xfffe
	s_add_co_ci_u32 s23, s23, __const._ZL30rocblas_trsm_small_left_deviceILi4ELi4ELb0E19rocblas_complex_numIdES1_PKPKS1_PKPS1_Ev13rocblas_fill_18rocblas_operation_17rocblas_diagonal_iiT3_T4_lilT5_lili.step_sizes@rel32@hi+24
	s_lshl_b64 s[24:25], s[16:17], 2
	s_wait_alu 0xfffe
	s_add_nc_u64 s[22:23], s[22:23], s[24:25]
	s_load_b32 s26, s[22:23], 0x0
	s_wait_kmcnt 0x0
	s_add_co_i32 s27, s26, -1
	s_wait_alu 0xfffe
	s_cmp_lt_i32 s18, s27
	s_cbranch_scc1 .LBB200_40
; %bb.42:                               ;   in Loop: Header=BB200_41 Depth=2
	s_lshl_b32 s19, s18, 4
	s_lshl_b32 s22, s26, 4
	s_max_i32 s28, s26, 1
	s_add_co_i32 s29, s35, s19
	s_wait_alu 0xfffe
	s_sub_co_i32 s37, 0, s22
	s_mul_i32 s38, s18, 0x50
	s_mul_i32 s39, s26, 0xffffffb0
	s_branch .LBB200_44
.LBB200_43:                             ;   in Loop: Header=BB200_44 Depth=3
	s_sub_co_i32 s18, s18, s26
	s_add_co_i32 s29, s29, s37
	s_add_co_i32 s38, s38, s39
	s_cmp_lt_i32 s18, s27
	s_cbranch_scc1 .LBB200_40
.LBB200_44:                             ;   Parent Loop BB200_4 Depth=1
                                        ;     Parent Loop BB200_41 Depth=2
                                        ; =>    This Loop Header: Depth=3
                                        ;         Child Loop BB200_45 Depth 4
                                        ;         Child Loop BB200_47 Depth 4
                                        ;           Child Loop BB200_48 Depth 5
                                        ;         Child Loop BB200_52 Depth 4
                                        ;           Child Loop BB200_54 Depth 5
	s_ashr_i32 s19, s18, 31
	v_mov_b32_e32 v2, v13
	s_lshl_b64 s[22:23], s[18:19], 4
	s_wait_alu 0xfffe
	v_add_co_u32 v0, vcc_lo, v4, s22
	s_wait_alu 0xfffd
	v_add_co_ci_u32_e64 v1, null, s23, v5, vcc_lo
	s_mov_b32 s22, s28
.LBB200_45:                             ;   Parent Loop BB200_4 Depth=1
                                        ;     Parent Loop BB200_41 Depth=2
                                        ;       Parent Loop BB200_44 Depth=3
                                        ; =>      This Inner Loop Header: Depth=4
	flat_load_b128 v[20:23], v[0:1] offset:-8
	v_add_co_u32 v0, vcc_lo, v0, -16
	s_wait_alu 0xfffd
	v_add_co_ci_u32_e64 v1, null, -1, v1, vcc_lo
	s_wait_alu 0xfffe
	s_add_co_i32 s22, s22, -1
	s_wait_alu 0xfffe
	s_cmp_eq_u32 s22, 0
	s_wait_loadcnt_dscnt 0x0
	v_mul_f64_e32 v[10:11], s[6:7], v[22:23]
	v_mul_f64_e32 v[24:25], s[4:5], v[22:23]
	s_delay_alu instid0(VALU_DEP_2) | instskip(NEXT) | instid1(VALU_DEP_2)
	v_fma_f64 v[22:23], s[4:5], v[20:21], -v[10:11]
	v_fma_f64 v[24:25], s[6:7], v[20:21], v[24:25]
	ds_store_b128 v2, v[22:25]
	v_add_nc_u32_e32 v2, 16, v2
	s_cbranch_scc0 .LBB200_45
; %bb.46:                               ;   in Loop: Header=BB200_44 Depth=3
	s_cmp_le_i32 s31, s18
	s_mov_b32 s24, s29
	s_mov_b32 s22, s31
	s_cbranch_scc1 .LBB200_50
.LBB200_47:                             ;   Parent Loop BB200_4 Depth=1
                                        ;     Parent Loop BB200_41 Depth=2
                                        ;       Parent Loop BB200_44 Depth=3
                                        ; =>      This Loop Header: Depth=4
                                        ;           Child Loop BB200_48 Depth 5
	s_wait_alu 0xfffe
	s_ashr_i32 s23, s22, 31
	v_mov_b32_e32 v10, v13
	s_wait_alu 0xfffe
	s_lshl_b64 s[40:41], s[22:23], 4
	s_mov_b32 s23, s24
	s_wait_alu 0xfffe
	v_add_co_u32 v0, vcc_lo, v6, s40
	s_wait_alu 0xfffd
	v_add_co_ci_u32_e64 v1, null, s41, v7, vcc_lo
	s_mov_b32 s25, s28
	flat_load_b128 v[0:3], v[0:1]
.LBB200_48:                             ;   Parent Loop BB200_4 Depth=1
                                        ;     Parent Loop BB200_41 Depth=2
                                        ;       Parent Loop BB200_44 Depth=3
                                        ;         Parent Loop BB200_47 Depth=4
                                        ; =>        This Inner Loop Header: Depth=5
	v_mov_b32_e32 v11, s23
	s_wait_alu 0xfffe
	s_add_co_i32 s25, s25, -1
	s_add_co_i32 s23, s23, -16
	s_wait_alu 0xfffe
	s_cmp_eq_u32 s25, 0
	ds_load_b128 v[20:23], v11
	s_wait_loadcnt_dscnt 0x0
	v_mul_f64_e32 v[24:25], v[2:3], v[22:23]
	v_mul_f64_e32 v[22:23], v[0:1], v[22:23]
	s_delay_alu instid0(VALU_DEP_2) | instskip(NEXT) | instid1(VALU_DEP_2)
	v_fma_f64 v[24:25], v[0:1], v[20:21], -v[24:25]
	v_fma_f64 v[26:27], v[2:3], v[20:21], v[22:23]
	ds_load_b128 v[20:23], v10
	s_wait_dscnt 0x0
	v_add_f64_e64 v[20:21], v[20:21], -v[24:25]
	v_add_f64_e64 v[22:23], v[22:23], -v[26:27]
	ds_store_b128 v10, v[20:23]
	v_add_nc_u32_e32 v10, 16, v10
	s_cbranch_scc0 .LBB200_48
; %bb.49:                               ;   in Loop: Header=BB200_47 Depth=4
	s_add_co_i32 s22, s22, -1
	s_sub_co_i32 s24, s24, 64
	s_wait_alu 0xfffe
	s_cmp_le_i32 s22, s18
	s_cbranch_scc0 .LBB200_47
.LBB200_50:                             ;   in Loop: Header=BB200_44 Depth=3
	s_mov_b32 s40, 0
	s_mov_b32 s41, s38
	s_branch .LBB200_52
.LBB200_51:                             ;   in Loop: Header=BB200_52 Depth=4
	s_wait_alu 0xfffe
	s_mulk_i32 s24, 0x50
	s_lshl_b64 s[22:23], s[22:23], 4
	s_wait_alu 0xfffe
	v_mov_b32_e32 v11, s24
	s_add_co_i32 s40, s40, 1
	s_add_co_i32 s41, s41, -16
	s_wait_alu 0xfffe
	s_cmp_eq_u32 s40, s28
	ds_load_b128 v[20:23], v11
	s_wait_dscnt 0x0
	v_mul_f64_e32 v[24:25], v[22:23], v[2:3]
	v_mul_f64_e32 v[2:3], v[20:21], v[2:3]
	s_delay_alu instid0(VALU_DEP_2) | instskip(NEXT) | instid1(VALU_DEP_2)
	v_fma_f64 v[20:21], v[20:21], v[0:1], -v[24:25]
	v_fma_f64 v[22:23], v[22:23], v[0:1], v[2:3]
	v_add_co_u32 v0, vcc_lo, v6, s22
	s_wait_alu 0xfffd
	v_add_co_ci_u32_e64 v1, null, s23, v7, vcc_lo
	ds_store_b128 v10, v[20:23]
	flat_store_b128 v[0:1], v[20:23]
	s_cbranch_scc1 .LBB200_43
.LBB200_52:                             ;   Parent Loop BB200_4 Depth=1
                                        ;     Parent Loop BB200_41 Depth=2
                                        ;       Parent Loop BB200_44 Depth=3
                                        ; =>      This Loop Header: Depth=4
                                        ;           Child Loop BB200_54 Depth 5
	s_wait_alu 0xfffe
	v_lshl_add_u32 v10, s40, 4, v13
	s_cmp_lg_u32 s40, 0
	s_cbranch_scc0 .LBB200_56
; %bb.53:                               ;   in Loop: Header=BB200_52 Depth=4
	ds_load_b128 v[0:3], v10
	v_mov_b32_e32 v11, v13
	s_mov_b32 s22, s41
	s_mov_b32 s23, s40
.LBB200_54:                             ;   Parent Loop BB200_4 Depth=1
                                        ;     Parent Loop BB200_41 Depth=2
                                        ;       Parent Loop BB200_44 Depth=3
                                        ;         Parent Loop BB200_52 Depth=4
                                        ; =>        This Inner Loop Header: Depth=5
	s_wait_alu 0xfffe
	v_mov_b32_e32 v24, s22
	s_add_co_i32 s23, s23, -1
	s_sub_co_i32 s22, s22, 64
	s_wait_alu 0xfffe
	s_cmp_eq_u32 s23, 0
	ds_load_b128 v[20:23], v11
	ds_load_b128 v[24:27], v24
	v_add_nc_u32_e32 v11, 16, v11
	s_wait_dscnt 0x0
	v_mul_f64_e32 v[28:29], v[26:27], v[22:23]
	v_mul_f64_e32 v[22:23], v[24:25], v[22:23]
	s_delay_alu instid0(VALU_DEP_2) | instskip(NEXT) | instid1(VALU_DEP_2)
	v_fma_f64 v[24:25], v[24:25], v[20:21], -v[28:29]
	v_fma_f64 v[20:21], v[26:27], v[20:21], v[22:23]
	s_delay_alu instid0(VALU_DEP_2) | instskip(NEXT) | instid1(VALU_DEP_2)
	v_add_f64_e64 v[0:1], v[0:1], -v[24:25]
	v_add_f64_e64 v[2:3], v[2:3], -v[20:21]
	ds_store_b128 v10, v[0:3]
	s_cbranch_scc0 .LBB200_54
; %bb.55:                               ;   in Loop: Header=BB200_52 Depth=4
	s_sub_co_i32 s24, s18, s40
	s_wait_alu 0xfffe
	s_ashr_i32 s25, s24, 31
	s_wait_alu 0xfffe
	s_mov_b64 s[22:23], s[24:25]
	s_branch .LBB200_51
.LBB200_56:                             ;   in Loop: Header=BB200_52 Depth=4
                                        ; implicit-def: $vgpr0_vgpr1
                                        ; implicit-def: $sgpr24
                                        ; implicit-def: $sgpr22_sgpr23
	s_cbranch_execz .LBB200_51
; %bb.57:                               ;   in Loop: Header=BB200_52 Depth=4
	ds_load_b128 v[0:3], v13
	s_mov_b64 s[22:23], s[18:19]
	s_mov_b32 s24, s18
	s_branch .LBB200_51
.LBB200_58:
	s_endpgm
	.section	.rodata,"a",@progbits
	.p2align	6, 0x0
	.amdhsa_kernel _ZL30rocblas_trsm_small_left_deviceILi4ELi4ELb0E19rocblas_complex_numIdES1_PKPKS1_PKPS1_Ev13rocblas_fill_18rocblas_operation_17rocblas_diagonal_iiT3_T4_lilT5_lili
		.amdhsa_group_segment_fixed_size 512
		.amdhsa_private_segment_fixed_size 0
		.amdhsa_kernarg_size 368
		.amdhsa_user_sgpr_count 4
		.amdhsa_user_sgpr_dispatch_ptr 1
		.amdhsa_user_sgpr_queue_ptr 0
		.amdhsa_user_sgpr_kernarg_segment_ptr 1
		.amdhsa_user_sgpr_dispatch_id 0
		.amdhsa_user_sgpr_private_segment_size 0
		.amdhsa_wavefront_size32 1
		.amdhsa_uses_dynamic_stack 0
		.amdhsa_enable_private_segment 0
		.amdhsa_system_sgpr_workgroup_id_x 1
		.amdhsa_system_sgpr_workgroup_id_y 0
		.amdhsa_system_sgpr_workgroup_id_z 1
		.amdhsa_system_sgpr_workgroup_info 0
		.amdhsa_system_vgpr_workitem_id 2
		.amdhsa_next_free_vgpr 34
		.amdhsa_next_free_sgpr 42
		.amdhsa_reserve_vcc 1
		.amdhsa_float_round_mode_32 0
		.amdhsa_float_round_mode_16_64 0
		.amdhsa_float_denorm_mode_32 3
		.amdhsa_float_denorm_mode_16_64 3
		.amdhsa_fp16_overflow 0
		.amdhsa_workgroup_processor_mode 1
		.amdhsa_memory_ordered 1
		.amdhsa_forward_progress 1
		.amdhsa_inst_pref_size 25
		.amdhsa_round_robin_scheduling 0
		.amdhsa_exception_fp_ieee_invalid_op 0
		.amdhsa_exception_fp_denorm_src 0
		.amdhsa_exception_fp_ieee_div_zero 0
		.amdhsa_exception_fp_ieee_overflow 0
		.amdhsa_exception_fp_ieee_underflow 0
		.amdhsa_exception_fp_ieee_inexact 0
		.amdhsa_exception_int_div_zero 0
	.end_amdhsa_kernel
	.section	.text._ZL30rocblas_trsm_small_left_deviceILi4ELi4ELb0E19rocblas_complex_numIdES1_PKPKS1_PKPS1_Ev13rocblas_fill_18rocblas_operation_17rocblas_diagonal_iiT3_T4_lilT5_lili,"axG",@progbits,_ZL30rocblas_trsm_small_left_deviceILi4ELi4ELb0E19rocblas_complex_numIdES1_PKPKS1_PKPS1_Ev13rocblas_fill_18rocblas_operation_17rocblas_diagonal_iiT3_T4_lilT5_lili,comdat
.Lfunc_end200:
	.size	_ZL30rocblas_trsm_small_left_deviceILi4ELi4ELb0E19rocblas_complex_numIdES1_PKPKS1_PKPS1_Ev13rocblas_fill_18rocblas_operation_17rocblas_diagonal_iiT3_T4_lilT5_lili, .Lfunc_end200-_ZL30rocblas_trsm_small_left_deviceILi4ELi4ELb0E19rocblas_complex_numIdES1_PKPKS1_PKPS1_Ev13rocblas_fill_18rocblas_operation_17rocblas_diagonal_iiT3_T4_lilT5_lili
                                        ; -- End function
	.set _ZL30rocblas_trsm_small_left_deviceILi4ELi4ELb0E19rocblas_complex_numIdES1_PKPKS1_PKPS1_Ev13rocblas_fill_18rocblas_operation_17rocblas_diagonal_iiT3_T4_lilT5_lili.num_vgpr, 34
	.set _ZL30rocblas_trsm_small_left_deviceILi4ELi4ELb0E19rocblas_complex_numIdES1_PKPKS1_PKPS1_Ev13rocblas_fill_18rocblas_operation_17rocblas_diagonal_iiT3_T4_lilT5_lili.num_agpr, 0
	.set _ZL30rocblas_trsm_small_left_deviceILi4ELi4ELb0E19rocblas_complex_numIdES1_PKPKS1_PKPS1_Ev13rocblas_fill_18rocblas_operation_17rocblas_diagonal_iiT3_T4_lilT5_lili.numbered_sgpr, 42
	.set _ZL30rocblas_trsm_small_left_deviceILi4ELi4ELb0E19rocblas_complex_numIdES1_PKPKS1_PKPS1_Ev13rocblas_fill_18rocblas_operation_17rocblas_diagonal_iiT3_T4_lilT5_lili.num_named_barrier, 0
	.set _ZL30rocblas_trsm_small_left_deviceILi4ELi4ELb0E19rocblas_complex_numIdES1_PKPKS1_PKPS1_Ev13rocblas_fill_18rocblas_operation_17rocblas_diagonal_iiT3_T4_lilT5_lili.private_seg_size, 0
	.set _ZL30rocblas_trsm_small_left_deviceILi4ELi4ELb0E19rocblas_complex_numIdES1_PKPKS1_PKPS1_Ev13rocblas_fill_18rocblas_operation_17rocblas_diagonal_iiT3_T4_lilT5_lili.uses_vcc, 1
	.set _ZL30rocblas_trsm_small_left_deviceILi4ELi4ELb0E19rocblas_complex_numIdES1_PKPKS1_PKPS1_Ev13rocblas_fill_18rocblas_operation_17rocblas_diagonal_iiT3_T4_lilT5_lili.uses_flat_scratch, 0
	.set _ZL30rocblas_trsm_small_left_deviceILi4ELi4ELb0E19rocblas_complex_numIdES1_PKPKS1_PKPS1_Ev13rocblas_fill_18rocblas_operation_17rocblas_diagonal_iiT3_T4_lilT5_lili.has_dyn_sized_stack, 0
	.set _ZL30rocblas_trsm_small_left_deviceILi4ELi4ELb0E19rocblas_complex_numIdES1_PKPKS1_PKPS1_Ev13rocblas_fill_18rocblas_operation_17rocblas_diagonal_iiT3_T4_lilT5_lili.has_recursion, 0
	.set _ZL30rocblas_trsm_small_left_deviceILi4ELi4ELb0E19rocblas_complex_numIdES1_PKPKS1_PKPS1_Ev13rocblas_fill_18rocblas_operation_17rocblas_diagonal_iiT3_T4_lilT5_lili.has_indirect_call, 0
	.section	.AMDGPU.csdata,"",@progbits
; Kernel info:
; codeLenInByte = 3084
; TotalNumSgprs: 44
; NumVgprs: 34
; ScratchSize: 0
; MemoryBound: 0
; FloatMode: 240
; IeeeMode: 1
; LDSByteSize: 512 bytes/workgroup (compile time only)
; SGPRBlocks: 0
; VGPRBlocks: 4
; NumSGPRsForWavesPerEU: 44
; NumVGPRsForWavesPerEU: 34
; Occupancy: 16
; WaveLimiterHint : 1
; COMPUTE_PGM_RSRC2:SCRATCH_EN: 0
; COMPUTE_PGM_RSRC2:USER_SGPR: 4
; COMPUTE_PGM_RSRC2:TRAP_HANDLER: 0
; COMPUTE_PGM_RSRC2:TGID_X_EN: 1
; COMPUTE_PGM_RSRC2:TGID_Y_EN: 0
; COMPUTE_PGM_RSRC2:TGID_Z_EN: 1
; COMPUTE_PGM_RSRC2:TIDIG_COMP_CNT: 2
	.section	.text._ZL38rocblas_trsm_small_left_device_sharedBILi4ELi4ELb1E19rocblas_complex_numIdES1_PKPKS1_PKPS1_Ev13rocblas_fill_18rocblas_operation_17rocblas_diagonal_iiT3_T4_lilT5_lili,"axG",@progbits,_ZL38rocblas_trsm_small_left_device_sharedBILi4ELi4ELb1E19rocblas_complex_numIdES1_PKPKS1_PKPS1_Ev13rocblas_fill_18rocblas_operation_17rocblas_diagonal_iiT3_T4_lilT5_lili,comdat
	.globl	_ZL38rocblas_trsm_small_left_device_sharedBILi4ELi4ELb1E19rocblas_complex_numIdES1_PKPKS1_PKPS1_Ev13rocblas_fill_18rocblas_operation_17rocblas_diagonal_iiT3_T4_lilT5_lili ; -- Begin function _ZL38rocblas_trsm_small_left_device_sharedBILi4ELi4ELb1E19rocblas_complex_numIdES1_PKPKS1_PKPS1_Ev13rocblas_fill_18rocblas_operation_17rocblas_diagonal_iiT3_T4_lilT5_lili
	.p2align	8
	.type	_ZL38rocblas_trsm_small_left_device_sharedBILi4ELi4ELb1E19rocblas_complex_numIdES1_PKPKS1_PKPS1_Ev13rocblas_fill_18rocblas_operation_17rocblas_diagonal_iiT3_T4_lilT5_lili,@function
_ZL38rocblas_trsm_small_left_device_sharedBILi4ELi4ELb1E19rocblas_complex_numIdES1_PKPKS1_PKPS1_Ev13rocblas_fill_18rocblas_operation_17rocblas_diagonal_iiT3_T4_lilT5_lili: ; @_ZL38rocblas_trsm_small_left_device_sharedBILi4ELi4ELb1E19rocblas_complex_numIdES1_PKPKS1_PKPS1_Ev13rocblas_fill_18rocblas_operation_17rocblas_diagonal_iiT3_T4_lilT5_lili
; %bb.0:
	s_load_b32 s24, s[2:3], 0x68
	s_lshr_b32 s20, ttmp7, 16
	s_wait_kmcnt 0x0
	s_cmp_ge_u32 s20, s24
	s_cbranch_scc1 .LBB201_62
; %bb.1:
	s_clause 0x1
	s_load_b32 s22, s[2:3], 0x38
	s_load_b32 s30, s[2:3], 0x58
	s_load_b64 s[0:1], s[0:1], 0x4
	s_clause 0x1
	s_load_b128 s[16:19], s[2:3], 0x4
	s_load_b32 s21, s[2:3], 0x70
	v_bfe_u32 v2, v0, 10, 10
	s_clause 0x1
	s_load_b128 s[12:15], s[2:3], 0x48
	s_load_b256 s[4:11], s[2:3], 0x18
	v_and_b32_e32 v1, 0x3ff, v0
	v_bfe_u32 v0, v0, 20, 10
	v_mov_b32_e32 v15, 0
	s_mov_b32 s3, 0
	s_delay_alu instid0(VALU_DEP_3) | instskip(SKIP_1) | instid1(VALU_DEP_2)
	v_lshlrev_b32_e32 v12, 4, v1
	v_lshlrev_b32_e32 v4, 6, v1
	v_add_nc_u32_e32 v14, 0x100, v12
	s_delay_alu instid0(VALU_DEP_2)
	v_add_nc_u32_e32 v20, v12, v4
	s_wait_kmcnt 0x0
	s_ashr_i32 s23, s22, 31
	s_ashr_i32 s31, s30, 31
	s_lshr_b32 s0, s0, 16
	s_cmp_eq_u32 s16, 0x71
	v_mul_u32_u24_e32 v2, s1, v2
	s_mul_i32 s1, s0, s1
	s_cselect_b32 s0, -1, 0
	s_min_i32 s25, s18, 4
	s_wait_alu 0xfffe
	s_lshl_b32 s34, ttmp9, 2
	s_add_co_i32 s21, s21, -1
	s_add_co_i32 s26, s25, -1
	s_sub_co_i32 s2, s19, s34
	s_cmp_ge_u32 ttmp9, s21
	v_mul_u32_u24_e32 v3, s1, v1
	s_cselect_b32 s2, s2, 4
	s_ashr_i32 s35, s34, 31
	s_cmp_lg_u32 s17, 0x84
	v_cmp_gt_i32_e32 vcc_lo, s2, v1
	s_cselect_b32 s27, -1, 0
	s_cmp_gt_i32 s18, 0
	v_add3_u32 v0, v3, v2, v0
	s_cselect_b32 s2, -1, 0
	s_cmp_lg_u32 s16, 0x6f
	v_cmp_gt_i32_e64 s1, s25, v1
	s_cselect_b32 s28, -1, 0
	s_lshl_b64 s[16:17], s[34:35], 4
	s_lshl_b64 s[18:19], s[10:11], 4
	v_or_b32_e32 v2, s16, v12
	s_lshl_b64 s[10:11], s[14:15], 4
	v_lshl_add_u32 v13, v0, 6, 0x200
	v_mad_co_i64_i32 v[0:1], null, s30, v1, 0
	s_delay_alu instid0(VALU_DEP_3)
	v_mul_lo_u32 v5, v2, s31
	v_mad_co_u64_u32 v[2:3], null, v2, s30, s[10:11]
	s_wait_alu 0xfffe
	s_and_b32 s29, vcc_lo, s2
	v_add_co_u32 v6, s2, s18, v12
	s_wait_alu 0xf1ff
	v_add_co_ci_u32_e64 v16, null, s19, 0, s2
	s_mul_i32 s2, s17, s30
	v_lshlrev_b64_e32 v[8:9], 4, v[0:1]
	v_or_b32_e32 v17, 8, v6
	s_wait_alu 0xfffe
	v_add3_u32 v18, s2, v3, v5
	v_or_b32_e32 v19, 8, v2
	s_mul_u64 s[36:37], s[30:31], s[34:35]
	s_lshl_b32 s2, s25, 4
	s_lshl_b64 s[14:15], s[22:23], 4
	s_wait_alu 0xfffe
	s_add_co_i32 s22, s2, -16
	s_lshl_b64 s[16:17], s[36:37], 4
	s_branch .LBB201_3
.LBB201_2:                              ;   in Loop: Header=BB201_3 Depth=1
	s_wait_alu 0xfffe
	s_or_b32 exec_lo, exec_lo, s2
	s_add_co_i32 s20, s20, 0x10000
	s_delay_alu instid0(SALU_CYCLE_1)
	s_cmp_lt_u32 s20, s24
	s_cbranch_scc0 .LBB201_62
.LBB201_3:                              ; =>This Loop Header: Depth=1
                                        ;     Child Loop BB201_5 Depth 2
                                        ;     Child Loop BB201_16 Depth 2
	;; [unrolled: 1-line block ×3, first 2 shown]
                                        ;       Child Loop BB201_23 Depth 3
                                        ;         Child Loop BB201_24 Depth 4
                                        ;         Child Loop BB201_26 Depth 4
                                        ;           Child Loop BB201_27 Depth 5
                                        ;         Child Loop BB201_31 Depth 4
                                        ;           Child Loop BB201_33 Depth 5
                                        ;     Child Loop BB201_41 Depth 2
                                        ;       Child Loop BB201_44 Depth 3
                                        ;         Child Loop BB201_45 Depth 4
                                        ;         Child Loop BB201_48 Depth 4
                                        ;           Child Loop BB201_49 Depth 5
                                        ;         Child Loop BB201_53 Depth 4
                                        ;           Child Loop BB201_55 Depth 5
                                        ;     Child Loop BB201_61 Depth 2
	s_mov_b32 s21, s3
	s_delay_alu instid0(SALU_CYCLE_1)
	s_lshl_b64 s[18:19], s[20:21], 3
	s_wait_alu 0xfffe
	s_add_nc_u64 s[30:31], s[12:13], s[18:19]
	global_load_b64 v[10:11], v15, s[30:31]
	s_and_saveexec_b32 s2, s1
	s_cbranch_execz .LBB201_14
; %bb.4:                                ;   in Loop: Header=BB201_3 Depth=1
	s_add_nc_u64 s[18:19], s[8:9], s[18:19]
	v_mov_b32_e32 v2, v12
	global_load_b64 v[0:1], v15, s[18:19]
	s_mov_b32 s18, s25
	s_wait_loadcnt 0x0
	v_add_co_u32 v0, vcc_lo, v0, v17
	s_wait_alu 0xfffd
	v_add_co_ci_u32_e64 v1, null, v1, v16, vcc_lo
.LBB201_5:                              ;   Parent Loop BB201_3 Depth=1
                                        ; =>  This Inner Loop Header: Depth=2
	flat_load_b128 v[3:6], v[0:1] offset:-8
	v_add_co_u32 v0, vcc_lo, v0, s14
	s_wait_alu 0xfffd
	v_add_co_ci_u32_e64 v1, null, s15, v1, vcc_lo
	s_wait_alu 0xfffe
	s_add_co_i32 s18, s18, -1
	s_wait_alu 0xfffe
	s_cmp_eq_u32 s18, 0
	s_wait_loadcnt_dscnt 0x0
	v_xor_b32_e32 v7, 0x80000000, v6
	s_delay_alu instid0(VALU_DEP_1)
	v_cndmask_b32_e64 v6, v6, v7, s0
	ds_store_b128 v2, v[3:6]
	v_add_nc_u32_e32 v2, 64, v2
	s_cbranch_scc0 .LBB201_5
; %bb.6:                                ;   in Loop: Header=BB201_3 Depth=1
	s_and_b32 vcc_lo, exec_lo, s27
	s_wait_alu 0xfffe
	s_cbranch_vccz .LBB201_12
; %bb.7:                                ;   in Loop: Header=BB201_3 Depth=1
	ds_load_b128 v[0:3], v20
                                        ; implicit-def: $vgpr6_vgpr7
	s_wait_dscnt 0x0
	v_cmp_ngt_f64_e64 s18, |v[0:1]|, |v[2:3]|
	s_and_saveexec_b32 s19, s18
	s_wait_alu 0xfffe
	s_xor_b32 s18, exec_lo, s19
	s_cbranch_execz .LBB201_9
; %bb.8:                                ;   in Loop: Header=BB201_3 Depth=1
	v_div_scale_f64 v[4:5], null, v[2:3], v[2:3], v[0:1]
	v_div_scale_f64 v[23:24], vcc_lo, v[0:1], v[2:3], v[0:1]
	s_delay_alu instid0(VALU_DEP_2) | instskip(NEXT) | instid1(TRANS32_DEP_1)
	v_rcp_f64_e32 v[6:7], v[4:5]
	v_fma_f64 v[21:22], -v[4:5], v[6:7], 1.0
	s_delay_alu instid0(VALU_DEP_1) | instskip(NEXT) | instid1(VALU_DEP_1)
	v_fma_f64 v[6:7], v[6:7], v[21:22], v[6:7]
	v_fma_f64 v[21:22], -v[4:5], v[6:7], 1.0
	s_delay_alu instid0(VALU_DEP_1) | instskip(NEXT) | instid1(VALU_DEP_1)
	v_fma_f64 v[6:7], v[6:7], v[21:22], v[6:7]
	v_mul_f64_e32 v[21:22], v[23:24], v[6:7]
	s_delay_alu instid0(VALU_DEP_1) | instskip(SKIP_1) | instid1(VALU_DEP_1)
	v_fma_f64 v[4:5], -v[4:5], v[21:22], v[23:24]
	s_wait_alu 0xfffd
	v_div_fmas_f64 v[4:5], v[4:5], v[6:7], v[21:22]
	s_delay_alu instid0(VALU_DEP_1) | instskip(NEXT) | instid1(VALU_DEP_1)
	v_div_fixup_f64 v[4:5], v[4:5], v[2:3], v[0:1]
	v_fma_f64 v[0:1], v[0:1], v[4:5], v[2:3]
	s_delay_alu instid0(VALU_DEP_1) | instskip(SKIP_1) | instid1(VALU_DEP_2)
	v_div_scale_f64 v[2:3], null, v[0:1], v[0:1], 1.0
	v_div_scale_f64 v[23:24], vcc_lo, 1.0, v[0:1], 1.0
	v_rcp_f64_e32 v[6:7], v[2:3]
	s_delay_alu instid0(TRANS32_DEP_1) | instskip(NEXT) | instid1(VALU_DEP_1)
	v_fma_f64 v[21:22], -v[2:3], v[6:7], 1.0
	v_fma_f64 v[6:7], v[6:7], v[21:22], v[6:7]
	s_delay_alu instid0(VALU_DEP_1) | instskip(NEXT) | instid1(VALU_DEP_1)
	v_fma_f64 v[21:22], -v[2:3], v[6:7], 1.0
	v_fma_f64 v[6:7], v[6:7], v[21:22], v[6:7]
	s_delay_alu instid0(VALU_DEP_1) | instskip(NEXT) | instid1(VALU_DEP_1)
	v_mul_f64_e32 v[21:22], v[23:24], v[6:7]
	v_fma_f64 v[2:3], -v[2:3], v[21:22], v[23:24]
	s_wait_alu 0xfffd
	s_delay_alu instid0(VALU_DEP_1) | instskip(SKIP_1) | instid1(VALU_DEP_2)
	v_div_fmas_f64 v[2:3], v[2:3], v[6:7], v[21:22]
	v_add_f64_e32 v[6:7], 0, v[4:5]
	v_div_fixup_f64 v[0:1], v[2:3], v[0:1], 1.0
	v_fma_f64 v[2:3], v[4:5], 0, -1.0
	s_delay_alu instid0(VALU_DEP_2) | instskip(NEXT) | instid1(VALU_DEP_2)
	v_mul_f64_e32 v[4:5], v[6:7], v[0:1]
	v_mul_f64_e32 v[6:7], v[2:3], v[0:1]
                                        ; implicit-def: $vgpr0_vgpr1
.LBB201_9:                              ;   in Loop: Header=BB201_3 Depth=1
	s_wait_alu 0xfffe
	s_and_not1_saveexec_b32 s18, s18
	s_cbranch_execz .LBB201_11
; %bb.10:                               ;   in Loop: Header=BB201_3 Depth=1
	v_div_scale_f64 v[4:5], null, v[0:1], v[0:1], v[2:3]
	v_div_scale_f64 v[23:24], vcc_lo, v[2:3], v[0:1], v[2:3]
	s_delay_alu instid0(VALU_DEP_2) | instskip(NEXT) | instid1(TRANS32_DEP_1)
	v_rcp_f64_e32 v[6:7], v[4:5]
	v_fma_f64 v[21:22], -v[4:5], v[6:7], 1.0
	s_delay_alu instid0(VALU_DEP_1) | instskip(NEXT) | instid1(VALU_DEP_1)
	v_fma_f64 v[6:7], v[6:7], v[21:22], v[6:7]
	v_fma_f64 v[21:22], -v[4:5], v[6:7], 1.0
	s_delay_alu instid0(VALU_DEP_1) | instskip(NEXT) | instid1(VALU_DEP_1)
	v_fma_f64 v[6:7], v[6:7], v[21:22], v[6:7]
	v_mul_f64_e32 v[21:22], v[23:24], v[6:7]
	s_delay_alu instid0(VALU_DEP_1) | instskip(SKIP_1) | instid1(VALU_DEP_1)
	v_fma_f64 v[4:5], -v[4:5], v[21:22], v[23:24]
	s_wait_alu 0xfffd
	v_div_fmas_f64 v[4:5], v[4:5], v[6:7], v[21:22]
	s_delay_alu instid0(VALU_DEP_1) | instskip(NEXT) | instid1(VALU_DEP_1)
	v_div_fixup_f64 v[4:5], v[4:5], v[0:1], v[2:3]
	v_fma_f64 v[0:1], v[2:3], v[4:5], v[0:1]
	s_delay_alu instid0(VALU_DEP_1) | instskip(SKIP_1) | instid1(VALU_DEP_2)
	v_div_scale_f64 v[2:3], null, v[0:1], v[0:1], 1.0
	v_div_scale_f64 v[23:24], vcc_lo, 1.0, v[0:1], 1.0
	v_rcp_f64_e32 v[6:7], v[2:3]
	s_delay_alu instid0(TRANS32_DEP_1) | instskip(NEXT) | instid1(VALU_DEP_1)
	v_fma_f64 v[21:22], -v[2:3], v[6:7], 1.0
	v_fma_f64 v[6:7], v[6:7], v[21:22], v[6:7]
	s_delay_alu instid0(VALU_DEP_1) | instskip(NEXT) | instid1(VALU_DEP_1)
	v_fma_f64 v[21:22], -v[2:3], v[6:7], 1.0
	v_fma_f64 v[6:7], v[6:7], v[21:22], v[6:7]
	s_delay_alu instid0(VALU_DEP_1) | instskip(NEXT) | instid1(VALU_DEP_1)
	v_mul_f64_e32 v[21:22], v[23:24], v[6:7]
	v_fma_f64 v[2:3], -v[2:3], v[21:22], v[23:24]
	s_wait_alu 0xfffd
	s_delay_alu instid0(VALU_DEP_1) | instskip(SKIP_1) | instid1(VALU_DEP_2)
	v_div_fmas_f64 v[2:3], v[2:3], v[6:7], v[21:22]
	v_fma_f64 v[6:7], v[4:5], 0, 1.0
	v_div_fixup_f64 v[0:1], v[2:3], v[0:1], 1.0
	v_add_f64_e64 v[2:3], -v[4:5], 0
	s_delay_alu instid0(VALU_DEP_2) | instskip(NEXT) | instid1(VALU_DEP_2)
	v_mul_f64_e32 v[4:5], v[6:7], v[0:1]
	v_mul_f64_e32 v[6:7], v[2:3], v[0:1]
.LBB201_11:                             ;   in Loop: Header=BB201_3 Depth=1
	s_wait_alu 0xfffe
	s_or_b32 exec_lo, exec_lo, s18
	s_branch .LBB201_13
.LBB201_12:                             ;   in Loop: Header=BB201_3 Depth=1
	v_mov_b32_e32 v6, 0
	v_dual_mov_b32 v7, 0 :: v_dual_mov_b32 v4, 0
	v_mov_b32_e32 v5, 0x3ff00000
.LBB201_13:                             ;   in Loop: Header=BB201_3 Depth=1
	ds_store_b128 v20, v[4:7]
.LBB201_14:                             ;   in Loop: Header=BB201_3 Depth=1
	s_wait_alu 0xfffe
	s_or_b32 exec_lo, exec_lo, s2
	s_and_saveexec_b32 s2, s29
	s_cbranch_execz .LBB201_17
; %bb.15:                               ;   in Loop: Header=BB201_3 Depth=1
	s_wait_loadcnt 0x0
	v_add_co_u32 v0, vcc_lo, v10, v19
	s_wait_alu 0xfffd
	v_add_co_ci_u32_e64 v1, null, v11, v18, vcc_lo
	v_mov_b32_e32 v2, v14
	s_mov_b32 s18, s25
.LBB201_16:                             ;   Parent Loop BB201_3 Depth=1
                                        ; =>  This Inner Loop Header: Depth=2
	flat_load_b128 v[3:6], v[0:1] offset:-8
	v_add_co_u32 v0, vcc_lo, v0, 16
	s_wait_alu 0xfffd
	v_add_co_ci_u32_e64 v1, null, 0, v1, vcc_lo
	s_wait_alu 0xfffe
	s_add_co_i32 s18, s18, -1
	s_wait_alu 0xfffe
	s_cmp_lg_u32 s18, 0
	s_wait_loadcnt_dscnt 0x0
	v_mul_f64_e32 v[21:22], s[6:7], v[5:6]
	v_mul_f64_e32 v[5:6], s[4:5], v[5:6]
	s_delay_alu instid0(VALU_DEP_2) | instskip(NEXT) | instid1(VALU_DEP_2)
	v_fma_f64 v[21:22], s[4:5], v[3:4], -v[21:22]
	v_fma_f64 v[23:24], s[6:7], v[3:4], v[5:6]
	ds_store_b128 v2, v[21:24]
	v_add_nc_u32_e32 v2, 64, v2
	s_cbranch_scc1 .LBB201_16
.LBB201_17:                             ;   in Loop: Header=BB201_3 Depth=1
	s_wait_alu 0xfffe
	s_or_b32 exec_lo, exec_lo, s2
	s_delay_alu instid0(SALU_CYCLE_1)
	s_and_not1_b32 vcc_lo, exec_lo, s28
	s_mov_b32 s2, -1
	; wave barrier
	s_wait_loadcnt_dscnt 0x0
	global_inv scope:SCOPE_SE
	s_wait_alu 0xfffe
	s_cbranch_vccnz .LBB201_38
; %bb.18:                               ;   in Loop: Header=BB201_3 Depth=1
	s_mov_b32 s2, 0
	s_mov_b32 s18, s26
	s_branch .LBB201_20
.LBB201_19:                             ;   in Loop: Header=BB201_20 Depth=2
	s_cmp_gt_i32 s18, -1
	s_cselect_b32 s19, -1, 0
	s_add_co_i32 s21, s2, 1
	s_cmp_lt_u32 s2, 2
	s_cselect_b32 s2, -1, 0
	s_wait_alu 0xfffe
	s_and_b32 s2, s19, s2
	s_wait_alu 0xfffe
	s_and_b32 vcc_lo, exec_lo, s2
	s_mov_b32 s2, s21
	s_wait_alu 0xfffe
	s_cbranch_vccz .LBB201_37
.LBB201_20:                             ;   Parent Loop BB201_3 Depth=1
                                        ; =>  This Loop Header: Depth=2
                                        ;       Child Loop BB201_23 Depth 3
                                        ;         Child Loop BB201_24 Depth 4
                                        ;         Child Loop BB201_26 Depth 4
                                        ;           Child Loop BB201_27 Depth 5
                                        ;         Child Loop BB201_31 Depth 4
                                        ;           Child Loop BB201_33 Depth 5
	s_getpc_b64 s[30:31]
	s_wait_alu 0xfffe
	s_sext_i32_i16 s31, s31
	s_add_co_u32 s30, s30, __const._ZL38rocblas_trsm_small_left_device_sharedBILi4ELi4ELb1E19rocblas_complex_numIdES1_PKPKS1_PKPS1_Ev13rocblas_fill_18rocblas_operation_17rocblas_diagonal_iiT3_T4_lilT5_lili.step_sizes@rel32@lo+12
	s_wait_alu 0xfffe
	s_add_co_ci_u32 s31, s31, __const._ZL38rocblas_trsm_small_left_device_sharedBILi4ELi4ELb1E19rocblas_complex_numIdES1_PKPKS1_PKPS1_Ev13rocblas_fill_18rocblas_operation_17rocblas_diagonal_iiT3_T4_lilT5_lili.step_sizes@rel32@hi+24
	s_lshl_b64 s[34:35], s[2:3], 2
	s_wait_alu 0xfffe
	s_add_nc_u64 s[30:31], s[30:31], s[34:35]
	s_load_b32 s19, s[30:31], 0x0
	s_wait_kmcnt 0x0
	s_add_co_i32 s21, s19, -1
	s_delay_alu instid0(SALU_CYCLE_1)
	s_cmp_lt_i32 s18, s21
	s_cbranch_scc1 .LBB201_19
; %bb.21:                               ;   in Loop: Header=BB201_20 Depth=2
	s_lshl_b32 s31, s18, 6
	s_lshl_b32 s30, s19, 6
	s_wait_alu 0xfffe
	v_add_nc_u32_e32 v4, s31, v14
	s_max_i32 s23, s19, 1
	s_sub_co_i32 s30, 0, s30
	s_add_co_i32 s31, s22, s31
	s_mul_i32 s33, s18, 0x50
	s_mul_i32 s34, s19, 0xffffffb0
	s_branch .LBB201_23
.LBB201_22:                             ;   in Loop: Header=BB201_23 Depth=3
	v_add_nc_u32_e32 v4, s30, v4
	s_sub_co_i32 s18, s18, s19
	s_add_co_i32 s31, s31, s30
	s_add_co_i32 s33, s33, s34
	s_wait_alu 0xfffe
	s_cmp_lt_i32 s18, s21
	s_cbranch_scc1 .LBB201_19
.LBB201_23:                             ;   Parent Loop BB201_3 Depth=1
                                        ;     Parent Loop BB201_20 Depth=2
                                        ; =>    This Loop Header: Depth=3
                                        ;         Child Loop BB201_24 Depth 4
                                        ;         Child Loop BB201_26 Depth 4
                                        ;           Child Loop BB201_27 Depth 5
                                        ;         Child Loop BB201_31 Depth 4
                                        ;           Child Loop BB201_33 Depth 5
	v_dual_mov_b32 v0, v13 :: v_dual_mov_b32 v1, v4
	s_mov_b32 s35, s23
.LBB201_24:                             ;   Parent Loop BB201_3 Depth=1
                                        ;     Parent Loop BB201_20 Depth=2
                                        ;       Parent Loop BB201_23 Depth=3
                                        ; =>      This Inner Loop Header: Depth=4
	ds_load_b128 v[21:24], v1
	v_subrev_nc_u32_e32 v1, 64, v1
	s_add_co_i32 s35, s35, -1
	s_delay_alu instid0(SALU_CYCLE_1)
	s_cmp_eq_u32 s35, 0
	s_wait_dscnt 0x0
	ds_store_b128 v0, v[21:24]
	v_add_nc_u32_e32 v0, 16, v0
	s_cbranch_scc0 .LBB201_24
; %bb.25:                               ;   in Loop: Header=BB201_23 Depth=3
	s_cmp_le_i32 s26, s18
	s_wait_alu 0xfffe
	s_mov_b32 s35, s31
	s_mov_b32 s36, s26
	s_cbranch_scc1 .LBB201_29
.LBB201_26:                             ;   Parent Loop BB201_3 Depth=1
                                        ;     Parent Loop BB201_20 Depth=2
                                        ;       Parent Loop BB201_23 Depth=3
                                        ; =>      This Loop Header: Depth=4
                                        ;           Child Loop BB201_27 Depth 5
	s_wait_alu 0xfffe
	v_lshl_add_u32 v0, s36, 6, v14
	v_mov_b32_e32 v5, v13
	s_mov_b32 s37, s35
	s_mov_b32 s38, s23
	ds_load_b128 v[0:3], v0
.LBB201_27:                             ;   Parent Loop BB201_3 Depth=1
                                        ;     Parent Loop BB201_20 Depth=2
                                        ;       Parent Loop BB201_23 Depth=3
                                        ;         Parent Loop BB201_26 Depth=4
                                        ; =>        This Inner Loop Header: Depth=5
	s_wait_alu 0xfffe
	v_mov_b32_e32 v6, s37
	s_add_co_i32 s38, s38, -1
	s_sub_co_i32 s37, s37, 64
	s_wait_alu 0xfffe
	s_cmp_eq_u32 s38, 0
	ds_load_b128 v[21:24], v6
	s_wait_dscnt 0x0
	v_mul_f64_e32 v[6:7], v[2:3], v[23:24]
	v_mul_f64_e32 v[23:24], v[0:1], v[23:24]
	s_delay_alu instid0(VALU_DEP_2) | instskip(NEXT) | instid1(VALU_DEP_2)
	v_fma_f64 v[6:7], v[0:1], v[21:22], -v[6:7]
	v_fma_f64 v[25:26], v[2:3], v[21:22], v[23:24]
	ds_load_b128 v[21:24], v5
	s_wait_dscnt 0x0
	v_add_f64_e64 v[21:22], v[21:22], -v[6:7]
	v_add_f64_e64 v[23:24], v[23:24], -v[25:26]
	ds_store_b128 v5, v[21:24]
	v_add_nc_u32_e32 v5, 16, v5
	s_cbranch_scc0 .LBB201_27
; %bb.28:                               ;   in Loop: Header=BB201_26 Depth=4
	s_add_co_i32 s36, s36, -1
	s_add_co_i32 s35, s35, -16
	s_wait_alu 0xfffe
	s_cmp_le_i32 s36, s18
	s_cbranch_scc0 .LBB201_26
.LBB201_29:                             ;   in Loop: Header=BB201_23 Depth=3
	s_lshl_b32 s35, s18, 6
	s_mov_b32 s36, 0
	s_mov_b32 s37, s33
	s_branch .LBB201_31
.LBB201_30:                             ;   in Loop: Header=BB201_31 Depth=4
	s_wait_alu 0xfffe
	s_mulk_i32 s39, 0x50
	s_add_co_i32 s36, s36, 1
	s_wait_alu 0xfffe
	v_mov_b32_e32 v6, s39
	s_sub_co_i32 s37, s37, 64
	s_cmp_eq_u32 s36, s23
	ds_load_b128 v[21:24], v6
	s_wait_dscnt 0x0
	v_mul_f64_e32 v[6:7], v[23:24], v[2:3]
	v_mul_f64_e32 v[2:3], v[21:22], v[2:3]
	s_delay_alu instid0(VALU_DEP_2) | instskip(NEXT) | instid1(VALU_DEP_2)
	v_fma_f64 v[21:22], v[21:22], v[0:1], -v[6:7]
	v_fma_f64 v[23:24], v[23:24], v[0:1], v[2:3]
	v_add_nc_u32_e32 v0, s38, v14
	ds_store_b128 v5, v[21:24]
	ds_store_b128 v0, v[21:24]
	s_cbranch_scc1 .LBB201_22
.LBB201_31:                             ;   Parent Loop BB201_3 Depth=1
                                        ;     Parent Loop BB201_20 Depth=2
                                        ;       Parent Loop BB201_23 Depth=3
                                        ; =>      This Loop Header: Depth=4
                                        ;           Child Loop BB201_33 Depth 5
	s_wait_alu 0xfffe
	v_lshl_add_u32 v5, s36, 4, v13
	s_cmp_lg_u32 s36, 0
	s_cbranch_scc0 .LBB201_35
; %bb.32:                               ;   in Loop: Header=BB201_31 Depth=4
	ds_load_b128 v[0:3], v5
	v_mov_b32_e32 v6, v13
	s_sub_co_i32 s39, s18, s36
	s_mov_b32 s40, s37
	s_wait_alu 0xfffe
	s_lshl_b32 s38, s39, 6
	s_mov_b32 s41, s36
.LBB201_33:                             ;   Parent Loop BB201_3 Depth=1
                                        ;     Parent Loop BB201_20 Depth=2
                                        ;       Parent Loop BB201_23 Depth=3
                                        ;         Parent Loop BB201_31 Depth=4
                                        ; =>        This Inner Loop Header: Depth=5
	v_mov_b32_e32 v7, s40
	s_wait_alu 0xfffe
	s_add_co_i32 s41, s41, -1
	s_add_co_i32 s40, s40, -16
	s_wait_alu 0xfffe
	s_cmp_eq_u32 s41, 0
	ds_load_b128 v[21:24], v6
	ds_load_b128 v[25:28], v7
	v_add_nc_u32_e32 v6, 16, v6
	s_wait_dscnt 0x0
	v_mul_f64_e32 v[29:30], v[27:28], v[23:24]
	v_mul_f64_e32 v[23:24], v[25:26], v[23:24]
	s_delay_alu instid0(VALU_DEP_2) | instskip(NEXT) | instid1(VALU_DEP_2)
	v_fma_f64 v[25:26], v[25:26], v[21:22], -v[29:30]
	v_fma_f64 v[21:22], v[27:28], v[21:22], v[23:24]
	s_delay_alu instid0(VALU_DEP_2) | instskip(NEXT) | instid1(VALU_DEP_2)
	v_add_f64_e64 v[0:1], v[0:1], -v[25:26]
	v_add_f64_e64 v[2:3], v[2:3], -v[21:22]
	ds_store_b128 v5, v[0:3]
	s_cbranch_scc0 .LBB201_33
; %bb.34:                               ;   in Loop: Header=BB201_31 Depth=4
	s_branch .LBB201_30
.LBB201_35:                             ;   in Loop: Header=BB201_31 Depth=4
                                        ; implicit-def: $vgpr0_vgpr1
                                        ; implicit-def: $sgpr39
                                        ; implicit-def: $sgpr38
	s_cbranch_execz .LBB201_30
; %bb.36:                               ;   in Loop: Header=BB201_31 Depth=4
	ds_load_b128 v[0:3], v13
	s_mov_b32 s38, s35
	s_mov_b32 s39, s18
	s_branch .LBB201_30
.LBB201_37:                             ;   in Loop: Header=BB201_3 Depth=1
	s_mov_b32 s2, 0
.LBB201_38:                             ;   in Loop: Header=BB201_3 Depth=1
	s_wait_alu 0xfffe
	s_and_b32 vcc_lo, exec_lo, s2
	s_wait_alu 0xfffe
	s_cbranch_vccz .LBB201_59
; %bb.39:                               ;   in Loop: Header=BB201_3 Depth=1
	s_mov_b32 s2, 0
	s_wait_alu 0xfffe
	s_mov_b32 s18, s2
	s_branch .LBB201_41
.LBB201_40:                             ;   in Loop: Header=BB201_41 Depth=2
	s_cmp_lt_i32 s18, s25
	s_cselect_b32 s19, -1, 0
	s_add_co_i32 s21, s2, 1
	s_cmp_lt_u32 s2, 2
	s_cselect_b32 s2, -1, 0
	s_wait_alu 0xfffe
	s_and_b32 s2, s19, s2
	s_wait_alu 0xfffe
	s_and_not1_b32 vcc_lo, exec_lo, s2
	s_mov_b32 s2, s21
	s_wait_alu 0xfffe
	s_cbranch_vccnz .LBB201_59
.LBB201_41:                             ;   Parent Loop BB201_3 Depth=1
                                        ; =>  This Loop Header: Depth=2
                                        ;       Child Loop BB201_44 Depth 3
                                        ;         Child Loop BB201_45 Depth 4
                                        ;         Child Loop BB201_48 Depth 4
                                        ;           Child Loop BB201_49 Depth 5
                                        ;         Child Loop BB201_53 Depth 4
                                        ;           Child Loop BB201_55 Depth 5
	s_getpc_b64 s[30:31]
	s_wait_alu 0xfffe
	s_sext_i32_i16 s31, s31
	s_add_co_u32 s30, s30, __const._ZL38rocblas_trsm_small_left_device_sharedBILi4ELi4ELb1E19rocblas_complex_numIdES1_PKPKS1_PKPS1_Ev13rocblas_fill_18rocblas_operation_17rocblas_diagonal_iiT3_T4_lilT5_lili.step_sizes@rel32@lo+12
	s_wait_alu 0xfffe
	s_add_co_ci_u32 s31, s31, __const._ZL38rocblas_trsm_small_left_device_sharedBILi4ELi4ELb1E19rocblas_complex_numIdES1_PKPKS1_PKPS1_Ev13rocblas_fill_18rocblas_operation_17rocblas_diagonal_iiT3_T4_lilT5_lili.step_sizes@rel32@hi+24
	s_lshl_b64 s[34:35], s[2:3], 2
	s_wait_alu 0xfffe
	s_add_nc_u64 s[30:31], s[30:31], s[34:35]
	s_load_b32 s19, s[30:31], 0x0
	s_wait_kmcnt 0x0
	s_add_co_i32 s21, s19, -1
	s_delay_alu instid0(SALU_CYCLE_1) | instskip(NEXT) | instid1(SALU_CYCLE_1)
	s_add_co_i32 s23, s21, s18
	s_cmp_ge_i32 s23, s25
	s_cbranch_scc1 .LBB201_40
; %bb.42:                               ;   in Loop: Header=BB201_41 Depth=2
	v_lshl_add_u32 v4, s18, 6, v14
	s_max_i32 s23, s19, 1
	s_lshl_b32 s30, s19, 6
	s_lshl_b32 s31, s18, 4
	;; [unrolled: 1-line block ×3, first 2 shown]
	s_mul_i32 s34, s18, 0x50
	s_mul_i32 s35, s19, 0x50
	s_branch .LBB201_44
.LBB201_43:                             ;   in Loop: Header=BB201_44 Depth=3
	s_add_co_i32 s18, s18, s19
	v_add_nc_u32_e32 v4, s30, v4
	s_wait_alu 0xfffe
	s_add_co_i32 s36, s21, s18
	s_add_co_i32 s31, s31, s33
	;; [unrolled: 1-line block ×3, first 2 shown]
	s_wait_alu 0xfffe
	s_cmp_ge_i32 s36, s25
	s_cbranch_scc1 .LBB201_40
.LBB201_44:                             ;   Parent Loop BB201_3 Depth=1
                                        ;     Parent Loop BB201_41 Depth=2
                                        ; =>    This Loop Header: Depth=3
                                        ;         Child Loop BB201_45 Depth 4
                                        ;         Child Loop BB201_48 Depth 4
                                        ;           Child Loop BB201_49 Depth 5
                                        ;         Child Loop BB201_53 Depth 4
                                        ;           Child Loop BB201_55 Depth 5
	v_dual_mov_b32 v0, v13 :: v_dual_mov_b32 v1, v4
	s_mov_b32 s36, s23
.LBB201_45:                             ;   Parent Loop BB201_3 Depth=1
                                        ;     Parent Loop BB201_41 Depth=2
                                        ;       Parent Loop BB201_44 Depth=3
                                        ; =>      This Inner Loop Header: Depth=4
	ds_load_b128 v[21:24], v1
	v_add_nc_u32_e32 v1, 64, v1
	s_wait_alu 0xfffe
	s_add_co_i32 s36, s36, -1
	s_wait_alu 0xfffe
	s_cmp_eq_u32 s36, 0
	s_wait_dscnt 0x0
	ds_store_b128 v0, v[21:24]
	v_add_nc_u32_e32 v0, 16, v0
	s_cbranch_scc0 .LBB201_45
; %bb.46:                               ;   in Loop: Header=BB201_44 Depth=3
	s_cmp_lt_i32 s18, 1
	s_cbranch_scc1 .LBB201_51
; %bb.47:                               ;   in Loop: Header=BB201_44 Depth=3
	s_mov_b32 s36, 0
	s_mov_b32 s37, s31
.LBB201_48:                             ;   Parent Loop BB201_3 Depth=1
                                        ;     Parent Loop BB201_41 Depth=2
                                        ;       Parent Loop BB201_44 Depth=3
                                        ; =>      This Loop Header: Depth=4
                                        ;           Child Loop BB201_49 Depth 5
	s_wait_alu 0xfffe
	v_lshl_add_u32 v0, s36, 6, v14
	v_mov_b32_e32 v5, v13
	s_mov_b32 s38, s37
	s_mov_b32 s39, s23
	ds_load_b128 v[0:3], v0
.LBB201_49:                             ;   Parent Loop BB201_3 Depth=1
                                        ;     Parent Loop BB201_41 Depth=2
                                        ;       Parent Loop BB201_44 Depth=3
                                        ;         Parent Loop BB201_48 Depth=4
                                        ; =>        This Inner Loop Header: Depth=5
	s_wait_alu 0xfffe
	v_mov_b32_e32 v6, s38
	s_add_co_i32 s39, s39, -1
	s_add_co_i32 s38, s38, 16
	s_wait_alu 0xfffe
	s_cmp_eq_u32 s39, 0
	ds_load_b128 v[21:24], v6
	s_wait_dscnt 0x0
	v_mul_f64_e32 v[6:7], v[2:3], v[23:24]
	v_mul_f64_e32 v[23:24], v[0:1], v[23:24]
	s_delay_alu instid0(VALU_DEP_2) | instskip(NEXT) | instid1(VALU_DEP_2)
	v_fma_f64 v[6:7], v[0:1], v[21:22], -v[6:7]
	v_fma_f64 v[25:26], v[2:3], v[21:22], v[23:24]
	ds_load_b128 v[21:24], v5
	s_wait_dscnt 0x0
	v_add_f64_e64 v[21:22], v[21:22], -v[6:7]
	v_add_f64_e64 v[23:24], v[23:24], -v[25:26]
	ds_store_b128 v5, v[21:24]
	v_add_nc_u32_e32 v5, 16, v5
	s_cbranch_scc0 .LBB201_49
; %bb.50:                               ;   in Loop: Header=BB201_48 Depth=4
	s_add_co_i32 s36, s36, 1
	s_add_co_i32 s37, s37, 64
	s_wait_alu 0xfffe
	s_cmp_eq_u32 s36, s18
	s_cbranch_scc0 .LBB201_48
.LBB201_51:                             ;   in Loop: Header=BB201_44 Depth=3
	s_mov_b32 s36, 0
	s_mov_b32 s37, s34
	s_branch .LBB201_53
.LBB201_52:                             ;   in Loop: Header=BB201_53 Depth=4
	s_add_co_i32 s38, s36, s18
	s_add_co_i32 s36, s36, 1
	s_wait_alu 0xfffe
	s_mul_i32 s39, s38, 0x50
	s_add_co_i32 s37, s37, 16
	s_wait_alu 0xfffe
	v_mov_b32_e32 v6, s39
	s_cmp_eq_u32 s36, s23
	ds_load_b128 v[21:24], v6
	s_wait_dscnt 0x0
	v_mul_f64_e32 v[6:7], v[23:24], v[2:3]
	v_mul_f64_e32 v[2:3], v[21:22], v[2:3]
	s_delay_alu instid0(VALU_DEP_2) | instskip(NEXT) | instid1(VALU_DEP_2)
	v_fma_f64 v[21:22], v[21:22], v[0:1], -v[6:7]
	v_fma_f64 v[23:24], v[23:24], v[0:1], v[2:3]
	v_lshl_add_u32 v0, s38, 6, v14
	ds_store_b128 v5, v[21:24]
	ds_store_b128 v0, v[21:24]
	s_cbranch_scc1 .LBB201_43
.LBB201_53:                             ;   Parent Loop BB201_3 Depth=1
                                        ;     Parent Loop BB201_41 Depth=2
                                        ;       Parent Loop BB201_44 Depth=3
                                        ; =>      This Loop Header: Depth=4
                                        ;           Child Loop BB201_55 Depth 5
	s_wait_alu 0xfffe
	v_lshl_add_u32 v5, s36, 4, v13
	s_cmp_lg_u32 s36, 0
	s_cbranch_scc0 .LBB201_57
; %bb.54:                               ;   in Loop: Header=BB201_53 Depth=4
	ds_load_b128 v[0:3], v5
	v_mov_b32_e32 v6, v13
	s_mov_b32 s38, s37
	s_mov_b32 s39, s36
.LBB201_55:                             ;   Parent Loop BB201_3 Depth=1
                                        ;     Parent Loop BB201_41 Depth=2
                                        ;       Parent Loop BB201_44 Depth=3
                                        ;         Parent Loop BB201_53 Depth=4
                                        ; =>        This Inner Loop Header: Depth=5
	s_wait_alu 0xfffe
	v_mov_b32_e32 v7, s38
	s_add_co_i32 s39, s39, -1
	s_add_co_i32 s38, s38, 64
	s_wait_alu 0xfffe
	s_cmp_eq_u32 s39, 0
	ds_load_b128 v[21:24], v6
	ds_load_b128 v[25:28], v7
	v_add_nc_u32_e32 v6, 16, v6
	s_wait_dscnt 0x0
	v_mul_f64_e32 v[29:30], v[27:28], v[23:24]
	v_mul_f64_e32 v[23:24], v[25:26], v[23:24]
	s_delay_alu instid0(VALU_DEP_2) | instskip(NEXT) | instid1(VALU_DEP_2)
	v_fma_f64 v[25:26], v[25:26], v[21:22], -v[29:30]
	v_fma_f64 v[21:22], v[27:28], v[21:22], v[23:24]
	s_delay_alu instid0(VALU_DEP_2) | instskip(NEXT) | instid1(VALU_DEP_2)
	v_add_f64_e64 v[0:1], v[0:1], -v[25:26]
	v_add_f64_e64 v[2:3], v[2:3], -v[21:22]
	ds_store_b128 v5, v[0:3]
	s_cbranch_scc0 .LBB201_55
; %bb.56:                               ;   in Loop: Header=BB201_53 Depth=4
	s_branch .LBB201_52
.LBB201_57:                             ;   in Loop: Header=BB201_53 Depth=4
                                        ; implicit-def: $vgpr0_vgpr1
	s_cbranch_execz .LBB201_52
; %bb.58:                               ;   in Loop: Header=BB201_53 Depth=4
	ds_load_b128 v[0:3], v13
	s_branch .LBB201_52
.LBB201_59:                             ;   in Loop: Header=BB201_3 Depth=1
	; wave barrier
	s_wait_loadcnt_dscnt 0x0
	global_inv scope:SCOPE_SE
	s_and_saveexec_b32 s2, s29
	s_cbranch_execz .LBB201_2
; %bb.60:                               ;   in Loop: Header=BB201_3 Depth=1
	v_add_co_u32 v0, vcc_lo, v10, s10
	s_wait_alu 0xfffd
	v_add_co_ci_u32_e64 v1, null, s11, v11, vcc_lo
	v_mov_b32_e32 v2, v14
	s_delay_alu instid0(VALU_DEP_3) | instskip(SKIP_1) | instid1(VALU_DEP_3)
	v_add_co_u32 v0, vcc_lo, v0, s16
	s_wait_alu 0xfffd
	v_add_co_ci_u32_e64 v1, null, s17, v1, vcc_lo
	s_mov_b32 s18, s25
	v_add_co_u32 v0, vcc_lo, v0, v8
	s_wait_alu 0xfffd
	v_add_co_ci_u32_e64 v1, null, v1, v9, vcc_lo
.LBB201_61:                             ;   Parent Loop BB201_3 Depth=1
                                        ; =>  This Inner Loop Header: Depth=2
	ds_load_2addr_b64 v[3:6], v2 offset1:1
	v_add_nc_u32_e32 v2, 64, v2
	s_wait_alu 0xfffe
	s_add_co_i32 s18, s18, -1
	s_wait_alu 0xfffe
	s_cmp_lg_u32 s18, 0
	s_wait_dscnt 0x0
	flat_store_b128 v[0:1], v[3:6]
	v_add_co_u32 v0, vcc_lo, v0, 16
	s_wait_alu 0xfffd
	v_add_co_ci_u32_e64 v1, null, 0, v1, vcc_lo
	s_cbranch_scc1 .LBB201_61
	s_branch .LBB201_2
.LBB201_62:
	s_endpgm
	.section	.rodata,"a",@progbits
	.p2align	6, 0x0
	.amdhsa_kernel _ZL38rocblas_trsm_small_left_device_sharedBILi4ELi4ELb1E19rocblas_complex_numIdES1_PKPKS1_PKPS1_Ev13rocblas_fill_18rocblas_operation_17rocblas_diagonal_iiT3_T4_lilT5_lili
		.amdhsa_group_segment_fixed_size 768
		.amdhsa_private_segment_fixed_size 0
		.amdhsa_kernarg_size 368
		.amdhsa_user_sgpr_count 4
		.amdhsa_user_sgpr_dispatch_ptr 1
		.amdhsa_user_sgpr_queue_ptr 0
		.amdhsa_user_sgpr_kernarg_segment_ptr 1
		.amdhsa_user_sgpr_dispatch_id 0
		.amdhsa_user_sgpr_private_segment_size 0
		.amdhsa_wavefront_size32 1
		.amdhsa_uses_dynamic_stack 0
		.amdhsa_enable_private_segment 0
		.amdhsa_system_sgpr_workgroup_id_x 1
		.amdhsa_system_sgpr_workgroup_id_y 0
		.amdhsa_system_sgpr_workgroup_id_z 1
		.amdhsa_system_sgpr_workgroup_info 0
		.amdhsa_system_vgpr_workitem_id 2
		.amdhsa_next_free_vgpr 31
		.amdhsa_next_free_sgpr 42
		.amdhsa_reserve_vcc 1
		.amdhsa_float_round_mode_32 0
		.amdhsa_float_round_mode_16_64 0
		.amdhsa_float_denorm_mode_32 3
		.amdhsa_float_denorm_mode_16_64 3
		.amdhsa_fp16_overflow 0
		.amdhsa_workgroup_processor_mode 1
		.amdhsa_memory_ordered 1
		.amdhsa_forward_progress 1
		.amdhsa_inst_pref_size 24
		.amdhsa_round_robin_scheduling 0
		.amdhsa_exception_fp_ieee_invalid_op 0
		.amdhsa_exception_fp_denorm_src 0
		.amdhsa_exception_fp_ieee_div_zero 0
		.amdhsa_exception_fp_ieee_overflow 0
		.amdhsa_exception_fp_ieee_underflow 0
		.amdhsa_exception_fp_ieee_inexact 0
		.amdhsa_exception_int_div_zero 0
	.end_amdhsa_kernel
	.section	.text._ZL38rocblas_trsm_small_left_device_sharedBILi4ELi4ELb1E19rocblas_complex_numIdES1_PKPKS1_PKPS1_Ev13rocblas_fill_18rocblas_operation_17rocblas_diagonal_iiT3_T4_lilT5_lili,"axG",@progbits,_ZL38rocblas_trsm_small_left_device_sharedBILi4ELi4ELb1E19rocblas_complex_numIdES1_PKPKS1_PKPS1_Ev13rocblas_fill_18rocblas_operation_17rocblas_diagonal_iiT3_T4_lilT5_lili,comdat
.Lfunc_end201:
	.size	_ZL38rocblas_trsm_small_left_device_sharedBILi4ELi4ELb1E19rocblas_complex_numIdES1_PKPKS1_PKPS1_Ev13rocblas_fill_18rocblas_operation_17rocblas_diagonal_iiT3_T4_lilT5_lili, .Lfunc_end201-_ZL38rocblas_trsm_small_left_device_sharedBILi4ELi4ELb1E19rocblas_complex_numIdES1_PKPKS1_PKPS1_Ev13rocblas_fill_18rocblas_operation_17rocblas_diagonal_iiT3_T4_lilT5_lili
                                        ; -- End function
	.set _ZL38rocblas_trsm_small_left_device_sharedBILi4ELi4ELb1E19rocblas_complex_numIdES1_PKPKS1_PKPS1_Ev13rocblas_fill_18rocblas_operation_17rocblas_diagonal_iiT3_T4_lilT5_lili.num_vgpr, 31
	.set _ZL38rocblas_trsm_small_left_device_sharedBILi4ELi4ELb1E19rocblas_complex_numIdES1_PKPKS1_PKPS1_Ev13rocblas_fill_18rocblas_operation_17rocblas_diagonal_iiT3_T4_lilT5_lili.num_agpr, 0
	.set _ZL38rocblas_trsm_small_left_device_sharedBILi4ELi4ELb1E19rocblas_complex_numIdES1_PKPKS1_PKPS1_Ev13rocblas_fill_18rocblas_operation_17rocblas_diagonal_iiT3_T4_lilT5_lili.numbered_sgpr, 42
	.set _ZL38rocblas_trsm_small_left_device_sharedBILi4ELi4ELb1E19rocblas_complex_numIdES1_PKPKS1_PKPS1_Ev13rocblas_fill_18rocblas_operation_17rocblas_diagonal_iiT3_T4_lilT5_lili.num_named_barrier, 0
	.set _ZL38rocblas_trsm_small_left_device_sharedBILi4ELi4ELb1E19rocblas_complex_numIdES1_PKPKS1_PKPS1_Ev13rocblas_fill_18rocblas_operation_17rocblas_diagonal_iiT3_T4_lilT5_lili.private_seg_size, 0
	.set _ZL38rocblas_trsm_small_left_device_sharedBILi4ELi4ELb1E19rocblas_complex_numIdES1_PKPKS1_PKPS1_Ev13rocblas_fill_18rocblas_operation_17rocblas_diagonal_iiT3_T4_lilT5_lili.uses_vcc, 1
	.set _ZL38rocblas_trsm_small_left_device_sharedBILi4ELi4ELb1E19rocblas_complex_numIdES1_PKPKS1_PKPS1_Ev13rocblas_fill_18rocblas_operation_17rocblas_diagonal_iiT3_T4_lilT5_lili.uses_flat_scratch, 0
	.set _ZL38rocblas_trsm_small_left_device_sharedBILi4ELi4ELb1E19rocblas_complex_numIdES1_PKPKS1_PKPS1_Ev13rocblas_fill_18rocblas_operation_17rocblas_diagonal_iiT3_T4_lilT5_lili.has_dyn_sized_stack, 0
	.set _ZL38rocblas_trsm_small_left_device_sharedBILi4ELi4ELb1E19rocblas_complex_numIdES1_PKPKS1_PKPS1_Ev13rocblas_fill_18rocblas_operation_17rocblas_diagonal_iiT3_T4_lilT5_lili.has_recursion, 0
	.set _ZL38rocblas_trsm_small_left_device_sharedBILi4ELi4ELb1E19rocblas_complex_numIdES1_PKPKS1_PKPS1_Ev13rocblas_fill_18rocblas_operation_17rocblas_diagonal_iiT3_T4_lilT5_lili.has_indirect_call, 0
	.section	.AMDGPU.csdata,"",@progbits
; Kernel info:
; codeLenInByte = 3068
; TotalNumSgprs: 44
; NumVgprs: 31
; ScratchSize: 0
; MemoryBound: 0
; FloatMode: 240
; IeeeMode: 1
; LDSByteSize: 768 bytes/workgroup (compile time only)
; SGPRBlocks: 0
; VGPRBlocks: 3
; NumSGPRsForWavesPerEU: 44
; NumVGPRsForWavesPerEU: 31
; Occupancy: 16
; WaveLimiterHint : 0
; COMPUTE_PGM_RSRC2:SCRATCH_EN: 0
; COMPUTE_PGM_RSRC2:USER_SGPR: 4
; COMPUTE_PGM_RSRC2:TRAP_HANDLER: 0
; COMPUTE_PGM_RSRC2:TGID_X_EN: 1
; COMPUTE_PGM_RSRC2:TGID_Y_EN: 0
; COMPUTE_PGM_RSRC2:TGID_Z_EN: 1
; COMPUTE_PGM_RSRC2:TIDIG_COMP_CNT: 2
	.section	.text._ZL30rocblas_trsm_small_left_deviceILi4ELi4ELb1E19rocblas_complex_numIdES1_PKPKS1_PKPS1_Ev13rocblas_fill_18rocblas_operation_17rocblas_diagonal_iiT3_T4_lilT5_lili,"axG",@progbits,_ZL30rocblas_trsm_small_left_deviceILi4ELi4ELb1E19rocblas_complex_numIdES1_PKPKS1_PKPS1_Ev13rocblas_fill_18rocblas_operation_17rocblas_diagonal_iiT3_T4_lilT5_lili,comdat
	.globl	_ZL30rocblas_trsm_small_left_deviceILi4ELi4ELb1E19rocblas_complex_numIdES1_PKPKS1_PKPS1_Ev13rocblas_fill_18rocblas_operation_17rocblas_diagonal_iiT3_T4_lilT5_lili ; -- Begin function _ZL30rocblas_trsm_small_left_deviceILi4ELi4ELb1E19rocblas_complex_numIdES1_PKPKS1_PKPS1_Ev13rocblas_fill_18rocblas_operation_17rocblas_diagonal_iiT3_T4_lilT5_lili
	.p2align	8
	.type	_ZL30rocblas_trsm_small_left_deviceILi4ELi4ELb1E19rocblas_complex_numIdES1_PKPKS1_PKPS1_Ev13rocblas_fill_18rocblas_operation_17rocblas_diagonal_iiT3_T4_lilT5_lili,@function
_ZL30rocblas_trsm_small_left_deviceILi4ELi4ELb1E19rocblas_complex_numIdES1_PKPKS1_PKPS1_Ev13rocblas_fill_18rocblas_operation_17rocblas_diagonal_iiT3_T4_lilT5_lili: ; @_ZL30rocblas_trsm_small_left_deviceILi4ELi4ELb1E19rocblas_complex_numIdES1_PKPKS1_PKPS1_Ev13rocblas_fill_18rocblas_operation_17rocblas_diagonal_iiT3_T4_lilT5_lili
; %bb.0:
	s_load_b32 s28, s[2:3], 0x68
	s_lshr_b32 s20, ttmp7, 16
	s_wait_kmcnt 0x0
	s_cmp_ge_u32 s20, s28
	s_cbranch_scc1 .LBB202_58
; %bb.1:
	s_load_b32 s22, s[2:3], 0x38
	s_load_b64 s[0:1], s[0:1], 0x4
	s_clause 0x4
	s_load_b128 s[16:19], s[2:3], 0x4
	s_load_b32 s21, s[2:3], 0x70
	s_load_b128 s[12:15], s[2:3], 0x48
	s_load_b32 s24, s[2:3], 0x58
	s_load_b256 s[4:11], s[2:3], 0x18
	v_bfe_u32 v1, v0, 10, 10
	v_and_b32_e32 v2, 0x3ff, v0
	v_bfe_u32 v0, v0, 20, 10
	v_mov_b32_e32 v14, 0
	s_mov_b32 s34, 0
	s_delay_alu instid0(VALU_DEP_3) | instskip(SKIP_1) | instid1(VALU_DEP_1)
	v_lshlrev_b32_e32 v12, 4, v2
	v_lshlrev_b32_e32 v3, 6, v2
	v_add_nc_u32_e32 v19, v12, v3
	s_wait_kmcnt 0x0
	s_ashr_i32 s23, s22, 31
	s_lshr_b32 s0, s0, 16
	s_cmp_eq_u32 s16, 0x71
	v_mul_u32_u24_e32 v1, s1, v1
	s_mul_i32 s1, s0, s1
	s_cselect_b32 s0, -1, 0
	s_wait_alu 0xfffe
	s_lshl_b32 s2, ttmp9, 2
	v_mul_u32_u24_e32 v4, s1, v2
	v_or_b32_e32 v5, s2, v2
	s_min_i32 s3, s18, 4
	s_add_co_i32 s21, s21, -1
	s_wait_alu 0xfffe
	s_add_co_i32 s29, s3, -1
	v_add3_u32 v4, v4, v1, v0
	v_mad_co_i64_i32 v[0:1], null, s24, v5, 0
	s_sub_co_i32 s18, s19, s2
	s_cmp_ge_u32 ttmp9, s21
	v_cmp_gt_i32_e64 s1, s3, v2
	s_cselect_b32 s2, s18, 4
	s_cmp_lg_u32 s17, 0x84
	v_lshl_add_u32 v13, v4, 6, 0x100
	s_cselect_b32 s30, -1, 0
	s_cmp_lg_u32 s16, 0x6f
	v_lshlrev_b64_e32 v[8:9], 4, v[0:1]
	s_cselect_b32 s31, -1, 0
	s_lshl_b64 s[10:11], s[10:11], 4
	s_wait_alu 0xfffe
	v_cmp_gt_i32_e64 s2, s2, v2
	v_add_co_u32 v0, s10, s10, v12
	s_wait_alu 0xf1ff
	v_add_co_ci_u32_e64 v15, null, s11, 0, s10
	s_lshl_b64 s[10:11], s[14:15], 4
	v_or_b32_e32 v16, 8, v0
	s_wait_alu 0xfffe
	v_add_co_u32 v1, vcc_lo, v8, s10
	s_delay_alu instid0(VALU_DEP_1)
	v_add_co_ci_u32_e64 v17, null, s11, v9, vcc_lo
	s_lshl_b32 s33, s3, 4
	v_or_b32_e32 v18, 8, v1
	s_lshl_b64 s[14:15], s[22:23], 4
	s_add_co_i32 s33, s33, -16
	s_mov_b32 s17, 0
	s_branch .LBB202_4
.LBB202_2:                              ;   in Loop: Header=BB202_4 Depth=1
	s_add_co_i32 s20, s20, 0x10000
	s_delay_alu instid0(SALU_CYCLE_1)
	s_cmp_ge_u32 s20, s28
	s_cselect_b32 s16, -1, 0
	s_wait_alu 0xfffe
	s_or_not1_b32 s16, s16, exec_lo
.LBB202_3:                              ;   in Loop: Header=BB202_4 Depth=1
	s_or_b32 exec_lo, exec_lo, s21
	s_wait_alu 0xfffe
	s_and_b32 s16, exec_lo, s16
	s_wait_alu 0xfffe
	s_or_b32 s34, s16, s34
	s_delay_alu instid0(SALU_CYCLE_1)
	s_and_not1_b32 exec_lo, exec_lo, s34
	s_cbranch_execz .LBB202_58
.LBB202_4:                              ; =>This Loop Header: Depth=1
                                        ;     Child Loop BB202_6 Depth 2
                                        ;     Child Loop BB202_19 Depth 2
                                        ;       Child Loop BB202_22 Depth 3
                                        ;         Child Loop BB202_23 Depth 4
                                        ;         Child Loop BB202_25 Depth 4
                                        ;           Child Loop BB202_26 Depth 5
                                        ;         Child Loop BB202_30 Depth 4
                                        ;           Child Loop BB202_32 Depth 5
                                        ;     Child Loop BB202_40 Depth 2
                                        ;       Child Loop BB202_43 Depth 3
                                        ;         Child Loop BB202_44 Depth 4
                                        ;         Child Loop BB202_47 Depth 4
                                        ;           Child Loop BB202_48 Depth 5
                                        ;         Child Loop BB202_52 Depth 4
                                        ;           Child Loop BB202_54 Depth 5
	s_mov_b32 s21, s17
	s_delay_alu instid0(SALU_CYCLE_1) | instskip(NEXT) | instid1(SALU_CYCLE_1)
	s_lshl_b64 s[18:19], s[20:21], 3
	s_add_nc_u64 s[22:23], s[12:13], s[18:19]
	global_load_b64 v[10:11], v14, s[22:23]
	s_and_saveexec_b32 s16, s1
	s_cbranch_execz .LBB202_15
; %bb.5:                                ;   in Loop: Header=BB202_4 Depth=1
	s_add_nc_u64 s[18:19], s[8:9], s[18:19]
	v_mov_b32_e32 v2, v12
	global_load_b64 v[0:1], v14, s[18:19]
	s_mov_b32 s18, s3
	s_wait_loadcnt 0x0
	v_add_co_u32 v0, vcc_lo, v0, v16
	s_wait_alu 0xfffd
	v_add_co_ci_u32_e64 v1, null, v1, v15, vcc_lo
.LBB202_6:                              ;   Parent Loop BB202_4 Depth=1
                                        ; =>  This Inner Loop Header: Depth=2
	flat_load_b128 v[3:6], v[0:1] offset:-8
	v_add_co_u32 v0, vcc_lo, v0, s14
	s_wait_alu 0xfffd
	v_add_co_ci_u32_e64 v1, null, s15, v1, vcc_lo
	s_add_co_i32 s18, s18, -1
	s_delay_alu instid0(SALU_CYCLE_1) | instskip(SKIP_2) | instid1(VALU_DEP_1)
	s_cmp_eq_u32 s18, 0
	s_wait_loadcnt_dscnt 0x0
	v_xor_b32_e32 v7, 0x80000000, v6
	v_cndmask_b32_e64 v6, v6, v7, s0
	ds_store_b128 v2, v[3:6]
	v_add_nc_u32_e32 v2, 64, v2
	s_cbranch_scc0 .LBB202_6
; %bb.7:                                ;   in Loop: Header=BB202_4 Depth=1
	s_and_b32 vcc_lo, exec_lo, s30
	s_wait_alu 0xfffe
	s_cbranch_vccz .LBB202_13
; %bb.8:                                ;   in Loop: Header=BB202_4 Depth=1
	ds_load_b128 v[0:3], v19
                                        ; implicit-def: $vgpr6_vgpr7
	s_wait_dscnt 0x0
	v_cmp_ngt_f64_e64 s18, |v[0:1]|, |v[2:3]|
	s_and_saveexec_b32 s19, s18
	s_delay_alu instid0(SALU_CYCLE_1)
	s_xor_b32 s18, exec_lo, s19
	s_cbranch_execz .LBB202_10
; %bb.9:                                ;   in Loop: Header=BB202_4 Depth=1
	v_div_scale_f64 v[4:5], null, v[2:3], v[2:3], v[0:1]
	v_div_scale_f64 v[22:23], vcc_lo, v[0:1], v[2:3], v[0:1]
	s_delay_alu instid0(VALU_DEP_2) | instskip(NEXT) | instid1(TRANS32_DEP_1)
	v_rcp_f64_e32 v[6:7], v[4:5]
	v_fma_f64 v[20:21], -v[4:5], v[6:7], 1.0
	s_delay_alu instid0(VALU_DEP_1) | instskip(NEXT) | instid1(VALU_DEP_1)
	v_fma_f64 v[6:7], v[6:7], v[20:21], v[6:7]
	v_fma_f64 v[20:21], -v[4:5], v[6:7], 1.0
	s_delay_alu instid0(VALU_DEP_1) | instskip(NEXT) | instid1(VALU_DEP_1)
	v_fma_f64 v[6:7], v[6:7], v[20:21], v[6:7]
	v_mul_f64_e32 v[20:21], v[22:23], v[6:7]
	s_delay_alu instid0(VALU_DEP_1) | instskip(SKIP_1) | instid1(VALU_DEP_1)
	v_fma_f64 v[4:5], -v[4:5], v[20:21], v[22:23]
	s_wait_alu 0xfffd
	v_div_fmas_f64 v[4:5], v[4:5], v[6:7], v[20:21]
	s_delay_alu instid0(VALU_DEP_1) | instskip(NEXT) | instid1(VALU_DEP_1)
	v_div_fixup_f64 v[4:5], v[4:5], v[2:3], v[0:1]
	v_fma_f64 v[0:1], v[0:1], v[4:5], v[2:3]
	s_delay_alu instid0(VALU_DEP_1) | instskip(SKIP_1) | instid1(VALU_DEP_2)
	v_div_scale_f64 v[2:3], null, v[0:1], v[0:1], 1.0
	v_div_scale_f64 v[22:23], vcc_lo, 1.0, v[0:1], 1.0
	v_rcp_f64_e32 v[6:7], v[2:3]
	s_delay_alu instid0(TRANS32_DEP_1) | instskip(NEXT) | instid1(VALU_DEP_1)
	v_fma_f64 v[20:21], -v[2:3], v[6:7], 1.0
	v_fma_f64 v[6:7], v[6:7], v[20:21], v[6:7]
	s_delay_alu instid0(VALU_DEP_1) | instskip(NEXT) | instid1(VALU_DEP_1)
	v_fma_f64 v[20:21], -v[2:3], v[6:7], 1.0
	v_fma_f64 v[6:7], v[6:7], v[20:21], v[6:7]
	s_delay_alu instid0(VALU_DEP_1) | instskip(NEXT) | instid1(VALU_DEP_1)
	v_mul_f64_e32 v[20:21], v[22:23], v[6:7]
	v_fma_f64 v[2:3], -v[2:3], v[20:21], v[22:23]
	s_wait_alu 0xfffd
	s_delay_alu instid0(VALU_DEP_1) | instskip(SKIP_1) | instid1(VALU_DEP_2)
	v_div_fmas_f64 v[2:3], v[2:3], v[6:7], v[20:21]
	v_add_f64_e32 v[6:7], 0, v[4:5]
	v_div_fixup_f64 v[0:1], v[2:3], v[0:1], 1.0
	v_fma_f64 v[2:3], v[4:5], 0, -1.0
	s_delay_alu instid0(VALU_DEP_2) | instskip(NEXT) | instid1(VALU_DEP_2)
	v_mul_f64_e32 v[4:5], v[6:7], v[0:1]
	v_mul_f64_e32 v[6:7], v[2:3], v[0:1]
                                        ; implicit-def: $vgpr0_vgpr1
.LBB202_10:                             ;   in Loop: Header=BB202_4 Depth=1
	s_and_not1_saveexec_b32 s18, s18
	s_cbranch_execz .LBB202_12
; %bb.11:                               ;   in Loop: Header=BB202_4 Depth=1
	v_div_scale_f64 v[4:5], null, v[0:1], v[0:1], v[2:3]
	v_div_scale_f64 v[22:23], vcc_lo, v[2:3], v[0:1], v[2:3]
	s_delay_alu instid0(VALU_DEP_2) | instskip(NEXT) | instid1(TRANS32_DEP_1)
	v_rcp_f64_e32 v[6:7], v[4:5]
	v_fma_f64 v[20:21], -v[4:5], v[6:7], 1.0
	s_delay_alu instid0(VALU_DEP_1) | instskip(NEXT) | instid1(VALU_DEP_1)
	v_fma_f64 v[6:7], v[6:7], v[20:21], v[6:7]
	v_fma_f64 v[20:21], -v[4:5], v[6:7], 1.0
	s_delay_alu instid0(VALU_DEP_1) | instskip(NEXT) | instid1(VALU_DEP_1)
	v_fma_f64 v[6:7], v[6:7], v[20:21], v[6:7]
	v_mul_f64_e32 v[20:21], v[22:23], v[6:7]
	s_delay_alu instid0(VALU_DEP_1) | instskip(SKIP_1) | instid1(VALU_DEP_1)
	v_fma_f64 v[4:5], -v[4:5], v[20:21], v[22:23]
	s_wait_alu 0xfffd
	v_div_fmas_f64 v[4:5], v[4:5], v[6:7], v[20:21]
	s_delay_alu instid0(VALU_DEP_1) | instskip(NEXT) | instid1(VALU_DEP_1)
	v_div_fixup_f64 v[4:5], v[4:5], v[0:1], v[2:3]
	v_fma_f64 v[0:1], v[2:3], v[4:5], v[0:1]
	s_delay_alu instid0(VALU_DEP_1) | instskip(SKIP_1) | instid1(VALU_DEP_2)
	v_div_scale_f64 v[2:3], null, v[0:1], v[0:1], 1.0
	v_div_scale_f64 v[22:23], vcc_lo, 1.0, v[0:1], 1.0
	v_rcp_f64_e32 v[6:7], v[2:3]
	s_delay_alu instid0(TRANS32_DEP_1) | instskip(NEXT) | instid1(VALU_DEP_1)
	v_fma_f64 v[20:21], -v[2:3], v[6:7], 1.0
	v_fma_f64 v[6:7], v[6:7], v[20:21], v[6:7]
	s_delay_alu instid0(VALU_DEP_1) | instskip(NEXT) | instid1(VALU_DEP_1)
	v_fma_f64 v[20:21], -v[2:3], v[6:7], 1.0
	v_fma_f64 v[6:7], v[6:7], v[20:21], v[6:7]
	s_delay_alu instid0(VALU_DEP_1) | instskip(NEXT) | instid1(VALU_DEP_1)
	v_mul_f64_e32 v[20:21], v[22:23], v[6:7]
	v_fma_f64 v[2:3], -v[2:3], v[20:21], v[22:23]
	s_wait_alu 0xfffd
	s_delay_alu instid0(VALU_DEP_1) | instskip(SKIP_1) | instid1(VALU_DEP_2)
	v_div_fmas_f64 v[2:3], v[2:3], v[6:7], v[20:21]
	v_fma_f64 v[6:7], v[4:5], 0, 1.0
	v_div_fixup_f64 v[0:1], v[2:3], v[0:1], 1.0
	v_add_f64_e64 v[2:3], -v[4:5], 0
	s_delay_alu instid0(VALU_DEP_2) | instskip(NEXT) | instid1(VALU_DEP_2)
	v_mul_f64_e32 v[4:5], v[6:7], v[0:1]
	v_mul_f64_e32 v[6:7], v[2:3], v[0:1]
.LBB202_12:                             ;   in Loop: Header=BB202_4 Depth=1
	s_or_b32 exec_lo, exec_lo, s18
	s_branch .LBB202_14
.LBB202_13:                             ;   in Loop: Header=BB202_4 Depth=1
	v_mov_b32_e32 v6, 0
	v_dual_mov_b32 v7, 0 :: v_dual_mov_b32 v4, 0
	v_mov_b32_e32 v5, 0x3ff00000
.LBB202_14:                             ;   in Loop: Header=BB202_4 Depth=1
	ds_store_b128 v19, v[4:7]
.LBB202_15:                             ;   in Loop: Header=BB202_4 Depth=1
	s_wait_alu 0xfffe
	s_or_b32 exec_lo, exec_lo, s16
	s_mov_b32 s16, -1
	; wave barrier
	s_wait_loadcnt_dscnt 0x0
	global_inv scope:SCOPE_SE
	s_and_saveexec_b32 s21, s2
	s_cbranch_execz .LBB202_3
; %bb.16:                               ;   in Loop: Header=BB202_4 Depth=1
	v_add_co_u32 v0, vcc_lo, v10, s10
	s_wait_alu 0xfffd
	v_add_co_ci_u32_e64 v1, null, s11, v11, vcc_lo
	s_delay_alu instid0(VALU_DEP_2) | instskip(SKIP_1) | instid1(VALU_DEP_2)
	v_add_co_u32 v6, vcc_lo, v0, v8
	s_wait_alu 0xfffd
	v_add_co_ci_u32_e64 v7, null, v1, v9, vcc_lo
	s_and_not1_b32 vcc_lo, exec_lo, s31
	s_wait_alu 0xfffe
	s_cbranch_vccnz .LBB202_37
; %bb.17:                               ;   in Loop: Header=BB202_4 Depth=1
	v_add_co_u32 v4, vcc_lo, v10, v18
	s_wait_alu 0xfffd
	v_add_co_ci_u32_e64 v5, null, v11, v17, vcc_lo
	s_mov_b32 s16, 0
	s_mov_b32 s18, s29
	s_branch .LBB202_19
.LBB202_18:                             ;   in Loop: Header=BB202_19 Depth=2
	s_cmp_gt_i32 s18, -1
	s_cselect_b32 s19, -1, 0
	s_add_co_i32 s22, s16, 1
	s_cmp_lt_u32 s16, 2
	s_cselect_b32 s16, -1, 0
	s_wait_alu 0xfffe
	s_and_b32 s16, s19, s16
	s_wait_alu 0xfffe
	s_and_b32 vcc_lo, exec_lo, s16
	s_mov_b32 s16, s22
	s_wait_alu 0xfffe
	s_cbranch_vccz .LBB202_36
.LBB202_19:                             ;   Parent Loop BB202_4 Depth=1
                                        ; =>  This Loop Header: Depth=2
                                        ;       Child Loop BB202_22 Depth 3
                                        ;         Child Loop BB202_23 Depth 4
                                        ;         Child Loop BB202_25 Depth 4
                                        ;           Child Loop BB202_26 Depth 5
                                        ;         Child Loop BB202_30 Depth 4
                                        ;           Child Loop BB202_32 Depth 5
	s_getpc_b64 s[22:23]
	s_wait_alu 0xfffe
	s_sext_i32_i16 s23, s23
	s_add_co_u32 s22, s22, __const._ZL30rocblas_trsm_small_left_deviceILi4ELi4ELb1E19rocblas_complex_numIdES1_PKPKS1_PKPS1_Ev13rocblas_fill_18rocblas_operation_17rocblas_diagonal_iiT3_T4_lilT5_lili.step_sizes@rel32@lo+12
	s_wait_alu 0xfffe
	s_add_co_ci_u32 s23, s23, __const._ZL30rocblas_trsm_small_left_deviceILi4ELi4ELb1E19rocblas_complex_numIdES1_PKPKS1_PKPS1_Ev13rocblas_fill_18rocblas_operation_17rocblas_diagonal_iiT3_T4_lilT5_lili.step_sizes@rel32@hi+24
	s_lshl_b64 s[24:25], s[16:17], 2
	s_wait_alu 0xfffe
	s_add_nc_u64 s[22:23], s[22:23], s[24:25]
	s_load_b32 s26, s[22:23], 0x0
	s_wait_kmcnt 0x0
	s_add_co_i32 s27, s26, -1
	s_wait_alu 0xfffe
	s_cmp_lt_i32 s18, s27
	s_cbranch_scc1 .LBB202_18
; %bb.20:                               ;   in Loop: Header=BB202_19 Depth=2
	s_lshl_b32 s19, s18, 6
	s_lshl_b32 s22, s26, 6
	s_max_i32 s35, s26, 1
	s_add_co_i32 s36, s33, s19
	s_wait_alu 0xfffe
	s_sub_co_i32 s37, 0, s22
	s_mul_i32 s38, s18, 0x50
	s_mul_i32 s39, s26, 0xffffffb0
	s_branch .LBB202_22
.LBB202_21:                             ;   in Loop: Header=BB202_22 Depth=3
	s_sub_co_i32 s18, s18, s26
	s_add_co_i32 s36, s36, s37
	s_add_co_i32 s38, s38, s39
	s_cmp_lt_i32 s18, s27
	s_cbranch_scc1 .LBB202_18
.LBB202_22:                             ;   Parent Loop BB202_4 Depth=1
                                        ;     Parent Loop BB202_19 Depth=2
                                        ; =>    This Loop Header: Depth=3
                                        ;         Child Loop BB202_23 Depth 4
                                        ;         Child Loop BB202_25 Depth 4
                                        ;           Child Loop BB202_26 Depth 5
                                        ;         Child Loop BB202_30 Depth 4
                                        ;           Child Loop BB202_32 Depth 5
	s_ashr_i32 s19, s18, 31
	v_mov_b32_e32 v2, v13
	s_lshl_b64 s[22:23], s[18:19], 4
	s_wait_alu 0xfffe
	v_add_co_u32 v0, vcc_lo, v4, s22
	s_wait_alu 0xfffd
	v_add_co_ci_u32_e64 v1, null, s23, v5, vcc_lo
	s_mov_b32 s22, s35
.LBB202_23:                             ;   Parent Loop BB202_4 Depth=1
                                        ;     Parent Loop BB202_19 Depth=2
                                        ;       Parent Loop BB202_22 Depth=3
                                        ; =>      This Inner Loop Header: Depth=4
	flat_load_b128 v[20:23], v[0:1] offset:-8
	v_add_co_u32 v0, vcc_lo, v0, -16
	s_wait_alu 0xfffd
	v_add_co_ci_u32_e64 v1, null, -1, v1, vcc_lo
	s_wait_alu 0xfffe
	s_add_co_i32 s22, s22, -1
	s_wait_alu 0xfffe
	s_cmp_eq_u32 s22, 0
	s_wait_loadcnt_dscnt 0x0
	v_mul_f64_e32 v[24:25], s[6:7], v[22:23]
	v_mul_f64_e32 v[26:27], s[4:5], v[22:23]
	s_delay_alu instid0(VALU_DEP_2) | instskip(NEXT) | instid1(VALU_DEP_2)
	v_fma_f64 v[22:23], s[4:5], v[20:21], -v[24:25]
	v_fma_f64 v[24:25], s[6:7], v[20:21], v[26:27]
	ds_store_b128 v2, v[22:25]
	v_add_nc_u32_e32 v2, 16, v2
	s_cbranch_scc0 .LBB202_23
; %bb.24:                               ;   in Loop: Header=BB202_22 Depth=3
	s_cmp_le_i32 s29, s18
	s_mov_b32 s24, s36
	s_mov_b32 s22, s29
	s_cbranch_scc1 .LBB202_28
.LBB202_25:                             ;   Parent Loop BB202_4 Depth=1
                                        ;     Parent Loop BB202_19 Depth=2
                                        ;       Parent Loop BB202_22 Depth=3
                                        ; =>      This Loop Header: Depth=4
                                        ;           Child Loop BB202_26 Depth 5
	s_wait_alu 0xfffe
	s_ashr_i32 s23, s22, 31
	v_mov_b32_e32 v20, v13
	s_wait_alu 0xfffe
	s_lshl_b64 s[40:41], s[22:23], 4
	s_mov_b32 s23, s24
	s_wait_alu 0xfffe
	v_add_co_u32 v0, vcc_lo, v6, s40
	s_wait_alu 0xfffd
	v_add_co_ci_u32_e64 v1, null, s41, v7, vcc_lo
	s_mov_b32 s25, s35
	flat_load_b128 v[0:3], v[0:1]
.LBB202_26:                             ;   Parent Loop BB202_4 Depth=1
                                        ;     Parent Loop BB202_19 Depth=2
                                        ;       Parent Loop BB202_22 Depth=3
                                        ;         Parent Loop BB202_25 Depth=4
                                        ; =>        This Inner Loop Header: Depth=5
	s_wait_alu 0xfffe
	v_mov_b32_e32 v21, s23
	s_add_co_i32 s25, s25, -1
	s_sub_co_i32 s23, s23, 64
	s_wait_alu 0xfffe
	s_cmp_eq_u32 s25, 0
	ds_load_b128 v[21:24], v21
	s_wait_loadcnt_dscnt 0x0
	v_mul_f64_e32 v[25:26], v[2:3], v[23:24]
	v_mul_f64_e32 v[23:24], v[0:1], v[23:24]
	s_delay_alu instid0(VALU_DEP_2) | instskip(NEXT) | instid1(VALU_DEP_2)
	v_fma_f64 v[25:26], v[0:1], v[21:22], -v[25:26]
	v_fma_f64 v[27:28], v[2:3], v[21:22], v[23:24]
	ds_load_b128 v[21:24], v20
	s_wait_dscnt 0x0
	v_add_f64_e64 v[21:22], v[21:22], -v[25:26]
	v_add_f64_e64 v[23:24], v[23:24], -v[27:28]
	ds_store_b128 v20, v[21:24]
	v_add_nc_u32_e32 v20, 16, v20
	s_cbranch_scc0 .LBB202_26
; %bb.27:                               ;   in Loop: Header=BB202_25 Depth=4
	s_add_co_i32 s22, s22, -1
	s_add_co_i32 s24, s24, -16
	s_wait_alu 0xfffe
	s_cmp_le_i32 s22, s18
	s_cbranch_scc0 .LBB202_25
.LBB202_28:                             ;   in Loop: Header=BB202_22 Depth=3
	s_mov_b32 s40, 0
	s_mov_b32 s41, s38
	s_branch .LBB202_30
.LBB202_29:                             ;   in Loop: Header=BB202_30 Depth=4
	s_wait_alu 0xfffe
	s_mulk_i32 s24, 0x50
	s_lshl_b64 s[22:23], s[22:23], 4
	s_wait_alu 0xfffe
	v_mov_b32_e32 v21, s24
	s_add_co_i32 s40, s40, 1
	s_sub_co_i32 s41, s41, 64
	s_wait_alu 0xfffe
	s_cmp_eq_u32 s40, s35
	ds_load_b128 v[21:24], v21
	s_wait_dscnt 0x0
	v_mul_f64_e32 v[25:26], v[23:24], v[2:3]
	v_mul_f64_e32 v[2:3], v[21:22], v[2:3]
	s_delay_alu instid0(VALU_DEP_2) | instskip(NEXT) | instid1(VALU_DEP_2)
	v_fma_f64 v[21:22], v[21:22], v[0:1], -v[25:26]
	v_fma_f64 v[23:24], v[23:24], v[0:1], v[2:3]
	v_add_co_u32 v0, vcc_lo, v6, s22
	s_wait_alu 0xfffd
	v_add_co_ci_u32_e64 v1, null, s23, v7, vcc_lo
	ds_store_b128 v20, v[21:24]
	flat_store_b128 v[0:1], v[21:24]
	s_cbranch_scc1 .LBB202_21
.LBB202_30:                             ;   Parent Loop BB202_4 Depth=1
                                        ;     Parent Loop BB202_19 Depth=2
                                        ;       Parent Loop BB202_22 Depth=3
                                        ; =>      This Loop Header: Depth=4
                                        ;           Child Loop BB202_32 Depth 5
	s_wait_alu 0xfffe
	v_lshl_add_u32 v20, s40, 4, v13
	s_cmp_lg_u32 s40, 0
	s_cbranch_scc0 .LBB202_34
; %bb.31:                               ;   in Loop: Header=BB202_30 Depth=4
	ds_load_b128 v[0:3], v20
	v_mov_b32_e32 v21, v13
	s_mov_b32 s22, s41
	s_mov_b32 s23, s40
.LBB202_32:                             ;   Parent Loop BB202_4 Depth=1
                                        ;     Parent Loop BB202_19 Depth=2
                                        ;       Parent Loop BB202_22 Depth=3
                                        ;         Parent Loop BB202_30 Depth=4
                                        ; =>        This Inner Loop Header: Depth=5
	s_wait_alu 0xfffe
	v_mov_b32_e32 v26, s22
	s_add_co_i32 s23, s23, -1
	s_add_co_i32 s22, s22, -16
	s_wait_alu 0xfffe
	s_cmp_eq_u32 s23, 0
	ds_load_b128 v[22:25], v21
	ds_load_b128 v[26:29], v26
	v_add_nc_u32_e32 v21, 16, v21
	s_wait_dscnt 0x0
	v_mul_f64_e32 v[30:31], v[28:29], v[24:25]
	v_mul_f64_e32 v[24:25], v[26:27], v[24:25]
	s_delay_alu instid0(VALU_DEP_2) | instskip(NEXT) | instid1(VALU_DEP_2)
	v_fma_f64 v[26:27], v[26:27], v[22:23], -v[30:31]
	v_fma_f64 v[22:23], v[28:29], v[22:23], v[24:25]
	s_delay_alu instid0(VALU_DEP_2) | instskip(NEXT) | instid1(VALU_DEP_2)
	v_add_f64_e64 v[0:1], v[0:1], -v[26:27]
	v_add_f64_e64 v[2:3], v[2:3], -v[22:23]
	ds_store_b128 v20, v[0:3]
	s_cbranch_scc0 .LBB202_32
; %bb.33:                               ;   in Loop: Header=BB202_30 Depth=4
	s_sub_co_i32 s24, s18, s40
	s_wait_alu 0xfffe
	s_ashr_i32 s25, s24, 31
	s_wait_alu 0xfffe
	s_mov_b64 s[22:23], s[24:25]
	s_branch .LBB202_29
.LBB202_34:                             ;   in Loop: Header=BB202_30 Depth=4
                                        ; implicit-def: $vgpr0_vgpr1
                                        ; implicit-def: $sgpr24
                                        ; implicit-def: $sgpr22_sgpr23
	s_cbranch_execz .LBB202_29
; %bb.35:                               ;   in Loop: Header=BB202_30 Depth=4
	ds_load_b128 v[0:3], v13
	s_mov_b64 s[22:23], s[18:19]
	s_mov_b32 s24, s18
	s_branch .LBB202_29
.LBB202_36:                             ;   in Loop: Header=BB202_4 Depth=1
	s_mov_b32 s16, 0
.LBB202_37:                             ;   in Loop: Header=BB202_4 Depth=1
	s_wait_alu 0xfffe
	s_and_b32 vcc_lo, exec_lo, s16
	s_wait_alu 0xfffe
	s_cbranch_vccz .LBB202_2
; %bb.38:                               ;   in Loop: Header=BB202_4 Depth=1
	v_add_co_u32 v10, vcc_lo, v10, v18
	s_wait_alu 0xfffd
	v_add_co_ci_u32_e64 v11, null, v11, v17, vcc_lo
	s_mov_b32 s18, 0
	s_mov_b32 s22, 0
	s_branch .LBB202_40
.LBB202_39:                             ;   in Loop: Header=BB202_40 Depth=2
	s_cmp_lt_i32 s18, s3
	s_cselect_b32 s16, -1, 0
	s_add_co_i32 s19, s22, 1
	s_cmp_lt_u32 s22, 2
	s_cselect_b32 s22, -1, 0
	s_wait_alu 0xfffe
	s_and_b32 s16, s16, s22
	s_mov_b32 s22, s19
	s_wait_alu 0xfffe
	s_and_not1_b32 vcc_lo, exec_lo, s16
	s_wait_alu 0xfffe
	s_cbranch_vccnz .LBB202_2
.LBB202_40:                             ;   Parent Loop BB202_4 Depth=1
                                        ; =>  This Loop Header: Depth=2
                                        ;       Child Loop BB202_43 Depth 3
                                        ;         Child Loop BB202_44 Depth 4
                                        ;         Child Loop BB202_47 Depth 4
                                        ;           Child Loop BB202_48 Depth 5
                                        ;         Child Loop BB202_52 Depth 4
                                        ;           Child Loop BB202_54 Depth 5
	s_mov_b32 s23, s17
	s_getpc_b64 s[24:25]
	s_wait_alu 0xfffe
	s_sext_i32_i16 s25, s25
	s_add_co_u32 s24, s24, __const._ZL30rocblas_trsm_small_left_deviceILi4ELi4ELb1E19rocblas_complex_numIdES1_PKPKS1_PKPS1_Ev13rocblas_fill_18rocblas_operation_17rocblas_diagonal_iiT3_T4_lilT5_lili.step_sizes@rel32@lo+12
	s_wait_alu 0xfffe
	s_add_co_ci_u32 s25, s25, __const._ZL30rocblas_trsm_small_left_deviceILi4ELi4ELb1E19rocblas_complex_numIdES1_PKPKS1_PKPS1_Ev13rocblas_fill_18rocblas_operation_17rocblas_diagonal_iiT3_T4_lilT5_lili.step_sizes@rel32@hi+24
	s_lshl_b64 s[26:27], s[22:23], 2
	s_wait_alu 0xfffe
	s_add_nc_u64 s[24:25], s[24:25], s[26:27]
	s_load_b32 s24, s[24:25], 0x0
	s_wait_kmcnt 0x0
	s_add_co_i32 s23, s24, -1
	s_wait_alu 0xfffe
	s_add_co_i32 s16, s23, s18
	s_wait_alu 0xfffe
	s_cmp_ge_i32 s16, s3
	s_cbranch_scc1 .LBB202_39
; %bb.41:                               ;   in Loop: Header=BB202_40 Depth=2
	s_ashr_i32 s19, s18, 31
	s_ashr_i32 s25, s24, 31
	s_lshl_b64 s[26:27], s[18:19], 4
	s_max_i32 s35, s24, 1
	s_wait_alu 0xfffe
	v_add_co_u32 v4, vcc_lo, v10, s26
	s_wait_alu 0xfffd
	v_add_co_ci_u32_e64 v5, null, s27, v11, vcc_lo
	s_lshl_b64 s[26:27], s[24:25], 4
	s_lshl_b32 s19, s18, 4
	s_lshl_b32 s25, s24, 4
	s_mul_i32 s36, s18, 0x50
	s_mul_i32 s37, s24, 0x50
	s_branch .LBB202_43
.LBB202_42:                             ;   in Loop: Header=BB202_43 Depth=3
	v_add_co_u32 v4, vcc_lo, v4, s26
	s_add_co_i32 s18, s18, s24
	s_wait_alu 0xfffd
	v_add_co_ci_u32_e64 v5, null, s27, v5, vcc_lo
	s_add_co_i32 s16, s23, s18
	s_add_co_i32 s19, s19, s25
	s_add_co_i32 s36, s36, s37
	s_wait_alu 0xfffe
	s_cmp_ge_i32 s16, s3
	s_cbranch_scc1 .LBB202_39
.LBB202_43:                             ;   Parent Loop BB202_4 Depth=1
                                        ;     Parent Loop BB202_40 Depth=2
                                        ; =>    This Loop Header: Depth=3
                                        ;         Child Loop BB202_44 Depth 4
                                        ;         Child Loop BB202_47 Depth 4
                                        ;           Child Loop BB202_48 Depth 5
                                        ;         Child Loop BB202_52 Depth 4
                                        ;           Child Loop BB202_54 Depth 5
	v_mov_b32_e32 v0, v4
	v_dual_mov_b32 v2, v13 :: v_dual_mov_b32 v1, v5
	s_mov_b32 s16, s35
.LBB202_44:                             ;   Parent Loop BB202_4 Depth=1
                                        ;     Parent Loop BB202_40 Depth=2
                                        ;       Parent Loop BB202_43 Depth=3
                                        ; =>      This Inner Loop Header: Depth=4
	flat_load_b128 v[20:23], v[0:1] offset:-8
	v_add_co_u32 v0, vcc_lo, v0, 16
	s_wait_alu 0xfffd
	v_add_co_ci_u32_e64 v1, null, 0, v1, vcc_lo
	s_wait_alu 0xfffe
	s_add_co_i32 s16, s16, -1
	s_wait_alu 0xfffe
	s_cmp_eq_u32 s16, 0
	s_wait_loadcnt_dscnt 0x0
	v_mul_f64_e32 v[24:25], s[6:7], v[22:23]
	v_mul_f64_e32 v[26:27], s[4:5], v[22:23]
	s_delay_alu instid0(VALU_DEP_2) | instskip(NEXT) | instid1(VALU_DEP_2)
	v_fma_f64 v[22:23], s[4:5], v[20:21], -v[24:25]
	v_fma_f64 v[24:25], s[6:7], v[20:21], v[26:27]
	ds_store_b128 v2, v[22:25]
	v_add_nc_u32_e32 v2, 16, v2
	s_cbranch_scc0 .LBB202_44
; %bb.45:                               ;   in Loop: Header=BB202_43 Depth=3
	s_cmp_lt_i32 s18, 1
	s_cbranch_scc1 .LBB202_50
; %bb.46:                               ;   in Loop: Header=BB202_43 Depth=3
	s_mov_b32 s16, 0
	s_mov_b32 s38, s19
.LBB202_47:                             ;   Parent Loop BB202_4 Depth=1
                                        ;     Parent Loop BB202_40 Depth=2
                                        ;       Parent Loop BB202_43 Depth=3
                                        ; =>      This Loop Header: Depth=4
                                        ;           Child Loop BB202_48 Depth 5
	s_wait_alu 0xfffe
	s_lshl_b64 s[40:41], s[16:17], 4
	v_mov_b32_e32 v20, v13
	s_wait_alu 0xfffe
	v_add_co_u32 v0, vcc_lo, v6, s40
	s_wait_alu 0xfffd
	v_add_co_ci_u32_e64 v1, null, s41, v7, vcc_lo
	s_mov_b32 s39, s38
	s_mov_b32 s40, s35
	flat_load_b128 v[0:3], v[0:1]
.LBB202_48:                             ;   Parent Loop BB202_4 Depth=1
                                        ;     Parent Loop BB202_40 Depth=2
                                        ;       Parent Loop BB202_43 Depth=3
                                        ;         Parent Loop BB202_47 Depth=4
                                        ; =>        This Inner Loop Header: Depth=5
	s_wait_alu 0xfffe
	v_mov_b32_e32 v21, s39
	s_add_co_i32 s40, s40, -1
	s_add_co_i32 s39, s39, 16
	s_wait_alu 0xfffe
	s_cmp_eq_u32 s40, 0
	ds_load_b128 v[21:24], v21
	s_wait_loadcnt_dscnt 0x0
	v_mul_f64_e32 v[25:26], v[2:3], v[23:24]
	v_mul_f64_e32 v[23:24], v[0:1], v[23:24]
	s_delay_alu instid0(VALU_DEP_2) | instskip(NEXT) | instid1(VALU_DEP_2)
	v_fma_f64 v[25:26], v[0:1], v[21:22], -v[25:26]
	v_fma_f64 v[27:28], v[2:3], v[21:22], v[23:24]
	ds_load_b128 v[21:24], v20
	s_wait_dscnt 0x0
	v_add_f64_e64 v[21:22], v[21:22], -v[25:26]
	v_add_f64_e64 v[23:24], v[23:24], -v[27:28]
	ds_store_b128 v20, v[21:24]
	v_add_nc_u32_e32 v20, 16, v20
	s_cbranch_scc0 .LBB202_48
; %bb.49:                               ;   in Loop: Header=BB202_47 Depth=4
	s_add_co_i32 s16, s16, 1
	s_add_co_i32 s38, s38, 64
	s_wait_alu 0xfffe
	s_cmp_eq_u32 s16, s18
	s_cbranch_scc0 .LBB202_47
.LBB202_50:                             ;   in Loop: Header=BB202_43 Depth=3
	s_mov_b32 s16, 0
	s_mov_b32 s38, s36
	s_branch .LBB202_52
.LBB202_51:                             ;   in Loop: Header=BB202_52 Depth=4
	s_add_co_i32 s40, s16, s18
	s_add_co_i32 s16, s16, 1
	s_wait_alu 0xfffe
	s_mul_i32 s39, s40, 0x50
	s_ashr_i32 s41, s40, 31
	s_wait_alu 0xfffe
	v_mov_b32_e32 v21, s39
	s_lshl_b64 s[40:41], s[40:41], 4
	s_add_co_i32 s38, s38, 16
	s_cmp_eq_u32 s16, s35
	ds_load_b128 v[21:24], v21
	s_wait_dscnt 0x0
	v_mul_f64_e32 v[25:26], v[23:24], v[2:3]
	v_mul_f64_e32 v[2:3], v[21:22], v[2:3]
	s_delay_alu instid0(VALU_DEP_2) | instskip(NEXT) | instid1(VALU_DEP_2)
	v_fma_f64 v[21:22], v[21:22], v[0:1], -v[25:26]
	v_fma_f64 v[23:24], v[23:24], v[0:1], v[2:3]
	s_wait_alu 0xfffe
	v_add_co_u32 v0, vcc_lo, v6, s40
	s_wait_alu 0xfffd
	v_add_co_ci_u32_e64 v1, null, s41, v7, vcc_lo
	ds_store_b128 v20, v[21:24]
	flat_store_b128 v[0:1], v[21:24]
	s_cbranch_scc1 .LBB202_42
.LBB202_52:                             ;   Parent Loop BB202_4 Depth=1
                                        ;     Parent Loop BB202_40 Depth=2
                                        ;       Parent Loop BB202_43 Depth=3
                                        ; =>      This Loop Header: Depth=4
                                        ;           Child Loop BB202_54 Depth 5
	s_wait_alu 0xfffe
	v_lshl_add_u32 v20, s16, 4, v13
	s_cmp_lg_u32 s16, 0
	s_cbranch_scc0 .LBB202_56
; %bb.53:                               ;   in Loop: Header=BB202_52 Depth=4
	ds_load_b128 v[0:3], v20
	v_mov_b32_e32 v21, v13
	s_mov_b32 s39, s38
	s_mov_b32 s40, s16
.LBB202_54:                             ;   Parent Loop BB202_4 Depth=1
                                        ;     Parent Loop BB202_40 Depth=2
                                        ;       Parent Loop BB202_43 Depth=3
                                        ;         Parent Loop BB202_52 Depth=4
                                        ; =>        This Inner Loop Header: Depth=5
	s_wait_alu 0xfffe
	v_mov_b32_e32 v26, s39
	s_add_co_i32 s40, s40, -1
	s_add_co_i32 s39, s39, 64
	s_wait_alu 0xfffe
	s_cmp_eq_u32 s40, 0
	ds_load_b128 v[22:25], v21
	ds_load_b128 v[26:29], v26
	v_add_nc_u32_e32 v21, 16, v21
	s_wait_dscnt 0x0
	v_mul_f64_e32 v[30:31], v[28:29], v[24:25]
	v_mul_f64_e32 v[24:25], v[26:27], v[24:25]
	s_delay_alu instid0(VALU_DEP_2) | instskip(NEXT) | instid1(VALU_DEP_2)
	v_fma_f64 v[26:27], v[26:27], v[22:23], -v[30:31]
	v_fma_f64 v[22:23], v[28:29], v[22:23], v[24:25]
	s_delay_alu instid0(VALU_DEP_2) | instskip(NEXT) | instid1(VALU_DEP_2)
	v_add_f64_e64 v[0:1], v[0:1], -v[26:27]
	v_add_f64_e64 v[2:3], v[2:3], -v[22:23]
	ds_store_b128 v20, v[0:3]
	s_cbranch_scc0 .LBB202_54
; %bb.55:                               ;   in Loop: Header=BB202_52 Depth=4
	s_branch .LBB202_51
.LBB202_56:                             ;   in Loop: Header=BB202_52 Depth=4
                                        ; implicit-def: $vgpr0_vgpr1
	s_cbranch_execz .LBB202_51
; %bb.57:                               ;   in Loop: Header=BB202_52 Depth=4
	ds_load_b128 v[0:3], v13
	s_branch .LBB202_51
.LBB202_58:
	s_endpgm
	.section	.rodata,"a",@progbits
	.p2align	6, 0x0
	.amdhsa_kernel _ZL30rocblas_trsm_small_left_deviceILi4ELi4ELb1E19rocblas_complex_numIdES1_PKPKS1_PKPS1_Ev13rocblas_fill_18rocblas_operation_17rocblas_diagonal_iiT3_T4_lilT5_lili
		.amdhsa_group_segment_fixed_size 512
		.amdhsa_private_segment_fixed_size 0
		.amdhsa_kernarg_size 368
		.amdhsa_user_sgpr_count 4
		.amdhsa_user_sgpr_dispatch_ptr 1
		.amdhsa_user_sgpr_queue_ptr 0
		.amdhsa_user_sgpr_kernarg_segment_ptr 1
		.amdhsa_user_sgpr_dispatch_id 0
		.amdhsa_user_sgpr_private_segment_size 0
		.amdhsa_wavefront_size32 1
		.amdhsa_uses_dynamic_stack 0
		.amdhsa_enable_private_segment 0
		.amdhsa_system_sgpr_workgroup_id_x 1
		.amdhsa_system_sgpr_workgroup_id_y 0
		.amdhsa_system_sgpr_workgroup_id_z 1
		.amdhsa_system_sgpr_workgroup_info 0
		.amdhsa_system_vgpr_workitem_id 2
		.amdhsa_next_free_vgpr 32
		.amdhsa_next_free_sgpr 42
		.amdhsa_reserve_vcc 1
		.amdhsa_float_round_mode_32 0
		.amdhsa_float_round_mode_16_64 0
		.amdhsa_float_denorm_mode_32 3
		.amdhsa_float_denorm_mode_16_64 3
		.amdhsa_fp16_overflow 0
		.amdhsa_workgroup_processor_mode 1
		.amdhsa_memory_ordered 1
		.amdhsa_forward_progress 1
		.amdhsa_inst_pref_size 25
		.amdhsa_round_robin_scheduling 0
		.amdhsa_exception_fp_ieee_invalid_op 0
		.amdhsa_exception_fp_denorm_src 0
		.amdhsa_exception_fp_ieee_div_zero 0
		.amdhsa_exception_fp_ieee_overflow 0
		.amdhsa_exception_fp_ieee_underflow 0
		.amdhsa_exception_fp_ieee_inexact 0
		.amdhsa_exception_int_div_zero 0
	.end_amdhsa_kernel
	.section	.text._ZL30rocblas_trsm_small_left_deviceILi4ELi4ELb1E19rocblas_complex_numIdES1_PKPKS1_PKPS1_Ev13rocblas_fill_18rocblas_operation_17rocblas_diagonal_iiT3_T4_lilT5_lili,"axG",@progbits,_ZL30rocblas_trsm_small_left_deviceILi4ELi4ELb1E19rocblas_complex_numIdES1_PKPKS1_PKPS1_Ev13rocblas_fill_18rocblas_operation_17rocblas_diagonal_iiT3_T4_lilT5_lili,comdat
.Lfunc_end202:
	.size	_ZL30rocblas_trsm_small_left_deviceILi4ELi4ELb1E19rocblas_complex_numIdES1_PKPKS1_PKPS1_Ev13rocblas_fill_18rocblas_operation_17rocblas_diagonal_iiT3_T4_lilT5_lili, .Lfunc_end202-_ZL30rocblas_trsm_small_left_deviceILi4ELi4ELb1E19rocblas_complex_numIdES1_PKPKS1_PKPS1_Ev13rocblas_fill_18rocblas_operation_17rocblas_diagonal_iiT3_T4_lilT5_lili
                                        ; -- End function
	.set _ZL30rocblas_trsm_small_left_deviceILi4ELi4ELb1E19rocblas_complex_numIdES1_PKPKS1_PKPS1_Ev13rocblas_fill_18rocblas_operation_17rocblas_diagonal_iiT3_T4_lilT5_lili.num_vgpr, 32
	.set _ZL30rocblas_trsm_small_left_deviceILi4ELi4ELb1E19rocblas_complex_numIdES1_PKPKS1_PKPS1_Ev13rocblas_fill_18rocblas_operation_17rocblas_diagonal_iiT3_T4_lilT5_lili.num_agpr, 0
	.set _ZL30rocblas_trsm_small_left_deviceILi4ELi4ELb1E19rocblas_complex_numIdES1_PKPKS1_PKPS1_Ev13rocblas_fill_18rocblas_operation_17rocblas_diagonal_iiT3_T4_lilT5_lili.numbered_sgpr, 42
	.set _ZL30rocblas_trsm_small_left_deviceILi4ELi4ELb1E19rocblas_complex_numIdES1_PKPKS1_PKPS1_Ev13rocblas_fill_18rocblas_operation_17rocblas_diagonal_iiT3_T4_lilT5_lili.num_named_barrier, 0
	.set _ZL30rocblas_trsm_small_left_deviceILi4ELi4ELb1E19rocblas_complex_numIdES1_PKPKS1_PKPS1_Ev13rocblas_fill_18rocblas_operation_17rocblas_diagonal_iiT3_T4_lilT5_lili.private_seg_size, 0
	.set _ZL30rocblas_trsm_small_left_deviceILi4ELi4ELb1E19rocblas_complex_numIdES1_PKPKS1_PKPS1_Ev13rocblas_fill_18rocblas_operation_17rocblas_diagonal_iiT3_T4_lilT5_lili.uses_vcc, 1
	.set _ZL30rocblas_trsm_small_left_deviceILi4ELi4ELb1E19rocblas_complex_numIdES1_PKPKS1_PKPS1_Ev13rocblas_fill_18rocblas_operation_17rocblas_diagonal_iiT3_T4_lilT5_lili.uses_flat_scratch, 0
	.set _ZL30rocblas_trsm_small_left_deviceILi4ELi4ELb1E19rocblas_complex_numIdES1_PKPKS1_PKPS1_Ev13rocblas_fill_18rocblas_operation_17rocblas_diagonal_iiT3_T4_lilT5_lili.has_dyn_sized_stack, 0
	.set _ZL30rocblas_trsm_small_left_deviceILi4ELi4ELb1E19rocblas_complex_numIdES1_PKPKS1_PKPS1_Ev13rocblas_fill_18rocblas_operation_17rocblas_diagonal_iiT3_T4_lilT5_lili.has_recursion, 0
	.set _ZL30rocblas_trsm_small_left_deviceILi4ELi4ELb1E19rocblas_complex_numIdES1_PKPKS1_PKPS1_Ev13rocblas_fill_18rocblas_operation_17rocblas_diagonal_iiT3_T4_lilT5_lili.has_indirect_call, 0
	.section	.AMDGPU.csdata,"",@progbits
; Kernel info:
; codeLenInByte = 3076
; TotalNumSgprs: 44
; NumVgprs: 32
; ScratchSize: 0
; MemoryBound: 0
; FloatMode: 240
; IeeeMode: 1
; LDSByteSize: 512 bytes/workgroup (compile time only)
; SGPRBlocks: 0
; VGPRBlocks: 3
; NumSGPRsForWavesPerEU: 44
; NumVGPRsForWavesPerEU: 32
; Occupancy: 16
; WaveLimiterHint : 1
; COMPUTE_PGM_RSRC2:SCRATCH_EN: 0
; COMPUTE_PGM_RSRC2:USER_SGPR: 4
; COMPUTE_PGM_RSRC2:TRAP_HANDLER: 0
; COMPUTE_PGM_RSRC2:TGID_X_EN: 1
; COMPUTE_PGM_RSRC2:TGID_Y_EN: 0
; COMPUTE_PGM_RSRC2:TGID_Z_EN: 1
; COMPUTE_PGM_RSRC2:TIDIG_COMP_CNT: 2
	.section	.text._ZL31rocblas_trsm_small_right_deviceI19rocblas_complex_numIdES1_PKPKS1_PKPS1_Li4EEv13rocblas_fill_18rocblas_operation_17rocblas_diagonal_iiT0_T1_lilT2_lili,"axG",@progbits,_ZL31rocblas_trsm_small_right_deviceI19rocblas_complex_numIdES1_PKPKS1_PKPS1_Li4EEv13rocblas_fill_18rocblas_operation_17rocblas_diagonal_iiT0_T1_lilT2_lili,comdat
	.globl	_ZL31rocblas_trsm_small_right_deviceI19rocblas_complex_numIdES1_PKPKS1_PKPS1_Li4EEv13rocblas_fill_18rocblas_operation_17rocblas_diagonal_iiT0_T1_lilT2_lili ; -- Begin function _ZL31rocblas_trsm_small_right_deviceI19rocblas_complex_numIdES1_PKPKS1_PKPS1_Li4EEv13rocblas_fill_18rocblas_operation_17rocblas_diagonal_iiT0_T1_lilT2_lili
	.p2align	8
	.type	_ZL31rocblas_trsm_small_right_deviceI19rocblas_complex_numIdES1_PKPKS1_PKPS1_Li4EEv13rocblas_fill_18rocblas_operation_17rocblas_diagonal_iiT0_T1_lilT2_lili,@function
_ZL31rocblas_trsm_small_right_deviceI19rocblas_complex_numIdES1_PKPKS1_PKPS1_Li4EEv13rocblas_fill_18rocblas_operation_17rocblas_diagonal_iiT0_T1_lilT2_lili: ; @_ZL31rocblas_trsm_small_right_deviceI19rocblas_complex_numIdES1_PKPKS1_PKPS1_Li4EEv13rocblas_fill_18rocblas_operation_17rocblas_diagonal_iiT0_T1_lilT2_lili
; %bb.0:
	s_load_b32 s26, s[0:1], 0x68
	s_lshr_b32 s2, ttmp7, 16
	s_wait_kmcnt 0x0
	s_cmp_ge_u32 s2, s26
	s_cbranch_scc1 .LBB203_131
; %bb.1:
	s_clause 0x6
	s_load_b32 s22, s[0:1], 0x38
	s_load_b32 s24, s[0:1], 0x58
	s_load_b128 s[16:19], s[0:1], 0x0
	s_load_b32 s27, s[0:1], 0x10
	s_load_b32 s3, s[0:1], 0x70
	s_load_b128 s[12:15], s[0:1], 0x48
	s_load_b256 s[4:11], s[0:1], 0x18
	s_mov_b32 s20, ttmp9
	v_lshlrev_b32_e32 v29, 4, v0
	v_dual_mov_b32 v1, 0 :: v_dual_lshlrev_b32 v2, 6, v0
	s_delay_alu instid0(VALU_DEP_1)
	v_dual_mov_b32 v2, 0x3ff00000 :: v_dual_add_nc_u32 v41, v29, v2
	v_or_b32_e32 v30, 0x100, v29
	s_wait_kmcnt 0x0
	s_ashr_i32 s23, s22, 31
	s_ashr_i32 s25, s24, 31
	s_cmp_lg_u32 s16, 0x7a
	s_cselect_b32 s31, -1, 0
	s_cmp_eq_u32 s17, 0x71
	s_cselect_b32 s0, -1, 0
	s_min_i32 s28, s27, 4
	s_lshl_b32 s1, ttmp9, 2
	s_add_co_i32 s3, s3, -1
	s_add_co_i32 s29, s28, -1
	s_sub_co_i32 s1, s19, s1
	s_cmp_ge_u32 ttmp9, s3
	s_mul_i32 s38, s29, 0x50
	s_cselect_b32 s1, s1, 4
	s_ashr_i32 s21, ttmp9, 31
	v_cmp_gt_i32_e32 vcc_lo, s1, v0
	s_lshl_b64 s[20:21], s[20:21], 6
	s_cmp_eq_u32 s18, 0x84
	s_mov_b32 s3, 0
	s_cselect_b32 s30, -1, 0
	s_cmp_gt_i32 s27, 0
	s_cselect_b32 s18, -1, 0
	s_cmp_lg_u32 s17, 0x6f
	s_cselect_b32 s17, -1, 0
	s_cmp_lg_u32 s16, 0x79
	s_cselect_b32 s1, -1, 0
	s_or_b32 s31, s31, s17
	s_wait_alu 0xfffe
	s_or_b32 s33, s1, s17
	s_cmp_gt_i32 s27, 3
	v_cndmask_b32_e64 v31, 0, 1, s1
	s_cselect_b32 s34, -1, 0
	s_lshl_b64 s[10:11], s[10:11], 4
	s_lshl_b32 s16, s29, 6
	v_add_co_u32 v3, s10, s10, v29
	s_add_co_i32 s17, s28, -2
	v_add_nc_u32_e32 v32, s16, v30
	s_lshl_b32 s16, s29, 4
	s_wait_alu 0xf1ff
	v_add_co_ci_u32_e64 v36, null, s11, 0, s10
	s_lshl_b64 s[10:11], s[14:15], 4
	s_lshl_b32 s36, s17, 6
	s_wait_alu 0xfffe
	s_sub_co_i32 s43, s38, s16
	s_lshl_b32 s39, s17, 4
	s_add_nc_u64 s[16:17], s[20:21], s[10:11]
	s_lshl_b32 s58, s28, 6
	v_or_b32_e32 v37, 8, v3
	s_wait_alu 0xfffe
	v_add_co_u32 v3, s16, s16, v29
	v_or_b32_e32 v4, s58, v29
	s_and_b32 s35, vcc_lo, s18
	s_add_co_i32 s18, s28, -3
	s_add_co_i32 s19, s28, -4
	s_add_co_i32 s42, s38, 0xffffffb0
	s_lshl_b32 s37, s18, 6
	s_lshl_b32 s57, s19, 6
	;; [unrolled: 1-line block ×3, first 2 shown]
	s_sub_co_i32 s45, s42, s39
	s_lshl_b32 s18, s28, 4
	v_cmp_gt_i32_e64 s1, s28, v0
	v_add_nc_u32_e32 v33, s36, v30
	v_add_nc_u32_e32 v34, s37, v30
	;; [unrolled: 1-line block ×3, first 2 shown]
	s_wait_alu 0xf1ff
	v_add_co_ci_u32_e64 v38, null, s17, 0, s16
	v_or_b32_e32 v39, 8, v3
	v_add_nc_u32_e32 v40, 0xc0, v4
	v_lshlrev_b32_e32 v0, 4, v0
	s_add_co_i32 s44, s45, s41
	s_add_co_i32 s45, s45, s18
	s_lshl_b32 s19, s19, 4
	s_add_co_i32 s40, s43, s39
	s_add_co_i32 s43, s43, s41
	;; [unrolled: 1-line block ×3, first 2 shown]
	s_sub_co_i32 s47, s45, 64
	s_add_co_i32 s48, s45, 0xffffff80
	s_add_co_i32 s49, s38, 0xffffff10
	s_add_co_i32 s50, s28, -5
	s_add_co_i32 s51, s45, -16
	s_add_co_i32 s52, s45, 0xffffffb0
	s_add_co_i32 s53, s45, 0xffffffa0
	;; [unrolled: 1-line block ×5, first 2 shown]
	s_lshl_b64 s[14:15], s[22:23], 4
	s_lshl_b64 s[16:17], s[24:25], 4
	s_sub_co_i32 s22, s58, 64
	s_add_co_i32 s23, s18, -16
	s_add_co_i32 s24, s57, s19
	s_branch .LBB203_3
.LBB203_2:                              ;   in Loop: Header=BB203_3 Depth=1
	s_wait_alu 0xfffe
	s_or_b32 exec_lo, exec_lo, s18
	s_add_co_i32 s2, s2, 0x10000
	s_delay_alu instid0(SALU_CYCLE_1)
	s_cmp_lt_u32 s2, s26
	s_cbranch_scc0 .LBB203_131
.LBB203_3:                              ; =>This Loop Header: Depth=1
                                        ;     Child Loop BB203_5 Depth 2
                                        ;     Child Loop BB203_10 Depth 2
	;; [unrolled: 1-line block ×3, first 2 shown]
                                        ;       Child Loop BB203_36 Depth 3
                                        ;     Child Loop BB203_64 Depth 2
                                        ;       Child Loop BB203_65 Depth 3
                                        ;     Child Loop BB203_93 Depth 2
	;; [unrolled: 2-line block ×4, first 2 shown]
	s_lshl_b64 s[18:19], s[2:3], 3
	s_wait_alu 0xfffe
	s_add_nc_u64 s[58:59], s[12:13], s[18:19]
	global_load_b64 v[27:28], v1, s[58:59]
	s_and_saveexec_b32 s25, s1
	s_cbranch_execz .LBB203_8
; %bb.4:                                ;   in Loop: Header=BB203_3 Depth=1
	s_add_nc_u64 s[18:19], s[8:9], s[18:19]
	v_mov_b32_e32 v5, v29
	global_load_b64 v[3:4], v1, s[18:19]
	s_mov_b32 s18, s28
	s_wait_loadcnt 0x0
	v_add_co_u32 v3, vcc_lo, v3, v37
	s_wait_alu 0xfffd
	v_add_co_ci_u32_e64 v4, null, v4, v36, vcc_lo
.LBB203_5:                              ;   Parent Loop BB203_3 Depth=1
                                        ; =>  This Inner Loop Header: Depth=2
	flat_load_b128 v[6:9], v[3:4] offset:-8
	v_add_co_u32 v3, vcc_lo, v3, s14
	s_wait_alu 0xfffd
	v_add_co_ci_u32_e64 v4, null, s15, v4, vcc_lo
	s_wait_alu 0xfffe
	s_add_co_i32 s18, s18, -1
	s_wait_alu 0xfffe
	s_cmp_eq_u32 s18, 0
	s_wait_loadcnt_dscnt 0x0
	v_xor_b32_e32 v10, 0x80000000, v9
	s_delay_alu instid0(VALU_DEP_1)
	v_cndmask_b32_e64 v9, v9, v10, s0
	ds_store_b128 v5, v[6:9]
	v_add_nc_u32_e32 v5, 64, v5
	s_cbranch_scc0 .LBB203_5
; %bb.6:                                ;   in Loop: Header=BB203_3 Depth=1
	s_and_b32 vcc_lo, exec_lo, s30
	s_wait_alu 0xfffe
	s_cbranch_vccz .LBB203_8
; %bb.7:                                ;   in Loop: Header=BB203_3 Depth=1
	v_dual_mov_b32 v3, v1 :: v_dual_mov_b32 v4, v1
	ds_store_b128 v41, v[1:4]
.LBB203_8:                              ;   in Loop: Header=BB203_3 Depth=1
	s_wait_alu 0xfffe
	s_or_b32 exec_lo, exec_lo, s25
	s_and_saveexec_b32 s18, s35
	s_cbranch_execz .LBB203_11
; %bb.9:                                ;   in Loop: Header=BB203_3 Depth=1
	s_wait_loadcnt 0x0
	v_add_co_u32 v3, vcc_lo, v27, v39
	s_wait_alu 0xfffd
	v_add_co_ci_u32_e64 v4, null, v28, v38, vcc_lo
	v_mov_b32_e32 v5, v30
	s_mov_b32 s19, s27
.LBB203_10:                             ;   Parent Loop BB203_3 Depth=1
                                        ; =>  This Inner Loop Header: Depth=2
	flat_load_b128 v[6:9], v[3:4] offset:-8
	s_wait_alu 0xfffe
	v_add_co_u32 v3, vcc_lo, v3, s16
	s_wait_alu 0xfffd
	v_add_co_ci_u32_e64 v4, null, s17, v4, vcc_lo
	s_add_co_i32 s19, s19, -1
	s_wait_alu 0xfffe
	s_cmp_lg_u32 s19, 0
	s_wait_loadcnt_dscnt 0x0
	v_mul_f64_e32 v[10:11], s[6:7], v[8:9]
	v_mul_f64_e32 v[12:13], s[4:5], v[8:9]
	s_delay_alu instid0(VALU_DEP_2) | instskip(NEXT) | instid1(VALU_DEP_2)
	v_fma_f64 v[8:9], s[4:5], v[6:7], -v[10:11]
	v_fma_f64 v[10:11], s[6:7], v[6:7], v[12:13]
	ds_store_b128 v5, v[8:11]
	v_add_nc_u32_e32 v5, 64, v5
	s_cbranch_scc1 .LBB203_10
.LBB203_11:                             ;   in Loop: Header=BB203_3 Depth=1
	s_wait_alu 0xfffe
	s_or_b32 exec_lo, exec_lo, s18
	s_delay_alu instid0(SALU_CYCLE_1)
	s_and_b32 vcc_lo, exec_lo, s33
	s_mov_b32 s18, -1
	; wave barrier
	s_wait_loadcnt_dscnt 0x0
	global_inv scope:SCOPE_SE
	s_wait_alu 0xfffe
	s_cbranch_vccz .LBB203_100
; %bb.12:                               ;   in Loop: Header=BB203_3 Depth=1
	s_and_b32 vcc_lo, exec_lo, s31
	s_wait_alu 0xfffe
	s_cbranch_vccz .LBB203_71
; %bb.13:                               ;   in Loop: Header=BB203_3 Depth=1
	v_cmp_ne_u32_e32 vcc_lo, 1, v31
	s_cbranch_vccnz .LBB203_42
; %bb.14:                               ;   in Loop: Header=BB203_3 Depth=1
	s_and_not1_b32 vcc_lo, exec_lo, s34
	s_mov_b32 s18, 0
	s_wait_alu 0xfffe
	s_cbranch_vccnz .LBB203_32
; %bb.15:                               ;   in Loop: Header=BB203_3 Depth=1
	ds_load_b128 v[23:26], v1
	ds_load_b128 v[19:22], v30
	ds_load_b128 v[15:18], v30 offset:64
	ds_load_b128 v[11:14], v30 offset:128
	;; [unrolled: 1-line block ×3, first 2 shown]
                                        ; implicit-def: $vgpr9_vgpr10
	s_wait_dscnt 0x4
	v_cmp_ngt_f64_e64 s18, |v[23:24]|, |v[25:26]|
	s_and_b32 vcc_lo, exec_lo, s18
	s_mov_b32 s18, -1
	s_wait_alu 0xfffe
	s_cbranch_vccz .LBB203_17
; %bb.16:                               ;   in Loop: Header=BB203_3 Depth=1
	v_div_scale_f64 v[7:8], null, v[25:26], v[25:26], v[23:24]
	v_div_scale_f64 v[44:45], vcc_lo, v[23:24], v[25:26], v[23:24]
	s_mov_b32 s18, 0
	v_rcp_f64_e32 v[9:10], v[7:8]
	s_delay_alu instid0(TRANS32_DEP_1) | instskip(NEXT) | instid1(VALU_DEP_1)
	v_fma_f64 v[42:43], -v[7:8], v[9:10], 1.0
	v_fma_f64 v[9:10], v[9:10], v[42:43], v[9:10]
	s_delay_alu instid0(VALU_DEP_1) | instskip(NEXT) | instid1(VALU_DEP_1)
	v_fma_f64 v[42:43], -v[7:8], v[9:10], 1.0
	v_fma_f64 v[9:10], v[9:10], v[42:43], v[9:10]
	s_delay_alu instid0(VALU_DEP_1) | instskip(NEXT) | instid1(VALU_DEP_1)
	v_mul_f64_e32 v[42:43], v[44:45], v[9:10]
	v_fma_f64 v[7:8], -v[7:8], v[42:43], v[44:45]
	s_wait_alu 0xfffd
	s_delay_alu instid0(VALU_DEP_1) | instskip(NEXT) | instid1(VALU_DEP_1)
	v_div_fmas_f64 v[7:8], v[7:8], v[9:10], v[42:43]
	v_div_fixup_f64 v[7:8], v[7:8], v[25:26], v[23:24]
	s_delay_alu instid0(VALU_DEP_1) | instskip(NEXT) | instid1(VALU_DEP_1)
	v_fma_f64 v[9:10], v[23:24], v[7:8], v[25:26]
	v_div_scale_f64 v[42:43], null, v[9:10], v[9:10], 1.0
	v_div_scale_f64 v[48:49], vcc_lo, 1.0, v[9:10], 1.0
	s_delay_alu instid0(VALU_DEP_2) | instskip(NEXT) | instid1(TRANS32_DEP_1)
	v_rcp_f64_e32 v[44:45], v[42:43]
	v_fma_f64 v[46:47], -v[42:43], v[44:45], 1.0
	s_delay_alu instid0(VALU_DEP_1) | instskip(NEXT) | instid1(VALU_DEP_1)
	v_fma_f64 v[44:45], v[44:45], v[46:47], v[44:45]
	v_fma_f64 v[46:47], -v[42:43], v[44:45], 1.0
	s_delay_alu instid0(VALU_DEP_1) | instskip(NEXT) | instid1(VALU_DEP_1)
	v_fma_f64 v[44:45], v[44:45], v[46:47], v[44:45]
	v_mul_f64_e32 v[46:47], v[48:49], v[44:45]
	s_delay_alu instid0(VALU_DEP_1) | instskip(SKIP_1) | instid1(VALU_DEP_1)
	v_fma_f64 v[42:43], -v[42:43], v[46:47], v[48:49]
	s_wait_alu 0xfffd
	v_div_fmas_f64 v[42:43], v[42:43], v[44:45], v[46:47]
	s_wait_dscnt 0x3
	v_fma_f64 v[44:45], v[19:20], v[7:8], v[21:22]
	s_delay_alu instid0(VALU_DEP_2) | instskip(SKIP_1) | instid1(VALU_DEP_2)
	v_div_fixup_f64 v[9:10], v[42:43], v[9:10], 1.0
	v_fma_f64 v[42:43], v[21:22], v[7:8], -v[19:20]
	v_mul_f64_e32 v[7:8], v[44:45], v[9:10]
	s_delay_alu instid0(VALU_DEP_2)
	v_mul_f64_e32 v[9:10], v[42:43], v[9:10]
.LBB203_17:                             ;   in Loop: Header=BB203_3 Depth=1
	s_wait_alu 0xfffe
	s_and_not1_b32 vcc_lo, exec_lo, s18
	s_wait_alu 0xfffe
	s_cbranch_vccnz .LBB203_19
; %bb.18:                               ;   in Loop: Header=BB203_3 Depth=1
	v_div_scale_f64 v[7:8], null, v[23:24], v[23:24], v[25:26]
	v_div_scale_f64 v[44:45], vcc_lo, v[25:26], v[23:24], v[25:26]
	s_delay_alu instid0(VALU_DEP_2) | instskip(NEXT) | instid1(TRANS32_DEP_1)
	v_rcp_f64_e32 v[9:10], v[7:8]
	v_fma_f64 v[42:43], -v[7:8], v[9:10], 1.0
	s_delay_alu instid0(VALU_DEP_1) | instskip(NEXT) | instid1(VALU_DEP_1)
	v_fma_f64 v[9:10], v[9:10], v[42:43], v[9:10]
	v_fma_f64 v[42:43], -v[7:8], v[9:10], 1.0
	s_delay_alu instid0(VALU_DEP_1) | instskip(NEXT) | instid1(VALU_DEP_1)
	v_fma_f64 v[9:10], v[9:10], v[42:43], v[9:10]
	v_mul_f64_e32 v[42:43], v[44:45], v[9:10]
	s_delay_alu instid0(VALU_DEP_1) | instskip(SKIP_1) | instid1(VALU_DEP_1)
	v_fma_f64 v[7:8], -v[7:8], v[42:43], v[44:45]
	s_wait_alu 0xfffd
	v_div_fmas_f64 v[7:8], v[7:8], v[9:10], v[42:43]
	s_delay_alu instid0(VALU_DEP_1) | instskip(NEXT) | instid1(VALU_DEP_1)
	v_div_fixup_f64 v[7:8], v[7:8], v[23:24], v[25:26]
	v_fma_f64 v[9:10], v[25:26], v[7:8], v[23:24]
	s_delay_alu instid0(VALU_DEP_1) | instskip(SKIP_1) | instid1(VALU_DEP_2)
	v_div_scale_f64 v[23:24], null, v[9:10], v[9:10], 1.0
	v_div_scale_f64 v[44:45], vcc_lo, 1.0, v[9:10], 1.0
	v_rcp_f64_e32 v[25:26], v[23:24]
	s_delay_alu instid0(TRANS32_DEP_1) | instskip(NEXT) | instid1(VALU_DEP_1)
	v_fma_f64 v[42:43], -v[23:24], v[25:26], 1.0
	v_fma_f64 v[25:26], v[25:26], v[42:43], v[25:26]
	s_delay_alu instid0(VALU_DEP_1) | instskip(NEXT) | instid1(VALU_DEP_1)
	v_fma_f64 v[42:43], -v[23:24], v[25:26], 1.0
	v_fma_f64 v[25:26], v[25:26], v[42:43], v[25:26]
	s_delay_alu instid0(VALU_DEP_1) | instskip(NEXT) | instid1(VALU_DEP_1)
	v_mul_f64_e32 v[42:43], v[44:45], v[25:26]
	v_fma_f64 v[23:24], -v[23:24], v[42:43], v[44:45]
	s_wait_alu 0xfffd
	s_delay_alu instid0(VALU_DEP_1) | instskip(SKIP_3) | instid1(VALU_DEP_3)
	v_div_fmas_f64 v[23:24], v[23:24], v[25:26], v[42:43]
	s_wait_dscnt 0x3
	v_fma_f64 v[25:26], v[21:22], v[7:8], v[19:20]
	v_fma_f64 v[19:20], -v[19:20], v[7:8], v[21:22]
	v_div_fixup_f64 v[9:10], v[23:24], v[9:10], 1.0
	s_delay_alu instid0(VALU_DEP_1) | instskip(NEXT) | instid1(VALU_DEP_3)
	v_mul_f64_e32 v[7:8], v[25:26], v[9:10]
	v_mul_f64_e32 v[9:10], v[19:20], v[9:10]
.LBB203_19:                             ;   in Loop: Header=BB203_3 Depth=1
	ds_load_b128 v[23:26], v1 offset:16
	s_wait_dscnt 0x4
	ds_load_b128 v[19:22], v1 offset:80
	ds_store_b128 v30, v[7:10]
	s_wait_dscnt 0x2
	v_mul_f64_e32 v[42:43], v[9:10], v[25:26]
	v_mul_f64_e32 v[25:26], v[7:8], v[25:26]
	s_wait_dscnt 0x1
	v_cmp_ngt_f64_e64 s18, |v[19:20]|, |v[21:22]|
	s_delay_alu instid0(VALU_DEP_3) | instskip(NEXT) | instid1(VALU_DEP_3)
	v_fma_f64 v[42:43], v[7:8], v[23:24], -v[42:43]
	v_fma_f64 v[25:26], v[9:10], v[23:24], v[25:26]
	s_and_b32 vcc_lo, exec_lo, s18
	s_mov_b32 s18, -1
	s_delay_alu instid0(VALU_DEP_2) | instskip(NEXT) | instid1(VALU_DEP_2)
	v_add_f64_e64 v[23:24], v[15:16], -v[42:43]
	v_add_f64_e64 v[25:26], v[17:18], -v[25:26]
                                        ; implicit-def: $vgpr17_vgpr18
	s_wait_alu 0xfffe
	s_cbranch_vccz .LBB203_21
; %bb.20:                               ;   in Loop: Header=BB203_3 Depth=1
	v_div_scale_f64 v[15:16], null, v[21:22], v[21:22], v[19:20]
	v_div_scale_f64 v[44:45], vcc_lo, v[19:20], v[21:22], v[19:20]
	s_mov_b32 s18, 0
	v_rcp_f64_e32 v[17:18], v[15:16]
	s_delay_alu instid0(TRANS32_DEP_1) | instskip(NEXT) | instid1(VALU_DEP_1)
	v_fma_f64 v[42:43], -v[15:16], v[17:18], 1.0
	v_fma_f64 v[17:18], v[17:18], v[42:43], v[17:18]
	s_delay_alu instid0(VALU_DEP_1) | instskip(NEXT) | instid1(VALU_DEP_1)
	v_fma_f64 v[42:43], -v[15:16], v[17:18], 1.0
	v_fma_f64 v[17:18], v[17:18], v[42:43], v[17:18]
	s_delay_alu instid0(VALU_DEP_1) | instskip(NEXT) | instid1(VALU_DEP_1)
	v_mul_f64_e32 v[42:43], v[44:45], v[17:18]
	v_fma_f64 v[15:16], -v[15:16], v[42:43], v[44:45]
	s_wait_alu 0xfffd
	s_delay_alu instid0(VALU_DEP_1) | instskip(NEXT) | instid1(VALU_DEP_1)
	v_div_fmas_f64 v[15:16], v[15:16], v[17:18], v[42:43]
	v_div_fixup_f64 v[15:16], v[15:16], v[21:22], v[19:20]
	s_delay_alu instid0(VALU_DEP_1) | instskip(NEXT) | instid1(VALU_DEP_1)
	v_fma_f64 v[17:18], v[19:20], v[15:16], v[21:22]
	v_div_scale_f64 v[42:43], null, v[17:18], v[17:18], 1.0
	v_div_scale_f64 v[48:49], vcc_lo, 1.0, v[17:18], 1.0
	s_delay_alu instid0(VALU_DEP_2) | instskip(NEXT) | instid1(TRANS32_DEP_1)
	v_rcp_f64_e32 v[44:45], v[42:43]
	v_fma_f64 v[46:47], -v[42:43], v[44:45], 1.0
	s_delay_alu instid0(VALU_DEP_1) | instskip(NEXT) | instid1(VALU_DEP_1)
	v_fma_f64 v[44:45], v[44:45], v[46:47], v[44:45]
	v_fma_f64 v[46:47], -v[42:43], v[44:45], 1.0
	s_delay_alu instid0(VALU_DEP_1) | instskip(NEXT) | instid1(VALU_DEP_1)
	v_fma_f64 v[44:45], v[44:45], v[46:47], v[44:45]
	v_mul_f64_e32 v[46:47], v[48:49], v[44:45]
	s_delay_alu instid0(VALU_DEP_1) | instskip(SKIP_1) | instid1(VALU_DEP_1)
	v_fma_f64 v[42:43], -v[42:43], v[46:47], v[48:49]
	s_wait_alu 0xfffd
	v_div_fmas_f64 v[42:43], v[42:43], v[44:45], v[46:47]
	v_fma_f64 v[44:45], v[15:16], v[23:24], v[25:26]
	s_delay_alu instid0(VALU_DEP_2) | instskip(SKIP_1) | instid1(VALU_DEP_2)
	v_div_fixup_f64 v[17:18], v[42:43], v[17:18], 1.0
	v_fma_f64 v[42:43], v[15:16], v[25:26], -v[23:24]
	v_mul_f64_e32 v[15:16], v[44:45], v[17:18]
	s_delay_alu instid0(VALU_DEP_2)
	v_mul_f64_e32 v[17:18], v[42:43], v[17:18]
.LBB203_21:                             ;   in Loop: Header=BB203_3 Depth=1
	s_wait_alu 0xfffe
	s_and_not1_b32 vcc_lo, exec_lo, s18
	s_wait_alu 0xfffe
	s_cbranch_vccnz .LBB203_23
; %bb.22:                               ;   in Loop: Header=BB203_3 Depth=1
	v_div_scale_f64 v[15:16], null, v[19:20], v[19:20], v[21:22]
	v_div_scale_f64 v[44:45], vcc_lo, v[21:22], v[19:20], v[21:22]
	s_delay_alu instid0(VALU_DEP_2) | instskip(NEXT) | instid1(TRANS32_DEP_1)
	v_rcp_f64_e32 v[17:18], v[15:16]
	v_fma_f64 v[42:43], -v[15:16], v[17:18], 1.0
	s_delay_alu instid0(VALU_DEP_1) | instskip(NEXT) | instid1(VALU_DEP_1)
	v_fma_f64 v[17:18], v[17:18], v[42:43], v[17:18]
	v_fma_f64 v[42:43], -v[15:16], v[17:18], 1.0
	s_delay_alu instid0(VALU_DEP_1) | instskip(NEXT) | instid1(VALU_DEP_1)
	v_fma_f64 v[17:18], v[17:18], v[42:43], v[17:18]
	v_mul_f64_e32 v[42:43], v[44:45], v[17:18]
	s_delay_alu instid0(VALU_DEP_1) | instskip(SKIP_1) | instid1(VALU_DEP_1)
	v_fma_f64 v[15:16], -v[15:16], v[42:43], v[44:45]
	s_wait_alu 0xfffd
	v_div_fmas_f64 v[15:16], v[15:16], v[17:18], v[42:43]
	s_delay_alu instid0(VALU_DEP_1) | instskip(NEXT) | instid1(VALU_DEP_1)
	v_div_fixup_f64 v[15:16], v[15:16], v[19:20], v[21:22]
	v_fma_f64 v[17:18], v[21:22], v[15:16], v[19:20]
	s_delay_alu instid0(VALU_DEP_1) | instskip(SKIP_1) | instid1(VALU_DEP_2)
	v_div_scale_f64 v[19:20], null, v[17:18], v[17:18], 1.0
	v_div_scale_f64 v[44:45], vcc_lo, 1.0, v[17:18], 1.0
	v_rcp_f64_e32 v[21:22], v[19:20]
	s_delay_alu instid0(TRANS32_DEP_1) | instskip(NEXT) | instid1(VALU_DEP_1)
	v_fma_f64 v[42:43], -v[19:20], v[21:22], 1.0
	v_fma_f64 v[21:22], v[21:22], v[42:43], v[21:22]
	s_delay_alu instid0(VALU_DEP_1) | instskip(NEXT) | instid1(VALU_DEP_1)
	v_fma_f64 v[42:43], -v[19:20], v[21:22], 1.0
	v_fma_f64 v[21:22], v[21:22], v[42:43], v[21:22]
	s_delay_alu instid0(VALU_DEP_1) | instskip(NEXT) | instid1(VALU_DEP_1)
	v_mul_f64_e32 v[42:43], v[44:45], v[21:22]
	v_fma_f64 v[19:20], -v[19:20], v[42:43], v[44:45]
	s_wait_alu 0xfffd
	s_delay_alu instid0(VALU_DEP_1) | instskip(SKIP_1) | instid1(VALU_DEP_2)
	v_div_fmas_f64 v[19:20], v[19:20], v[21:22], v[42:43]
	v_fma_f64 v[21:22], v[15:16], v[25:26], v[23:24]
	v_div_fixup_f64 v[17:18], v[19:20], v[17:18], 1.0
	v_fma_f64 v[19:20], -v[15:16], v[23:24], v[25:26]
	s_delay_alu instid0(VALU_DEP_2) | instskip(NEXT) | instid1(VALU_DEP_2)
	v_mul_f64_e32 v[15:16], v[21:22], v[17:18]
	v_mul_f64_e32 v[17:18], v[19:20], v[17:18]
.LBB203_23:                             ;   in Loop: Header=BB203_3 Depth=1
	ds_load_b128 v[19:22], v1 offset:32
	ds_load_b128 v[23:26], v1 offset:96
	ds_store_b128 v30, v[15:18] offset:64
	s_wait_dscnt 0x2
	v_mul_f64_e32 v[42:43], v[9:10], v[21:22]
	v_mul_f64_e32 v[21:22], v[7:8], v[21:22]
	s_wait_dscnt 0x1
	v_mul_f64_e32 v[44:45], v[17:18], v[25:26]
	v_mul_f64_e32 v[25:26], v[15:16], v[25:26]
	s_delay_alu instid0(VALU_DEP_4) | instskip(NEXT) | instid1(VALU_DEP_4)
	v_fma_f64 v[42:43], v[7:8], v[19:20], -v[42:43]
	v_fma_f64 v[19:20], v[9:10], v[19:20], v[21:22]
	s_delay_alu instid0(VALU_DEP_4) | instskip(NEXT) | instid1(VALU_DEP_4)
	v_fma_f64 v[44:45], v[15:16], v[23:24], -v[44:45]
	v_fma_f64 v[25:26], v[17:18], v[23:24], v[25:26]
	s_delay_alu instid0(VALU_DEP_4) | instskip(NEXT) | instid1(VALU_DEP_4)
	v_add_f64_e64 v[11:12], v[11:12], -v[42:43]
	v_add_f64_e64 v[13:14], v[13:14], -v[19:20]
	ds_load_b128 v[19:22], v1 offset:160
	s_wait_dscnt 0x0
	v_cmp_ngt_f64_e64 s18, |v[19:20]|, |v[21:22]|
	v_add_f64_e64 v[23:24], v[11:12], -v[44:45]
	v_add_f64_e64 v[25:26], v[13:14], -v[25:26]
                                        ; implicit-def: $vgpr13_vgpr14
	s_and_b32 vcc_lo, exec_lo, s18
	s_mov_b32 s18, -1
	s_wait_alu 0xfffe
	s_cbranch_vccz .LBB203_25
; %bb.24:                               ;   in Loop: Header=BB203_3 Depth=1
	v_div_scale_f64 v[11:12], null, v[21:22], v[21:22], v[19:20]
	v_div_scale_f64 v[44:45], vcc_lo, v[19:20], v[21:22], v[19:20]
	s_mov_b32 s18, 0
	v_rcp_f64_e32 v[13:14], v[11:12]
	s_delay_alu instid0(TRANS32_DEP_1) | instskip(NEXT) | instid1(VALU_DEP_1)
	v_fma_f64 v[42:43], -v[11:12], v[13:14], 1.0
	v_fma_f64 v[13:14], v[13:14], v[42:43], v[13:14]
	s_delay_alu instid0(VALU_DEP_1) | instskip(NEXT) | instid1(VALU_DEP_1)
	v_fma_f64 v[42:43], -v[11:12], v[13:14], 1.0
	v_fma_f64 v[13:14], v[13:14], v[42:43], v[13:14]
	s_delay_alu instid0(VALU_DEP_1) | instskip(NEXT) | instid1(VALU_DEP_1)
	v_mul_f64_e32 v[42:43], v[44:45], v[13:14]
	v_fma_f64 v[11:12], -v[11:12], v[42:43], v[44:45]
	s_wait_alu 0xfffd
	s_delay_alu instid0(VALU_DEP_1) | instskip(NEXT) | instid1(VALU_DEP_1)
	v_div_fmas_f64 v[11:12], v[11:12], v[13:14], v[42:43]
	v_div_fixup_f64 v[11:12], v[11:12], v[21:22], v[19:20]
	s_delay_alu instid0(VALU_DEP_1) | instskip(NEXT) | instid1(VALU_DEP_1)
	v_fma_f64 v[13:14], v[19:20], v[11:12], v[21:22]
	v_div_scale_f64 v[42:43], null, v[13:14], v[13:14], 1.0
	v_div_scale_f64 v[48:49], vcc_lo, 1.0, v[13:14], 1.0
	s_delay_alu instid0(VALU_DEP_2) | instskip(NEXT) | instid1(TRANS32_DEP_1)
	v_rcp_f64_e32 v[44:45], v[42:43]
	v_fma_f64 v[46:47], -v[42:43], v[44:45], 1.0
	s_delay_alu instid0(VALU_DEP_1) | instskip(NEXT) | instid1(VALU_DEP_1)
	v_fma_f64 v[44:45], v[44:45], v[46:47], v[44:45]
	v_fma_f64 v[46:47], -v[42:43], v[44:45], 1.0
	s_delay_alu instid0(VALU_DEP_1) | instskip(NEXT) | instid1(VALU_DEP_1)
	v_fma_f64 v[44:45], v[44:45], v[46:47], v[44:45]
	v_mul_f64_e32 v[46:47], v[48:49], v[44:45]
	s_delay_alu instid0(VALU_DEP_1) | instskip(SKIP_1) | instid1(VALU_DEP_1)
	v_fma_f64 v[42:43], -v[42:43], v[46:47], v[48:49]
	s_wait_alu 0xfffd
	v_div_fmas_f64 v[42:43], v[42:43], v[44:45], v[46:47]
	v_fma_f64 v[44:45], v[11:12], v[23:24], v[25:26]
	s_delay_alu instid0(VALU_DEP_2) | instskip(SKIP_1) | instid1(VALU_DEP_2)
	v_div_fixup_f64 v[13:14], v[42:43], v[13:14], 1.0
	v_fma_f64 v[42:43], v[11:12], v[25:26], -v[23:24]
	v_mul_f64_e32 v[11:12], v[44:45], v[13:14]
	s_delay_alu instid0(VALU_DEP_2)
	v_mul_f64_e32 v[13:14], v[42:43], v[13:14]
.LBB203_25:                             ;   in Loop: Header=BB203_3 Depth=1
	s_wait_alu 0xfffe
	s_and_not1_b32 vcc_lo, exec_lo, s18
	s_wait_alu 0xfffe
	s_cbranch_vccnz .LBB203_27
; %bb.26:                               ;   in Loop: Header=BB203_3 Depth=1
	v_div_scale_f64 v[11:12], null, v[19:20], v[19:20], v[21:22]
	v_div_scale_f64 v[44:45], vcc_lo, v[21:22], v[19:20], v[21:22]
	s_delay_alu instid0(VALU_DEP_2) | instskip(NEXT) | instid1(TRANS32_DEP_1)
	v_rcp_f64_e32 v[13:14], v[11:12]
	v_fma_f64 v[42:43], -v[11:12], v[13:14], 1.0
	s_delay_alu instid0(VALU_DEP_1) | instskip(NEXT) | instid1(VALU_DEP_1)
	v_fma_f64 v[13:14], v[13:14], v[42:43], v[13:14]
	v_fma_f64 v[42:43], -v[11:12], v[13:14], 1.0
	s_delay_alu instid0(VALU_DEP_1) | instskip(NEXT) | instid1(VALU_DEP_1)
	v_fma_f64 v[13:14], v[13:14], v[42:43], v[13:14]
	v_mul_f64_e32 v[42:43], v[44:45], v[13:14]
	s_delay_alu instid0(VALU_DEP_1) | instskip(SKIP_1) | instid1(VALU_DEP_1)
	v_fma_f64 v[11:12], -v[11:12], v[42:43], v[44:45]
	s_wait_alu 0xfffd
	v_div_fmas_f64 v[11:12], v[11:12], v[13:14], v[42:43]
	s_delay_alu instid0(VALU_DEP_1) | instskip(NEXT) | instid1(VALU_DEP_1)
	v_div_fixup_f64 v[11:12], v[11:12], v[19:20], v[21:22]
	v_fma_f64 v[13:14], v[21:22], v[11:12], v[19:20]
	s_delay_alu instid0(VALU_DEP_1) | instskip(SKIP_1) | instid1(VALU_DEP_2)
	v_div_scale_f64 v[19:20], null, v[13:14], v[13:14], 1.0
	v_div_scale_f64 v[44:45], vcc_lo, 1.0, v[13:14], 1.0
	v_rcp_f64_e32 v[21:22], v[19:20]
	s_delay_alu instid0(TRANS32_DEP_1) | instskip(NEXT) | instid1(VALU_DEP_1)
	v_fma_f64 v[42:43], -v[19:20], v[21:22], 1.0
	v_fma_f64 v[21:22], v[21:22], v[42:43], v[21:22]
	s_delay_alu instid0(VALU_DEP_1) | instskip(NEXT) | instid1(VALU_DEP_1)
	v_fma_f64 v[42:43], -v[19:20], v[21:22], 1.0
	v_fma_f64 v[21:22], v[21:22], v[42:43], v[21:22]
	s_delay_alu instid0(VALU_DEP_1) | instskip(NEXT) | instid1(VALU_DEP_1)
	v_mul_f64_e32 v[42:43], v[44:45], v[21:22]
	v_fma_f64 v[19:20], -v[19:20], v[42:43], v[44:45]
	s_wait_alu 0xfffd
	s_delay_alu instid0(VALU_DEP_1) | instskip(SKIP_1) | instid1(VALU_DEP_2)
	v_div_fmas_f64 v[19:20], v[19:20], v[21:22], v[42:43]
	v_fma_f64 v[21:22], v[11:12], v[25:26], v[23:24]
	v_div_fixup_f64 v[13:14], v[19:20], v[13:14], 1.0
	v_fma_f64 v[19:20], -v[11:12], v[23:24], v[25:26]
	s_delay_alu instid0(VALU_DEP_2) | instskip(NEXT) | instid1(VALU_DEP_2)
	v_mul_f64_e32 v[11:12], v[21:22], v[13:14]
	v_mul_f64_e32 v[13:14], v[19:20], v[13:14]
.LBB203_27:                             ;   in Loop: Header=BB203_3 Depth=1
	ds_load_b128 v[19:22], v1 offset:48
	ds_load_b128 v[23:26], v1 offset:112
	s_wait_dscnt 0x1
	v_mul_f64_e32 v[42:43], v[9:10], v[21:22]
	v_mul_f64_e32 v[21:22], v[7:8], v[21:22]
	s_wait_dscnt 0x0
	v_mul_f64_e32 v[44:45], v[17:18], v[25:26]
	v_mul_f64_e32 v[25:26], v[15:16], v[25:26]
	s_delay_alu instid0(VALU_DEP_4) | instskip(NEXT) | instid1(VALU_DEP_4)
	v_fma_f64 v[42:43], v[7:8], v[19:20], -v[42:43]
	v_fma_f64 v[46:47], v[9:10], v[19:20], v[21:22]
	ds_load_b128 v[19:22], v1 offset:176
	ds_load_b128 v[7:10], v1 offset:240
	v_fma_f64 v[15:16], v[15:16], v[23:24], -v[44:45]
	v_fma_f64 v[17:18], v[17:18], v[23:24], v[25:26]
	ds_store_b128 v30, v[11:14] offset:128
	s_wait_dscnt 0x2
	v_mul_f64_e32 v[48:49], v[13:14], v[21:22]
	v_mul_f64_e32 v[21:22], v[11:12], v[21:22]
	s_wait_dscnt 0x1
	v_cmp_ngt_f64_e64 s18, |v[7:8]|, |v[9:10]|
	v_add_f64_e64 v[3:4], v[3:4], -v[42:43]
	v_add_f64_e64 v[5:6], v[5:6], -v[46:47]
	v_fma_f64 v[23:24], v[11:12], v[19:20], -v[48:49]
	v_fma_f64 v[19:20], v[13:14], v[19:20], v[21:22]
	s_and_b32 vcc_lo, exec_lo, s18
	s_mov_b32 s18, -1
	s_delay_alu instid0(VALU_DEP_4) | instskip(NEXT) | instid1(VALU_DEP_4)
	v_add_f64_e64 v[3:4], v[3:4], -v[15:16]
	v_add_f64_e64 v[5:6], v[5:6], -v[17:18]
	s_delay_alu instid0(VALU_DEP_2) | instskip(NEXT) | instid1(VALU_DEP_2)
	v_add_f64_e64 v[15:16], v[3:4], -v[23:24]
	v_add_f64_e64 v[17:18], v[5:6], -v[19:20]
                                        ; implicit-def: $vgpr5_vgpr6
	s_wait_alu 0xfffe
	s_cbranch_vccz .LBB203_29
; %bb.28:                               ;   in Loop: Header=BB203_3 Depth=1
	v_div_scale_f64 v[3:4], null, v[9:10], v[9:10], v[7:8]
	v_div_scale_f64 v[13:14], vcc_lo, v[7:8], v[9:10], v[7:8]
	s_mov_b32 s18, 0
	v_rcp_f64_e32 v[5:6], v[3:4]
	s_delay_alu instid0(TRANS32_DEP_1) | instskip(NEXT) | instid1(VALU_DEP_1)
	v_fma_f64 v[11:12], -v[3:4], v[5:6], 1.0
	v_fma_f64 v[5:6], v[5:6], v[11:12], v[5:6]
	s_delay_alu instid0(VALU_DEP_1) | instskip(NEXT) | instid1(VALU_DEP_1)
	v_fma_f64 v[11:12], -v[3:4], v[5:6], 1.0
	v_fma_f64 v[5:6], v[5:6], v[11:12], v[5:6]
	s_delay_alu instid0(VALU_DEP_1) | instskip(NEXT) | instid1(VALU_DEP_1)
	v_mul_f64_e32 v[11:12], v[13:14], v[5:6]
	v_fma_f64 v[3:4], -v[3:4], v[11:12], v[13:14]
	s_wait_alu 0xfffd
	s_delay_alu instid0(VALU_DEP_1) | instskip(NEXT) | instid1(VALU_DEP_1)
	v_div_fmas_f64 v[3:4], v[3:4], v[5:6], v[11:12]
	v_div_fixup_f64 v[3:4], v[3:4], v[9:10], v[7:8]
	s_delay_alu instid0(VALU_DEP_1) | instskip(NEXT) | instid1(VALU_DEP_1)
	v_fma_f64 v[5:6], v[7:8], v[3:4], v[9:10]
	v_div_scale_f64 v[11:12], null, v[5:6], v[5:6], 1.0
	v_div_scale_f64 v[21:22], vcc_lo, 1.0, v[5:6], 1.0
	s_delay_alu instid0(VALU_DEP_2) | instskip(NEXT) | instid1(TRANS32_DEP_1)
	v_rcp_f64_e32 v[13:14], v[11:12]
	v_fma_f64 v[19:20], -v[11:12], v[13:14], 1.0
	s_delay_alu instid0(VALU_DEP_1) | instskip(NEXT) | instid1(VALU_DEP_1)
	v_fma_f64 v[13:14], v[13:14], v[19:20], v[13:14]
	v_fma_f64 v[19:20], -v[11:12], v[13:14], 1.0
	s_delay_alu instid0(VALU_DEP_1) | instskip(NEXT) | instid1(VALU_DEP_1)
	v_fma_f64 v[13:14], v[13:14], v[19:20], v[13:14]
	v_mul_f64_e32 v[19:20], v[21:22], v[13:14]
	s_delay_alu instid0(VALU_DEP_1) | instskip(SKIP_1) | instid1(VALU_DEP_1)
	v_fma_f64 v[11:12], -v[11:12], v[19:20], v[21:22]
	s_wait_alu 0xfffd
	v_div_fmas_f64 v[11:12], v[11:12], v[13:14], v[19:20]
	v_fma_f64 v[13:14], v[3:4], v[15:16], v[17:18]
	s_delay_alu instid0(VALU_DEP_2) | instskip(SKIP_1) | instid1(VALU_DEP_2)
	v_div_fixup_f64 v[5:6], v[11:12], v[5:6], 1.0
	v_fma_f64 v[11:12], v[3:4], v[17:18], -v[15:16]
	v_mul_f64_e32 v[3:4], v[13:14], v[5:6]
	s_delay_alu instid0(VALU_DEP_2)
	v_mul_f64_e32 v[5:6], v[11:12], v[5:6]
.LBB203_29:                             ;   in Loop: Header=BB203_3 Depth=1
	s_wait_alu 0xfffe
	s_and_not1_b32 vcc_lo, exec_lo, s18
	s_wait_alu 0xfffe
	s_cbranch_vccnz .LBB203_31
; %bb.30:                               ;   in Loop: Header=BB203_3 Depth=1
	v_div_scale_f64 v[3:4], null, v[7:8], v[7:8], v[9:10]
	v_div_scale_f64 v[13:14], vcc_lo, v[9:10], v[7:8], v[9:10]
	s_delay_alu instid0(VALU_DEP_2) | instskip(NEXT) | instid1(TRANS32_DEP_1)
	v_rcp_f64_e32 v[5:6], v[3:4]
	v_fma_f64 v[11:12], -v[3:4], v[5:6], 1.0
	s_delay_alu instid0(VALU_DEP_1) | instskip(NEXT) | instid1(VALU_DEP_1)
	v_fma_f64 v[5:6], v[5:6], v[11:12], v[5:6]
	v_fma_f64 v[11:12], -v[3:4], v[5:6], 1.0
	s_delay_alu instid0(VALU_DEP_1) | instskip(NEXT) | instid1(VALU_DEP_1)
	v_fma_f64 v[5:6], v[5:6], v[11:12], v[5:6]
	v_mul_f64_e32 v[11:12], v[13:14], v[5:6]
	s_delay_alu instid0(VALU_DEP_1) | instskip(SKIP_1) | instid1(VALU_DEP_1)
	v_fma_f64 v[3:4], -v[3:4], v[11:12], v[13:14]
	s_wait_alu 0xfffd
	v_div_fmas_f64 v[3:4], v[3:4], v[5:6], v[11:12]
	s_delay_alu instid0(VALU_DEP_1) | instskip(NEXT) | instid1(VALU_DEP_1)
	v_div_fixup_f64 v[3:4], v[3:4], v[7:8], v[9:10]
	v_fma_f64 v[5:6], v[9:10], v[3:4], v[7:8]
	s_delay_alu instid0(VALU_DEP_1) | instskip(SKIP_1) | instid1(VALU_DEP_2)
	v_div_scale_f64 v[7:8], null, v[5:6], v[5:6], 1.0
	v_div_scale_f64 v[13:14], vcc_lo, 1.0, v[5:6], 1.0
	v_rcp_f64_e32 v[9:10], v[7:8]
	s_delay_alu instid0(TRANS32_DEP_1) | instskip(NEXT) | instid1(VALU_DEP_1)
	v_fma_f64 v[11:12], -v[7:8], v[9:10], 1.0
	v_fma_f64 v[9:10], v[9:10], v[11:12], v[9:10]
	s_delay_alu instid0(VALU_DEP_1) | instskip(NEXT) | instid1(VALU_DEP_1)
	v_fma_f64 v[11:12], -v[7:8], v[9:10], 1.0
	v_fma_f64 v[9:10], v[9:10], v[11:12], v[9:10]
	s_delay_alu instid0(VALU_DEP_1) | instskip(NEXT) | instid1(VALU_DEP_1)
	v_mul_f64_e32 v[11:12], v[13:14], v[9:10]
	v_fma_f64 v[7:8], -v[7:8], v[11:12], v[13:14]
	s_wait_alu 0xfffd
	s_delay_alu instid0(VALU_DEP_1) | instskip(SKIP_1) | instid1(VALU_DEP_2)
	v_div_fmas_f64 v[7:8], v[7:8], v[9:10], v[11:12]
	v_fma_f64 v[9:10], v[3:4], v[17:18], v[15:16]
	v_div_fixup_f64 v[5:6], v[7:8], v[5:6], 1.0
	v_fma_f64 v[7:8], -v[3:4], v[15:16], v[17:18]
	s_delay_alu instid0(VALU_DEP_2) | instskip(NEXT) | instid1(VALU_DEP_2)
	v_mul_f64_e32 v[3:4], v[9:10], v[5:6]
	v_mul_f64_e32 v[5:6], v[7:8], v[5:6]
.LBB203_31:                             ;   in Loop: Header=BB203_3 Depth=1
	s_mov_b32 s18, 4
	ds_store_b128 v30, v[3:6] offset:192
.LBB203_32:                             ;   in Loop: Header=BB203_3 Depth=1
	s_wait_alu 0xfffe
	s_cmp_ge_i32 s18, s28
	s_cbranch_scc1 .LBB203_41
; %bb.33:                               ;   in Loop: Header=BB203_3 Depth=1
	s_lshl_b32 s19, s18, 4
	s_branch .LBB203_35
.LBB203_34:                             ;   in Loop: Header=BB203_35 Depth=2
	s_add_co_i32 s18, s18, 1
	s_add_co_i32 s19, s19, 16
	s_wait_alu 0xfffe
	s_cmp_ge_i32 s18, s28
	ds_store_b128 v15, v[11:14]
	s_cbranch_scc1 .LBB203_41
.LBB203_35:                             ;   Parent Loop BB203_3 Depth=1
                                        ; =>  This Loop Header: Depth=2
                                        ;       Child Loop BB203_36 Depth 3
	s_lshl_b32 s25, s18, 6
	v_mov_b32_e32 v7, v30
	s_wait_alu 0xfffe
	v_add_nc_u32_e32 v15, s25, v30
	s_cmp_eq_u32 s18, 0
	s_mov_b32 s57, s19
	s_mov_b32 s58, s18
	ds_load_b128 v[3:6], v15
	s_cbranch_scc1 .LBB203_37
.LBB203_36:                             ;   Parent Loop BB203_3 Depth=1
                                        ;     Parent Loop BB203_35 Depth=2
                                        ; =>    This Inner Loop Header: Depth=3
	s_wait_alu 0xfffe
	v_mov_b32_e32 v12, s57
	s_add_co_i32 s58, s58, -1
	s_add_co_i32 s57, s57, 64
	s_wait_alu 0xfffe
	s_cmp_eq_u32 s58, 0
	ds_load_b128 v[8:11], v7
	ds_load_b128 v[16:19], v12
	v_add_nc_u32_e32 v7, 64, v7
	s_wait_dscnt 0x0
	v_mul_f64_e32 v[12:13], v[18:19], v[10:11]
	v_mul_f64_e32 v[10:11], v[16:17], v[10:11]
	s_delay_alu instid0(VALU_DEP_2) | instskip(NEXT) | instid1(VALU_DEP_2)
	v_fma_f64 v[12:13], v[16:17], v[8:9], -v[12:13]
	v_fma_f64 v[8:9], v[18:19], v[8:9], v[10:11]
	s_delay_alu instid0(VALU_DEP_2) | instskip(NEXT) | instid1(VALU_DEP_2)
	v_add_f64_e64 v[3:4], v[3:4], -v[12:13]
	v_add_f64_e64 v[5:6], v[5:6], -v[8:9]
	s_cbranch_scc0 .LBB203_36
.LBB203_37:                             ;   in Loop: Header=BB203_35 Depth=2
	s_lshl_b32 s57, s18, 4
                                        ; implicit-def: $vgpr11_vgpr12
	s_wait_alu 0xfffe
	s_add_co_i32 s25, s57, s25
	s_wait_alu 0xfffe
	v_mov_b32_e32 v7, s25
	ds_load_b128 v[7:10], v7
	s_wait_dscnt 0x0
	v_cmp_ngt_f64_e64 s25, |v[7:8]|, |v[9:10]|
	s_and_b32 vcc_lo, exec_lo, s25
	s_mov_b32 s25, -1
	s_wait_alu 0xfffe
	s_cbranch_vccz .LBB203_39
; %bb.38:                               ;   in Loop: Header=BB203_35 Depth=2
	v_div_scale_f64 v[11:12], null, v[9:10], v[9:10], v[7:8]
	v_div_scale_f64 v[18:19], vcc_lo, v[7:8], v[9:10], v[7:8]
	s_mov_b32 s25, 0
	v_rcp_f64_e32 v[13:14], v[11:12]
	s_delay_alu instid0(TRANS32_DEP_1) | instskip(NEXT) | instid1(VALU_DEP_1)
	v_fma_f64 v[16:17], -v[11:12], v[13:14], 1.0
	v_fma_f64 v[13:14], v[13:14], v[16:17], v[13:14]
	s_delay_alu instid0(VALU_DEP_1) | instskip(NEXT) | instid1(VALU_DEP_1)
	v_fma_f64 v[16:17], -v[11:12], v[13:14], 1.0
	v_fma_f64 v[13:14], v[13:14], v[16:17], v[13:14]
	s_delay_alu instid0(VALU_DEP_1) | instskip(NEXT) | instid1(VALU_DEP_1)
	v_mul_f64_e32 v[16:17], v[18:19], v[13:14]
	v_fma_f64 v[11:12], -v[11:12], v[16:17], v[18:19]
	s_wait_alu 0xfffd
	s_delay_alu instid0(VALU_DEP_1) | instskip(NEXT) | instid1(VALU_DEP_1)
	v_div_fmas_f64 v[11:12], v[11:12], v[13:14], v[16:17]
	v_div_fixup_f64 v[11:12], v[11:12], v[9:10], v[7:8]
	s_delay_alu instid0(VALU_DEP_1) | instskip(NEXT) | instid1(VALU_DEP_1)
	v_fma_f64 v[13:14], v[7:8], v[11:12], v[9:10]
	v_div_scale_f64 v[16:17], null, v[13:14], v[13:14], 1.0
	v_div_scale_f64 v[22:23], vcc_lo, 1.0, v[13:14], 1.0
	s_delay_alu instid0(VALU_DEP_2) | instskip(NEXT) | instid1(TRANS32_DEP_1)
	v_rcp_f64_e32 v[18:19], v[16:17]
	v_fma_f64 v[20:21], -v[16:17], v[18:19], 1.0
	s_delay_alu instid0(VALU_DEP_1) | instskip(NEXT) | instid1(VALU_DEP_1)
	v_fma_f64 v[18:19], v[18:19], v[20:21], v[18:19]
	v_fma_f64 v[20:21], -v[16:17], v[18:19], 1.0
	s_delay_alu instid0(VALU_DEP_1) | instskip(NEXT) | instid1(VALU_DEP_1)
	v_fma_f64 v[18:19], v[18:19], v[20:21], v[18:19]
	v_mul_f64_e32 v[20:21], v[22:23], v[18:19]
	s_delay_alu instid0(VALU_DEP_1) | instskip(SKIP_1) | instid1(VALU_DEP_1)
	v_fma_f64 v[16:17], -v[16:17], v[20:21], v[22:23]
	s_wait_alu 0xfffd
	v_div_fmas_f64 v[16:17], v[16:17], v[18:19], v[20:21]
	v_fma_f64 v[18:19], v[3:4], v[11:12], v[5:6]
	s_delay_alu instid0(VALU_DEP_2) | instskip(SKIP_1) | instid1(VALU_DEP_2)
	v_div_fixup_f64 v[13:14], v[16:17], v[13:14], 1.0
	v_fma_f64 v[16:17], v[5:6], v[11:12], -v[3:4]
	v_mul_f64_e32 v[11:12], v[18:19], v[13:14]
	s_delay_alu instid0(VALU_DEP_2)
	v_mul_f64_e32 v[13:14], v[16:17], v[13:14]
.LBB203_39:                             ;   in Loop: Header=BB203_35 Depth=2
	s_wait_alu 0xfffe
	s_and_not1_b32 vcc_lo, exec_lo, s25
	s_wait_alu 0xfffe
	s_cbranch_vccnz .LBB203_34
; %bb.40:                               ;   in Loop: Header=BB203_35 Depth=2
	v_div_scale_f64 v[11:12], null, v[7:8], v[7:8], v[9:10]
	v_div_scale_f64 v[18:19], vcc_lo, v[9:10], v[7:8], v[9:10]
	s_delay_alu instid0(VALU_DEP_2) | instskip(NEXT) | instid1(TRANS32_DEP_1)
	v_rcp_f64_e32 v[13:14], v[11:12]
	v_fma_f64 v[16:17], -v[11:12], v[13:14], 1.0
	s_delay_alu instid0(VALU_DEP_1) | instskip(NEXT) | instid1(VALU_DEP_1)
	v_fma_f64 v[13:14], v[13:14], v[16:17], v[13:14]
	v_fma_f64 v[16:17], -v[11:12], v[13:14], 1.0
	s_delay_alu instid0(VALU_DEP_1) | instskip(NEXT) | instid1(VALU_DEP_1)
	v_fma_f64 v[13:14], v[13:14], v[16:17], v[13:14]
	v_mul_f64_e32 v[16:17], v[18:19], v[13:14]
	s_delay_alu instid0(VALU_DEP_1) | instskip(SKIP_1) | instid1(VALU_DEP_1)
	v_fma_f64 v[11:12], -v[11:12], v[16:17], v[18:19]
	s_wait_alu 0xfffd
	v_div_fmas_f64 v[11:12], v[11:12], v[13:14], v[16:17]
	s_delay_alu instid0(VALU_DEP_1) | instskip(NEXT) | instid1(VALU_DEP_1)
	v_div_fixup_f64 v[11:12], v[11:12], v[7:8], v[9:10]
	v_fma_f64 v[7:8], v[9:10], v[11:12], v[7:8]
	s_delay_alu instid0(VALU_DEP_1) | instskip(SKIP_1) | instid1(VALU_DEP_2)
	v_div_scale_f64 v[9:10], null, v[7:8], v[7:8], 1.0
	v_div_scale_f64 v[18:19], vcc_lo, 1.0, v[7:8], 1.0
	v_rcp_f64_e32 v[13:14], v[9:10]
	s_delay_alu instid0(TRANS32_DEP_1) | instskip(NEXT) | instid1(VALU_DEP_1)
	v_fma_f64 v[16:17], -v[9:10], v[13:14], 1.0
	v_fma_f64 v[13:14], v[13:14], v[16:17], v[13:14]
	s_delay_alu instid0(VALU_DEP_1) | instskip(NEXT) | instid1(VALU_DEP_1)
	v_fma_f64 v[16:17], -v[9:10], v[13:14], 1.0
	v_fma_f64 v[13:14], v[13:14], v[16:17], v[13:14]
	s_delay_alu instid0(VALU_DEP_1) | instskip(NEXT) | instid1(VALU_DEP_1)
	v_mul_f64_e32 v[16:17], v[18:19], v[13:14]
	v_fma_f64 v[9:10], -v[9:10], v[16:17], v[18:19]
	s_wait_alu 0xfffd
	s_delay_alu instid0(VALU_DEP_1) | instskip(SKIP_2) | instid1(VALU_DEP_3)
	v_div_fmas_f64 v[9:10], v[9:10], v[13:14], v[16:17]
	v_fma_f64 v[13:14], v[5:6], v[11:12], v[3:4]
	v_fma_f64 v[3:4], -v[3:4], v[11:12], v[5:6]
	v_div_fixup_f64 v[7:8], v[9:10], v[7:8], 1.0
	s_delay_alu instid0(VALU_DEP_1) | instskip(NEXT) | instid1(VALU_DEP_3)
	v_mul_f64_e32 v[11:12], v[13:14], v[7:8]
	v_mul_f64_e32 v[13:14], v[3:4], v[7:8]
	s_branch .LBB203_34
.LBB203_41:                             ;   in Loop: Header=BB203_3 Depth=1
	s_mov_b32 s18, 0
.LBB203_42:                             ;   in Loop: Header=BB203_3 Depth=1
	s_wait_alu 0xfffe
	s_and_b32 vcc_lo, exec_lo, s18
	s_wait_alu 0xfffe
	s_cbranch_vccz .LBB203_70
; %bb.43:                               ;   in Loop: Header=BB203_3 Depth=1
	s_and_b32 vcc_lo, exec_lo, s34
	s_mov_b32 s18, s29
	s_wait_alu 0xfffe
	s_cbranch_vccz .LBB203_61
; %bb.44:                               ;   in Loop: Header=BB203_3 Depth=1
	v_mov_b32_e32 v3, s38
                                        ; implicit-def: $vgpr9_vgpr10
	ds_load_b128 v[23:26], v3
	ds_load_b128 v[19:22], v32
	;; [unrolled: 1-line block ×5, first 2 shown]
	s_wait_dscnt 0x4
	v_cmp_ngt_f64_e64 s18, |v[23:24]|, |v[25:26]|
	s_and_b32 vcc_lo, exec_lo, s18
	s_mov_b32 s18, -1
	s_wait_alu 0xfffe
	s_cbranch_vccz .LBB203_46
; %bb.45:                               ;   in Loop: Header=BB203_3 Depth=1
	v_div_scale_f64 v[7:8], null, v[25:26], v[25:26], v[23:24]
	v_div_scale_f64 v[44:45], vcc_lo, v[23:24], v[25:26], v[23:24]
	s_mov_b32 s18, 0
	v_rcp_f64_e32 v[9:10], v[7:8]
	s_delay_alu instid0(TRANS32_DEP_1) | instskip(NEXT) | instid1(VALU_DEP_1)
	v_fma_f64 v[42:43], -v[7:8], v[9:10], 1.0
	v_fma_f64 v[9:10], v[9:10], v[42:43], v[9:10]
	s_delay_alu instid0(VALU_DEP_1) | instskip(NEXT) | instid1(VALU_DEP_1)
	v_fma_f64 v[42:43], -v[7:8], v[9:10], 1.0
	v_fma_f64 v[9:10], v[9:10], v[42:43], v[9:10]
	s_delay_alu instid0(VALU_DEP_1) | instskip(NEXT) | instid1(VALU_DEP_1)
	v_mul_f64_e32 v[42:43], v[44:45], v[9:10]
	v_fma_f64 v[7:8], -v[7:8], v[42:43], v[44:45]
	s_wait_alu 0xfffd
	s_delay_alu instid0(VALU_DEP_1) | instskip(NEXT) | instid1(VALU_DEP_1)
	v_div_fmas_f64 v[7:8], v[7:8], v[9:10], v[42:43]
	v_div_fixup_f64 v[7:8], v[7:8], v[25:26], v[23:24]
	s_delay_alu instid0(VALU_DEP_1) | instskip(NEXT) | instid1(VALU_DEP_1)
	v_fma_f64 v[9:10], v[23:24], v[7:8], v[25:26]
	v_div_scale_f64 v[42:43], null, v[9:10], v[9:10], 1.0
	v_div_scale_f64 v[48:49], vcc_lo, 1.0, v[9:10], 1.0
	s_delay_alu instid0(VALU_DEP_2) | instskip(NEXT) | instid1(TRANS32_DEP_1)
	v_rcp_f64_e32 v[44:45], v[42:43]
	v_fma_f64 v[46:47], -v[42:43], v[44:45], 1.0
	s_delay_alu instid0(VALU_DEP_1) | instskip(NEXT) | instid1(VALU_DEP_1)
	v_fma_f64 v[44:45], v[44:45], v[46:47], v[44:45]
	v_fma_f64 v[46:47], -v[42:43], v[44:45], 1.0
	s_delay_alu instid0(VALU_DEP_1) | instskip(NEXT) | instid1(VALU_DEP_1)
	v_fma_f64 v[44:45], v[44:45], v[46:47], v[44:45]
	v_mul_f64_e32 v[46:47], v[48:49], v[44:45]
	s_delay_alu instid0(VALU_DEP_1) | instskip(SKIP_1) | instid1(VALU_DEP_1)
	v_fma_f64 v[42:43], -v[42:43], v[46:47], v[48:49]
	s_wait_alu 0xfffd
	v_div_fmas_f64 v[42:43], v[42:43], v[44:45], v[46:47]
	s_wait_dscnt 0x3
	v_fma_f64 v[44:45], v[19:20], v[7:8], v[21:22]
	s_delay_alu instid0(VALU_DEP_2) | instskip(SKIP_1) | instid1(VALU_DEP_2)
	v_div_fixup_f64 v[9:10], v[42:43], v[9:10], 1.0
	v_fma_f64 v[42:43], v[21:22], v[7:8], -v[19:20]
	v_mul_f64_e32 v[7:8], v[44:45], v[9:10]
	s_delay_alu instid0(VALU_DEP_2)
	v_mul_f64_e32 v[9:10], v[42:43], v[9:10]
.LBB203_46:                             ;   in Loop: Header=BB203_3 Depth=1
	s_wait_alu 0xfffe
	s_and_not1_b32 vcc_lo, exec_lo, s18
	s_wait_alu 0xfffe
	s_cbranch_vccnz .LBB203_48
; %bb.47:                               ;   in Loop: Header=BB203_3 Depth=1
	v_div_scale_f64 v[7:8], null, v[23:24], v[23:24], v[25:26]
	v_div_scale_f64 v[44:45], vcc_lo, v[25:26], v[23:24], v[25:26]
	s_delay_alu instid0(VALU_DEP_2) | instskip(NEXT) | instid1(TRANS32_DEP_1)
	v_rcp_f64_e32 v[9:10], v[7:8]
	v_fma_f64 v[42:43], -v[7:8], v[9:10], 1.0
	s_delay_alu instid0(VALU_DEP_1) | instskip(NEXT) | instid1(VALU_DEP_1)
	v_fma_f64 v[9:10], v[9:10], v[42:43], v[9:10]
	v_fma_f64 v[42:43], -v[7:8], v[9:10], 1.0
	s_delay_alu instid0(VALU_DEP_1) | instskip(NEXT) | instid1(VALU_DEP_1)
	v_fma_f64 v[9:10], v[9:10], v[42:43], v[9:10]
	v_mul_f64_e32 v[42:43], v[44:45], v[9:10]
	s_delay_alu instid0(VALU_DEP_1) | instskip(SKIP_1) | instid1(VALU_DEP_1)
	v_fma_f64 v[7:8], -v[7:8], v[42:43], v[44:45]
	s_wait_alu 0xfffd
	v_div_fmas_f64 v[7:8], v[7:8], v[9:10], v[42:43]
	s_delay_alu instid0(VALU_DEP_1) | instskip(NEXT) | instid1(VALU_DEP_1)
	v_div_fixup_f64 v[7:8], v[7:8], v[23:24], v[25:26]
	v_fma_f64 v[9:10], v[25:26], v[7:8], v[23:24]
	s_delay_alu instid0(VALU_DEP_1) | instskip(SKIP_1) | instid1(VALU_DEP_2)
	v_div_scale_f64 v[23:24], null, v[9:10], v[9:10], 1.0
	v_div_scale_f64 v[44:45], vcc_lo, 1.0, v[9:10], 1.0
	v_rcp_f64_e32 v[25:26], v[23:24]
	s_delay_alu instid0(TRANS32_DEP_1) | instskip(NEXT) | instid1(VALU_DEP_1)
	v_fma_f64 v[42:43], -v[23:24], v[25:26], 1.0
	v_fma_f64 v[25:26], v[25:26], v[42:43], v[25:26]
	s_delay_alu instid0(VALU_DEP_1) | instskip(NEXT) | instid1(VALU_DEP_1)
	v_fma_f64 v[42:43], -v[23:24], v[25:26], 1.0
	v_fma_f64 v[25:26], v[25:26], v[42:43], v[25:26]
	s_delay_alu instid0(VALU_DEP_1) | instskip(NEXT) | instid1(VALU_DEP_1)
	v_mul_f64_e32 v[42:43], v[44:45], v[25:26]
	v_fma_f64 v[23:24], -v[23:24], v[42:43], v[44:45]
	s_wait_alu 0xfffd
	s_delay_alu instid0(VALU_DEP_1) | instskip(SKIP_3) | instid1(VALU_DEP_3)
	v_div_fmas_f64 v[23:24], v[23:24], v[25:26], v[42:43]
	s_wait_dscnt 0x3
	v_fma_f64 v[25:26], v[21:22], v[7:8], v[19:20]
	v_fma_f64 v[19:20], -v[19:20], v[7:8], v[21:22]
	v_div_fixup_f64 v[9:10], v[23:24], v[9:10], 1.0
	s_delay_alu instid0(VALU_DEP_1) | instskip(NEXT) | instid1(VALU_DEP_3)
	v_mul_f64_e32 v[7:8], v[25:26], v[9:10]
	v_mul_f64_e32 v[9:10], v[19:20], v[9:10]
.LBB203_48:                             ;   in Loop: Header=BB203_3 Depth=1
	s_wait_dscnt 0x3
	v_mov_b32_e32 v19, s40
	ds_store_b128 v32, v[7:10]
	ds_load_b128 v[23:26], v19
	v_mov_b32_e32 v19, s42
	ds_load_b128 v[19:22], v19
	s_wait_dscnt 0x1
	v_mul_f64_e32 v[42:43], v[9:10], v[25:26]
	v_mul_f64_e32 v[25:26], v[7:8], v[25:26]
	s_wait_dscnt 0x0
	v_cmp_ngt_f64_e64 s18, |v[19:20]|, |v[21:22]|
	s_delay_alu instid0(VALU_DEP_3) | instskip(NEXT) | instid1(VALU_DEP_3)
	v_fma_f64 v[42:43], v[7:8], v[23:24], -v[42:43]
	v_fma_f64 v[25:26], v[9:10], v[23:24], v[25:26]
	s_and_b32 vcc_lo, exec_lo, s18
	s_mov_b32 s18, -1
	s_delay_alu instid0(VALU_DEP_2) | instskip(NEXT) | instid1(VALU_DEP_2)
	v_add_f64_e64 v[23:24], v[15:16], -v[42:43]
	v_add_f64_e64 v[25:26], v[17:18], -v[25:26]
                                        ; implicit-def: $vgpr17_vgpr18
	s_wait_alu 0xfffe
	s_cbranch_vccz .LBB203_50
; %bb.49:                               ;   in Loop: Header=BB203_3 Depth=1
	v_div_scale_f64 v[15:16], null, v[21:22], v[21:22], v[19:20]
	v_div_scale_f64 v[44:45], vcc_lo, v[19:20], v[21:22], v[19:20]
	s_mov_b32 s18, 0
	v_rcp_f64_e32 v[17:18], v[15:16]
	s_delay_alu instid0(TRANS32_DEP_1) | instskip(NEXT) | instid1(VALU_DEP_1)
	v_fma_f64 v[42:43], -v[15:16], v[17:18], 1.0
	v_fma_f64 v[17:18], v[17:18], v[42:43], v[17:18]
	s_delay_alu instid0(VALU_DEP_1) | instskip(NEXT) | instid1(VALU_DEP_1)
	v_fma_f64 v[42:43], -v[15:16], v[17:18], 1.0
	v_fma_f64 v[17:18], v[17:18], v[42:43], v[17:18]
	s_delay_alu instid0(VALU_DEP_1) | instskip(NEXT) | instid1(VALU_DEP_1)
	v_mul_f64_e32 v[42:43], v[44:45], v[17:18]
	v_fma_f64 v[15:16], -v[15:16], v[42:43], v[44:45]
	s_wait_alu 0xfffd
	s_delay_alu instid0(VALU_DEP_1) | instskip(NEXT) | instid1(VALU_DEP_1)
	v_div_fmas_f64 v[15:16], v[15:16], v[17:18], v[42:43]
	v_div_fixup_f64 v[15:16], v[15:16], v[21:22], v[19:20]
	s_delay_alu instid0(VALU_DEP_1) | instskip(NEXT) | instid1(VALU_DEP_1)
	v_fma_f64 v[17:18], v[19:20], v[15:16], v[21:22]
	v_div_scale_f64 v[42:43], null, v[17:18], v[17:18], 1.0
	v_div_scale_f64 v[48:49], vcc_lo, 1.0, v[17:18], 1.0
	s_delay_alu instid0(VALU_DEP_2) | instskip(NEXT) | instid1(TRANS32_DEP_1)
	v_rcp_f64_e32 v[44:45], v[42:43]
	v_fma_f64 v[46:47], -v[42:43], v[44:45], 1.0
	s_delay_alu instid0(VALU_DEP_1) | instskip(NEXT) | instid1(VALU_DEP_1)
	v_fma_f64 v[44:45], v[44:45], v[46:47], v[44:45]
	v_fma_f64 v[46:47], -v[42:43], v[44:45], 1.0
	s_delay_alu instid0(VALU_DEP_1) | instskip(NEXT) | instid1(VALU_DEP_1)
	v_fma_f64 v[44:45], v[44:45], v[46:47], v[44:45]
	v_mul_f64_e32 v[46:47], v[48:49], v[44:45]
	s_delay_alu instid0(VALU_DEP_1) | instskip(SKIP_1) | instid1(VALU_DEP_1)
	v_fma_f64 v[42:43], -v[42:43], v[46:47], v[48:49]
	s_wait_alu 0xfffd
	v_div_fmas_f64 v[42:43], v[42:43], v[44:45], v[46:47]
	v_fma_f64 v[44:45], v[15:16], v[23:24], v[25:26]
	s_delay_alu instid0(VALU_DEP_2) | instskip(SKIP_1) | instid1(VALU_DEP_2)
	v_div_fixup_f64 v[17:18], v[42:43], v[17:18], 1.0
	v_fma_f64 v[42:43], v[15:16], v[25:26], -v[23:24]
	v_mul_f64_e32 v[15:16], v[44:45], v[17:18]
	s_delay_alu instid0(VALU_DEP_2)
	v_mul_f64_e32 v[17:18], v[42:43], v[17:18]
.LBB203_50:                             ;   in Loop: Header=BB203_3 Depth=1
	s_wait_alu 0xfffe
	s_and_not1_b32 vcc_lo, exec_lo, s18
	s_wait_alu 0xfffe
	s_cbranch_vccnz .LBB203_52
; %bb.51:                               ;   in Loop: Header=BB203_3 Depth=1
	v_div_scale_f64 v[15:16], null, v[19:20], v[19:20], v[21:22]
	v_div_scale_f64 v[44:45], vcc_lo, v[21:22], v[19:20], v[21:22]
	s_delay_alu instid0(VALU_DEP_2) | instskip(NEXT) | instid1(TRANS32_DEP_1)
	v_rcp_f64_e32 v[17:18], v[15:16]
	v_fma_f64 v[42:43], -v[15:16], v[17:18], 1.0
	s_delay_alu instid0(VALU_DEP_1) | instskip(NEXT) | instid1(VALU_DEP_1)
	v_fma_f64 v[17:18], v[17:18], v[42:43], v[17:18]
	v_fma_f64 v[42:43], -v[15:16], v[17:18], 1.0
	s_delay_alu instid0(VALU_DEP_1) | instskip(NEXT) | instid1(VALU_DEP_1)
	v_fma_f64 v[17:18], v[17:18], v[42:43], v[17:18]
	v_mul_f64_e32 v[42:43], v[44:45], v[17:18]
	s_delay_alu instid0(VALU_DEP_1) | instskip(SKIP_1) | instid1(VALU_DEP_1)
	v_fma_f64 v[15:16], -v[15:16], v[42:43], v[44:45]
	s_wait_alu 0xfffd
	v_div_fmas_f64 v[15:16], v[15:16], v[17:18], v[42:43]
	s_delay_alu instid0(VALU_DEP_1) | instskip(NEXT) | instid1(VALU_DEP_1)
	v_div_fixup_f64 v[15:16], v[15:16], v[19:20], v[21:22]
	v_fma_f64 v[17:18], v[21:22], v[15:16], v[19:20]
	s_delay_alu instid0(VALU_DEP_1) | instskip(SKIP_1) | instid1(VALU_DEP_2)
	v_div_scale_f64 v[19:20], null, v[17:18], v[17:18], 1.0
	v_div_scale_f64 v[44:45], vcc_lo, 1.0, v[17:18], 1.0
	v_rcp_f64_e32 v[21:22], v[19:20]
	s_delay_alu instid0(TRANS32_DEP_1) | instskip(NEXT) | instid1(VALU_DEP_1)
	v_fma_f64 v[42:43], -v[19:20], v[21:22], 1.0
	v_fma_f64 v[21:22], v[21:22], v[42:43], v[21:22]
	s_delay_alu instid0(VALU_DEP_1) | instskip(NEXT) | instid1(VALU_DEP_1)
	v_fma_f64 v[42:43], -v[19:20], v[21:22], 1.0
	v_fma_f64 v[21:22], v[21:22], v[42:43], v[21:22]
	s_delay_alu instid0(VALU_DEP_1) | instskip(NEXT) | instid1(VALU_DEP_1)
	v_mul_f64_e32 v[42:43], v[44:45], v[21:22]
	v_fma_f64 v[19:20], -v[19:20], v[42:43], v[44:45]
	s_wait_alu 0xfffd
	s_delay_alu instid0(VALU_DEP_1) | instskip(SKIP_1) | instid1(VALU_DEP_2)
	v_div_fmas_f64 v[19:20], v[19:20], v[21:22], v[42:43]
	v_fma_f64 v[21:22], v[15:16], v[25:26], v[23:24]
	v_div_fixup_f64 v[17:18], v[19:20], v[17:18], 1.0
	v_fma_f64 v[19:20], -v[15:16], v[23:24], v[25:26]
	s_delay_alu instid0(VALU_DEP_2) | instskip(NEXT) | instid1(VALU_DEP_2)
	v_mul_f64_e32 v[15:16], v[21:22], v[17:18]
	v_mul_f64_e32 v[17:18], v[19:20], v[17:18]
.LBB203_52:                             ;   in Loop: Header=BB203_3 Depth=1
	v_mov_b32_e32 v19, s43
	v_mov_b32_e32 v23, s44
	ds_store_b128 v33, v[15:18]
	ds_load_b128 v[19:22], v19
	ds_load_b128 v[23:26], v23
	s_wait_dscnt 0x1
	v_mul_f64_e32 v[42:43], v[9:10], v[21:22]
	v_mul_f64_e32 v[21:22], v[7:8], v[21:22]
	s_wait_dscnt 0x0
	v_mul_f64_e32 v[44:45], v[17:18], v[25:26]
	v_mul_f64_e32 v[25:26], v[15:16], v[25:26]
	s_delay_alu instid0(VALU_DEP_4) | instskip(NEXT) | instid1(VALU_DEP_4)
	v_fma_f64 v[42:43], v[7:8], v[19:20], -v[42:43]
	v_fma_f64 v[19:20], v[9:10], v[19:20], v[21:22]
	s_delay_alu instid0(VALU_DEP_4) | instskip(NEXT) | instid1(VALU_DEP_4)
	v_fma_f64 v[44:45], v[15:16], v[23:24], -v[44:45]
	v_fma_f64 v[25:26], v[17:18], v[23:24], v[25:26]
	s_delay_alu instid0(VALU_DEP_4) | instskip(NEXT) | instid1(VALU_DEP_4)
	v_add_f64_e64 v[11:12], v[11:12], -v[42:43]
	v_add_f64_e64 v[13:14], v[13:14], -v[19:20]
	v_mov_b32_e32 v19, s46
	ds_load_b128 v[19:22], v19
	s_wait_dscnt 0x0
	v_cmp_ngt_f64_e64 s18, |v[19:20]|, |v[21:22]|
	v_add_f64_e64 v[23:24], v[11:12], -v[44:45]
	v_add_f64_e64 v[25:26], v[13:14], -v[25:26]
                                        ; implicit-def: $vgpr13_vgpr14
	s_and_b32 vcc_lo, exec_lo, s18
	s_mov_b32 s18, -1
	s_wait_alu 0xfffe
	s_cbranch_vccz .LBB203_54
; %bb.53:                               ;   in Loop: Header=BB203_3 Depth=1
	v_div_scale_f64 v[11:12], null, v[21:22], v[21:22], v[19:20]
	v_div_scale_f64 v[44:45], vcc_lo, v[19:20], v[21:22], v[19:20]
	s_mov_b32 s18, 0
	v_rcp_f64_e32 v[13:14], v[11:12]
	s_delay_alu instid0(TRANS32_DEP_1) | instskip(NEXT) | instid1(VALU_DEP_1)
	v_fma_f64 v[42:43], -v[11:12], v[13:14], 1.0
	v_fma_f64 v[13:14], v[13:14], v[42:43], v[13:14]
	s_delay_alu instid0(VALU_DEP_1) | instskip(NEXT) | instid1(VALU_DEP_1)
	v_fma_f64 v[42:43], -v[11:12], v[13:14], 1.0
	v_fma_f64 v[13:14], v[13:14], v[42:43], v[13:14]
	s_delay_alu instid0(VALU_DEP_1) | instskip(NEXT) | instid1(VALU_DEP_1)
	v_mul_f64_e32 v[42:43], v[44:45], v[13:14]
	v_fma_f64 v[11:12], -v[11:12], v[42:43], v[44:45]
	s_wait_alu 0xfffd
	s_delay_alu instid0(VALU_DEP_1) | instskip(NEXT) | instid1(VALU_DEP_1)
	v_div_fmas_f64 v[11:12], v[11:12], v[13:14], v[42:43]
	v_div_fixup_f64 v[11:12], v[11:12], v[21:22], v[19:20]
	s_delay_alu instid0(VALU_DEP_1) | instskip(NEXT) | instid1(VALU_DEP_1)
	v_fma_f64 v[13:14], v[19:20], v[11:12], v[21:22]
	v_div_scale_f64 v[42:43], null, v[13:14], v[13:14], 1.0
	v_div_scale_f64 v[48:49], vcc_lo, 1.0, v[13:14], 1.0
	s_delay_alu instid0(VALU_DEP_2) | instskip(NEXT) | instid1(TRANS32_DEP_1)
	v_rcp_f64_e32 v[44:45], v[42:43]
	v_fma_f64 v[46:47], -v[42:43], v[44:45], 1.0
	s_delay_alu instid0(VALU_DEP_1) | instskip(NEXT) | instid1(VALU_DEP_1)
	v_fma_f64 v[44:45], v[44:45], v[46:47], v[44:45]
	v_fma_f64 v[46:47], -v[42:43], v[44:45], 1.0
	s_delay_alu instid0(VALU_DEP_1) | instskip(NEXT) | instid1(VALU_DEP_1)
	v_fma_f64 v[44:45], v[44:45], v[46:47], v[44:45]
	v_mul_f64_e32 v[46:47], v[48:49], v[44:45]
	s_delay_alu instid0(VALU_DEP_1) | instskip(SKIP_1) | instid1(VALU_DEP_1)
	v_fma_f64 v[42:43], -v[42:43], v[46:47], v[48:49]
	s_wait_alu 0xfffd
	v_div_fmas_f64 v[42:43], v[42:43], v[44:45], v[46:47]
	v_fma_f64 v[44:45], v[11:12], v[23:24], v[25:26]
	s_delay_alu instid0(VALU_DEP_2) | instskip(SKIP_1) | instid1(VALU_DEP_2)
	v_div_fixup_f64 v[13:14], v[42:43], v[13:14], 1.0
	v_fma_f64 v[42:43], v[11:12], v[25:26], -v[23:24]
	v_mul_f64_e32 v[11:12], v[44:45], v[13:14]
	s_delay_alu instid0(VALU_DEP_2)
	v_mul_f64_e32 v[13:14], v[42:43], v[13:14]
.LBB203_54:                             ;   in Loop: Header=BB203_3 Depth=1
	s_wait_alu 0xfffe
	s_and_not1_b32 vcc_lo, exec_lo, s18
	s_wait_alu 0xfffe
	s_cbranch_vccnz .LBB203_56
; %bb.55:                               ;   in Loop: Header=BB203_3 Depth=1
	v_div_scale_f64 v[11:12], null, v[19:20], v[19:20], v[21:22]
	v_div_scale_f64 v[44:45], vcc_lo, v[21:22], v[19:20], v[21:22]
	s_delay_alu instid0(VALU_DEP_2) | instskip(NEXT) | instid1(TRANS32_DEP_1)
	v_rcp_f64_e32 v[13:14], v[11:12]
	v_fma_f64 v[42:43], -v[11:12], v[13:14], 1.0
	s_delay_alu instid0(VALU_DEP_1) | instskip(NEXT) | instid1(VALU_DEP_1)
	v_fma_f64 v[13:14], v[13:14], v[42:43], v[13:14]
	v_fma_f64 v[42:43], -v[11:12], v[13:14], 1.0
	s_delay_alu instid0(VALU_DEP_1) | instskip(NEXT) | instid1(VALU_DEP_1)
	v_fma_f64 v[13:14], v[13:14], v[42:43], v[13:14]
	v_mul_f64_e32 v[42:43], v[44:45], v[13:14]
	s_delay_alu instid0(VALU_DEP_1) | instskip(SKIP_1) | instid1(VALU_DEP_1)
	v_fma_f64 v[11:12], -v[11:12], v[42:43], v[44:45]
	s_wait_alu 0xfffd
	v_div_fmas_f64 v[11:12], v[11:12], v[13:14], v[42:43]
	s_delay_alu instid0(VALU_DEP_1) | instskip(NEXT) | instid1(VALU_DEP_1)
	v_div_fixup_f64 v[11:12], v[11:12], v[19:20], v[21:22]
	v_fma_f64 v[13:14], v[21:22], v[11:12], v[19:20]
	s_delay_alu instid0(VALU_DEP_1) | instskip(SKIP_1) | instid1(VALU_DEP_2)
	v_div_scale_f64 v[19:20], null, v[13:14], v[13:14], 1.0
	v_div_scale_f64 v[44:45], vcc_lo, 1.0, v[13:14], 1.0
	v_rcp_f64_e32 v[21:22], v[19:20]
	s_delay_alu instid0(TRANS32_DEP_1) | instskip(NEXT) | instid1(VALU_DEP_1)
	v_fma_f64 v[42:43], -v[19:20], v[21:22], 1.0
	v_fma_f64 v[21:22], v[21:22], v[42:43], v[21:22]
	s_delay_alu instid0(VALU_DEP_1) | instskip(NEXT) | instid1(VALU_DEP_1)
	v_fma_f64 v[42:43], -v[19:20], v[21:22], 1.0
	v_fma_f64 v[21:22], v[21:22], v[42:43], v[21:22]
	s_delay_alu instid0(VALU_DEP_1) | instskip(NEXT) | instid1(VALU_DEP_1)
	v_mul_f64_e32 v[42:43], v[44:45], v[21:22]
	v_fma_f64 v[19:20], -v[19:20], v[42:43], v[44:45]
	s_wait_alu 0xfffd
	s_delay_alu instid0(VALU_DEP_1) | instskip(SKIP_1) | instid1(VALU_DEP_2)
	v_div_fmas_f64 v[19:20], v[19:20], v[21:22], v[42:43]
	v_fma_f64 v[21:22], v[11:12], v[25:26], v[23:24]
	v_div_fixup_f64 v[13:14], v[19:20], v[13:14], 1.0
	v_fma_f64 v[19:20], -v[11:12], v[23:24], v[25:26]
	s_delay_alu instid0(VALU_DEP_2) | instskip(NEXT) | instid1(VALU_DEP_2)
	v_mul_f64_e32 v[11:12], v[21:22], v[13:14]
	v_mul_f64_e32 v[13:14], v[19:20], v[13:14]
.LBB203_56:                             ;   in Loop: Header=BB203_3 Depth=1
	v_mov_b32_e32 v19, s45
	v_mov_b32_e32 v23, s47
	ds_store_b128 v34, v[11:14]
	ds_load_b128 v[19:22], v19
	ds_load_b128 v[23:26], v23
	s_wait_dscnt 0x1
	v_mul_f64_e32 v[42:43], v[9:10], v[21:22]
	v_mul_f64_e32 v[21:22], v[7:8], v[21:22]
	s_delay_alu instid0(VALU_DEP_2) | instskip(SKIP_1) | instid1(VALU_DEP_3)
	v_fma_f64 v[42:43], v[7:8], v[19:20], -v[42:43]
	v_mov_b32_e32 v7, s48
	v_fma_f64 v[46:47], v[9:10], v[19:20], v[21:22]
	ds_load_b128 v[19:22], v7
	s_wait_dscnt 0x1
	v_mul_f64_e32 v[44:45], v[17:18], v[25:26]
	v_mul_f64_e32 v[25:26], v[15:16], v[25:26]
	v_mov_b32_e32 v7, s49
	ds_load_b128 v[7:10], v7
	s_wait_dscnt 0x1
	v_mul_f64_e32 v[48:49], v[13:14], v[21:22]
	v_mul_f64_e32 v[21:22], v[11:12], v[21:22]
	s_wait_dscnt 0x0
	v_cmp_ngt_f64_e64 s18, |v[7:8]|, |v[9:10]|
	v_add_f64_e64 v[3:4], v[3:4], -v[42:43]
	v_add_f64_e64 v[5:6], v[5:6], -v[46:47]
	v_fma_f64 v[15:16], v[15:16], v[23:24], -v[44:45]
	v_fma_f64 v[17:18], v[17:18], v[23:24], v[25:26]
	v_fma_f64 v[23:24], v[11:12], v[19:20], -v[48:49]
	v_fma_f64 v[19:20], v[13:14], v[19:20], v[21:22]
	s_and_b32 vcc_lo, exec_lo, s18
	s_mov_b32 s18, -1
	s_delay_alu instid0(VALU_DEP_4) | instskip(NEXT) | instid1(VALU_DEP_4)
	v_add_f64_e64 v[3:4], v[3:4], -v[15:16]
	v_add_f64_e64 v[5:6], v[5:6], -v[17:18]
	s_delay_alu instid0(VALU_DEP_2) | instskip(NEXT) | instid1(VALU_DEP_2)
	v_add_f64_e64 v[15:16], v[3:4], -v[23:24]
	v_add_f64_e64 v[17:18], v[5:6], -v[19:20]
                                        ; implicit-def: $vgpr5_vgpr6
	s_wait_alu 0xfffe
	s_cbranch_vccz .LBB203_58
; %bb.57:                               ;   in Loop: Header=BB203_3 Depth=1
	v_div_scale_f64 v[3:4], null, v[9:10], v[9:10], v[7:8]
	v_div_scale_f64 v[13:14], vcc_lo, v[7:8], v[9:10], v[7:8]
	s_mov_b32 s18, 0
	v_rcp_f64_e32 v[5:6], v[3:4]
	s_delay_alu instid0(TRANS32_DEP_1) | instskip(NEXT) | instid1(VALU_DEP_1)
	v_fma_f64 v[11:12], -v[3:4], v[5:6], 1.0
	v_fma_f64 v[5:6], v[5:6], v[11:12], v[5:6]
	s_delay_alu instid0(VALU_DEP_1) | instskip(NEXT) | instid1(VALU_DEP_1)
	v_fma_f64 v[11:12], -v[3:4], v[5:6], 1.0
	v_fma_f64 v[5:6], v[5:6], v[11:12], v[5:6]
	s_delay_alu instid0(VALU_DEP_1) | instskip(NEXT) | instid1(VALU_DEP_1)
	v_mul_f64_e32 v[11:12], v[13:14], v[5:6]
	v_fma_f64 v[3:4], -v[3:4], v[11:12], v[13:14]
	s_wait_alu 0xfffd
	s_delay_alu instid0(VALU_DEP_1) | instskip(NEXT) | instid1(VALU_DEP_1)
	v_div_fmas_f64 v[3:4], v[3:4], v[5:6], v[11:12]
	v_div_fixup_f64 v[3:4], v[3:4], v[9:10], v[7:8]
	s_delay_alu instid0(VALU_DEP_1) | instskip(NEXT) | instid1(VALU_DEP_1)
	v_fma_f64 v[5:6], v[7:8], v[3:4], v[9:10]
	v_div_scale_f64 v[11:12], null, v[5:6], v[5:6], 1.0
	v_div_scale_f64 v[21:22], vcc_lo, 1.0, v[5:6], 1.0
	s_delay_alu instid0(VALU_DEP_2) | instskip(NEXT) | instid1(TRANS32_DEP_1)
	v_rcp_f64_e32 v[13:14], v[11:12]
	v_fma_f64 v[19:20], -v[11:12], v[13:14], 1.0
	s_delay_alu instid0(VALU_DEP_1) | instskip(NEXT) | instid1(VALU_DEP_1)
	v_fma_f64 v[13:14], v[13:14], v[19:20], v[13:14]
	v_fma_f64 v[19:20], -v[11:12], v[13:14], 1.0
	s_delay_alu instid0(VALU_DEP_1) | instskip(NEXT) | instid1(VALU_DEP_1)
	v_fma_f64 v[13:14], v[13:14], v[19:20], v[13:14]
	v_mul_f64_e32 v[19:20], v[21:22], v[13:14]
	s_delay_alu instid0(VALU_DEP_1) | instskip(SKIP_1) | instid1(VALU_DEP_1)
	v_fma_f64 v[11:12], -v[11:12], v[19:20], v[21:22]
	s_wait_alu 0xfffd
	v_div_fmas_f64 v[11:12], v[11:12], v[13:14], v[19:20]
	v_fma_f64 v[13:14], v[3:4], v[15:16], v[17:18]
	s_delay_alu instid0(VALU_DEP_2) | instskip(SKIP_1) | instid1(VALU_DEP_2)
	v_div_fixup_f64 v[5:6], v[11:12], v[5:6], 1.0
	v_fma_f64 v[11:12], v[3:4], v[17:18], -v[15:16]
	v_mul_f64_e32 v[3:4], v[13:14], v[5:6]
	s_delay_alu instid0(VALU_DEP_2)
	v_mul_f64_e32 v[5:6], v[11:12], v[5:6]
.LBB203_58:                             ;   in Loop: Header=BB203_3 Depth=1
	s_wait_alu 0xfffe
	s_and_not1_b32 vcc_lo, exec_lo, s18
	s_wait_alu 0xfffe
	s_cbranch_vccnz .LBB203_60
; %bb.59:                               ;   in Loop: Header=BB203_3 Depth=1
	v_div_scale_f64 v[3:4], null, v[7:8], v[7:8], v[9:10]
	v_div_scale_f64 v[13:14], vcc_lo, v[9:10], v[7:8], v[9:10]
	s_delay_alu instid0(VALU_DEP_2) | instskip(NEXT) | instid1(TRANS32_DEP_1)
	v_rcp_f64_e32 v[5:6], v[3:4]
	v_fma_f64 v[11:12], -v[3:4], v[5:6], 1.0
	s_delay_alu instid0(VALU_DEP_1) | instskip(NEXT) | instid1(VALU_DEP_1)
	v_fma_f64 v[5:6], v[5:6], v[11:12], v[5:6]
	v_fma_f64 v[11:12], -v[3:4], v[5:6], 1.0
	s_delay_alu instid0(VALU_DEP_1) | instskip(NEXT) | instid1(VALU_DEP_1)
	v_fma_f64 v[5:6], v[5:6], v[11:12], v[5:6]
	v_mul_f64_e32 v[11:12], v[13:14], v[5:6]
	s_delay_alu instid0(VALU_DEP_1) | instskip(SKIP_1) | instid1(VALU_DEP_1)
	v_fma_f64 v[3:4], -v[3:4], v[11:12], v[13:14]
	s_wait_alu 0xfffd
	v_div_fmas_f64 v[3:4], v[3:4], v[5:6], v[11:12]
	s_delay_alu instid0(VALU_DEP_1) | instskip(NEXT) | instid1(VALU_DEP_1)
	v_div_fixup_f64 v[3:4], v[3:4], v[7:8], v[9:10]
	v_fma_f64 v[5:6], v[9:10], v[3:4], v[7:8]
	s_delay_alu instid0(VALU_DEP_1) | instskip(SKIP_1) | instid1(VALU_DEP_2)
	v_div_scale_f64 v[7:8], null, v[5:6], v[5:6], 1.0
	v_div_scale_f64 v[13:14], vcc_lo, 1.0, v[5:6], 1.0
	v_rcp_f64_e32 v[9:10], v[7:8]
	s_delay_alu instid0(TRANS32_DEP_1) | instskip(NEXT) | instid1(VALU_DEP_1)
	v_fma_f64 v[11:12], -v[7:8], v[9:10], 1.0
	v_fma_f64 v[9:10], v[9:10], v[11:12], v[9:10]
	s_delay_alu instid0(VALU_DEP_1) | instskip(NEXT) | instid1(VALU_DEP_1)
	v_fma_f64 v[11:12], -v[7:8], v[9:10], 1.0
	v_fma_f64 v[9:10], v[9:10], v[11:12], v[9:10]
	s_delay_alu instid0(VALU_DEP_1) | instskip(NEXT) | instid1(VALU_DEP_1)
	v_mul_f64_e32 v[11:12], v[13:14], v[9:10]
	v_fma_f64 v[7:8], -v[7:8], v[11:12], v[13:14]
	s_wait_alu 0xfffd
	s_delay_alu instid0(VALU_DEP_1) | instskip(SKIP_1) | instid1(VALU_DEP_2)
	v_div_fmas_f64 v[7:8], v[7:8], v[9:10], v[11:12]
	v_fma_f64 v[9:10], v[3:4], v[17:18], v[15:16]
	v_div_fixup_f64 v[5:6], v[7:8], v[5:6], 1.0
	v_fma_f64 v[7:8], -v[3:4], v[15:16], v[17:18]
	s_delay_alu instid0(VALU_DEP_2) | instskip(NEXT) | instid1(VALU_DEP_2)
	v_mul_f64_e32 v[3:4], v[9:10], v[5:6]
	v_mul_f64_e32 v[5:6], v[7:8], v[5:6]
.LBB203_60:                             ;   in Loop: Header=BB203_3 Depth=1
	s_mov_b32 s18, s50
	ds_store_b128 v35, v[3:6]
.LBB203_61:                             ;   in Loop: Header=BB203_3 Depth=1
	s_wait_alu 0xfffe
	s_cmp_lt_i32 s18, 0
	s_cbranch_scc1 .LBB203_70
; %bb.62:                               ;   in Loop: Header=BB203_3 Depth=1
	s_lshl_b32 s19, s18, 4
	s_wait_alu 0xfffe
	s_add_co_i32 s19, s22, s19
	s_branch .LBB203_64
.LBB203_63:                             ;   in Loop: Header=BB203_64 Depth=2
	s_add_co_i32 s25, s18, -1
	s_add_co_i32 s19, s19, -16
	s_cmp_lt_i32 s18, 1
	s_wait_alu 0xfffe
	s_mov_b32 s18, s25
	ds_store_b128 v15, v[11:14]
	s_cbranch_scc1 .LBB203_70
.LBB203_64:                             ;   Parent Loop BB203_3 Depth=1
                                        ; =>  This Loop Header: Depth=2
                                        ;       Child Loop BB203_65 Depth 3
	s_wait_alu 0xfffe
	s_lshl_b32 s25, s18, 6
	v_mov_b32_e32 v7, v40
	s_wait_alu 0xfffe
	v_add_nc_u32_e32 v15, s25, v30
	s_cmp_le_i32 s29, s18
	s_mov_b32 s57, s19
	s_mov_b32 s58, s29
	ds_load_b128 v[3:6], v15
	s_cbranch_scc1 .LBB203_66
.LBB203_65:                             ;   Parent Loop BB203_3 Depth=1
                                        ;     Parent Loop BB203_64 Depth=2
                                        ; =>    This Inner Loop Header: Depth=3
	s_wait_alu 0xfffe
	v_mov_b32_e32 v12, s57
	s_add_co_i32 s58, s58, -1
	s_sub_co_i32 s57, s57, 64
	s_wait_alu 0xfffe
	s_cmp_le_i32 s58, s18
	ds_load_b128 v[8:11], v7
	ds_load_b128 v[16:19], v12
	v_subrev_nc_u32_e32 v7, 64, v7
	s_wait_dscnt 0x0
	v_mul_f64_e32 v[12:13], v[18:19], v[10:11]
	v_mul_f64_e32 v[10:11], v[16:17], v[10:11]
	s_delay_alu instid0(VALU_DEP_2) | instskip(NEXT) | instid1(VALU_DEP_2)
	v_fma_f64 v[12:13], v[16:17], v[8:9], -v[12:13]
	v_fma_f64 v[8:9], v[18:19], v[8:9], v[10:11]
	s_delay_alu instid0(VALU_DEP_2) | instskip(NEXT) | instid1(VALU_DEP_2)
	v_add_f64_e64 v[3:4], v[3:4], -v[12:13]
	v_add_f64_e64 v[5:6], v[5:6], -v[8:9]
	s_cbranch_scc0 .LBB203_65
.LBB203_66:                             ;   in Loop: Header=BB203_64 Depth=2
	s_lshl_b32 s57, s18, 4
                                        ; implicit-def: $vgpr11_vgpr12
	s_wait_alu 0xfffe
	s_add_co_i32 s25, s57, s25
	s_wait_alu 0xfffe
	v_mov_b32_e32 v7, s25
	ds_load_b128 v[7:10], v7
	s_wait_dscnt 0x0
	v_cmp_ngt_f64_e64 s25, |v[7:8]|, |v[9:10]|
	s_and_b32 vcc_lo, exec_lo, s25
	s_mov_b32 s25, -1
	s_wait_alu 0xfffe
	s_cbranch_vccz .LBB203_68
; %bb.67:                               ;   in Loop: Header=BB203_64 Depth=2
	v_div_scale_f64 v[11:12], null, v[9:10], v[9:10], v[7:8]
	v_div_scale_f64 v[18:19], vcc_lo, v[7:8], v[9:10], v[7:8]
	s_mov_b32 s25, 0
	v_rcp_f64_e32 v[13:14], v[11:12]
	s_delay_alu instid0(TRANS32_DEP_1) | instskip(NEXT) | instid1(VALU_DEP_1)
	v_fma_f64 v[16:17], -v[11:12], v[13:14], 1.0
	v_fma_f64 v[13:14], v[13:14], v[16:17], v[13:14]
	s_delay_alu instid0(VALU_DEP_1) | instskip(NEXT) | instid1(VALU_DEP_1)
	v_fma_f64 v[16:17], -v[11:12], v[13:14], 1.0
	v_fma_f64 v[13:14], v[13:14], v[16:17], v[13:14]
	s_delay_alu instid0(VALU_DEP_1) | instskip(NEXT) | instid1(VALU_DEP_1)
	v_mul_f64_e32 v[16:17], v[18:19], v[13:14]
	v_fma_f64 v[11:12], -v[11:12], v[16:17], v[18:19]
	s_wait_alu 0xfffd
	s_delay_alu instid0(VALU_DEP_1) | instskip(NEXT) | instid1(VALU_DEP_1)
	v_div_fmas_f64 v[11:12], v[11:12], v[13:14], v[16:17]
	v_div_fixup_f64 v[11:12], v[11:12], v[9:10], v[7:8]
	s_delay_alu instid0(VALU_DEP_1) | instskip(NEXT) | instid1(VALU_DEP_1)
	v_fma_f64 v[13:14], v[7:8], v[11:12], v[9:10]
	v_div_scale_f64 v[16:17], null, v[13:14], v[13:14], 1.0
	v_div_scale_f64 v[22:23], vcc_lo, 1.0, v[13:14], 1.0
	s_delay_alu instid0(VALU_DEP_2) | instskip(NEXT) | instid1(TRANS32_DEP_1)
	v_rcp_f64_e32 v[18:19], v[16:17]
	v_fma_f64 v[20:21], -v[16:17], v[18:19], 1.0
	s_delay_alu instid0(VALU_DEP_1) | instskip(NEXT) | instid1(VALU_DEP_1)
	v_fma_f64 v[18:19], v[18:19], v[20:21], v[18:19]
	v_fma_f64 v[20:21], -v[16:17], v[18:19], 1.0
	s_delay_alu instid0(VALU_DEP_1) | instskip(NEXT) | instid1(VALU_DEP_1)
	v_fma_f64 v[18:19], v[18:19], v[20:21], v[18:19]
	v_mul_f64_e32 v[20:21], v[22:23], v[18:19]
	s_delay_alu instid0(VALU_DEP_1) | instskip(SKIP_1) | instid1(VALU_DEP_1)
	v_fma_f64 v[16:17], -v[16:17], v[20:21], v[22:23]
	s_wait_alu 0xfffd
	v_div_fmas_f64 v[16:17], v[16:17], v[18:19], v[20:21]
	v_fma_f64 v[18:19], v[3:4], v[11:12], v[5:6]
	s_delay_alu instid0(VALU_DEP_2) | instskip(SKIP_1) | instid1(VALU_DEP_2)
	v_div_fixup_f64 v[13:14], v[16:17], v[13:14], 1.0
	v_fma_f64 v[16:17], v[5:6], v[11:12], -v[3:4]
	v_mul_f64_e32 v[11:12], v[18:19], v[13:14]
	s_delay_alu instid0(VALU_DEP_2)
	v_mul_f64_e32 v[13:14], v[16:17], v[13:14]
.LBB203_68:                             ;   in Loop: Header=BB203_64 Depth=2
	s_wait_alu 0xfffe
	s_and_not1_b32 vcc_lo, exec_lo, s25
	s_wait_alu 0xfffe
	s_cbranch_vccnz .LBB203_63
; %bb.69:                               ;   in Loop: Header=BB203_64 Depth=2
	v_div_scale_f64 v[11:12], null, v[7:8], v[7:8], v[9:10]
	v_div_scale_f64 v[18:19], vcc_lo, v[9:10], v[7:8], v[9:10]
	s_delay_alu instid0(VALU_DEP_2) | instskip(NEXT) | instid1(TRANS32_DEP_1)
	v_rcp_f64_e32 v[13:14], v[11:12]
	v_fma_f64 v[16:17], -v[11:12], v[13:14], 1.0
	s_delay_alu instid0(VALU_DEP_1) | instskip(NEXT) | instid1(VALU_DEP_1)
	v_fma_f64 v[13:14], v[13:14], v[16:17], v[13:14]
	v_fma_f64 v[16:17], -v[11:12], v[13:14], 1.0
	s_delay_alu instid0(VALU_DEP_1) | instskip(NEXT) | instid1(VALU_DEP_1)
	v_fma_f64 v[13:14], v[13:14], v[16:17], v[13:14]
	v_mul_f64_e32 v[16:17], v[18:19], v[13:14]
	s_delay_alu instid0(VALU_DEP_1) | instskip(SKIP_1) | instid1(VALU_DEP_1)
	v_fma_f64 v[11:12], -v[11:12], v[16:17], v[18:19]
	s_wait_alu 0xfffd
	v_div_fmas_f64 v[11:12], v[11:12], v[13:14], v[16:17]
	s_delay_alu instid0(VALU_DEP_1) | instskip(NEXT) | instid1(VALU_DEP_1)
	v_div_fixup_f64 v[11:12], v[11:12], v[7:8], v[9:10]
	v_fma_f64 v[7:8], v[9:10], v[11:12], v[7:8]
	s_delay_alu instid0(VALU_DEP_1) | instskip(SKIP_1) | instid1(VALU_DEP_2)
	v_div_scale_f64 v[9:10], null, v[7:8], v[7:8], 1.0
	v_div_scale_f64 v[18:19], vcc_lo, 1.0, v[7:8], 1.0
	v_rcp_f64_e32 v[13:14], v[9:10]
	s_delay_alu instid0(TRANS32_DEP_1) | instskip(NEXT) | instid1(VALU_DEP_1)
	v_fma_f64 v[16:17], -v[9:10], v[13:14], 1.0
	v_fma_f64 v[13:14], v[13:14], v[16:17], v[13:14]
	s_delay_alu instid0(VALU_DEP_1) | instskip(NEXT) | instid1(VALU_DEP_1)
	v_fma_f64 v[16:17], -v[9:10], v[13:14], 1.0
	v_fma_f64 v[13:14], v[13:14], v[16:17], v[13:14]
	s_delay_alu instid0(VALU_DEP_1) | instskip(NEXT) | instid1(VALU_DEP_1)
	v_mul_f64_e32 v[16:17], v[18:19], v[13:14]
	v_fma_f64 v[9:10], -v[9:10], v[16:17], v[18:19]
	s_wait_alu 0xfffd
	s_delay_alu instid0(VALU_DEP_1) | instskip(SKIP_2) | instid1(VALU_DEP_3)
	v_div_fmas_f64 v[9:10], v[9:10], v[13:14], v[16:17]
	v_fma_f64 v[13:14], v[5:6], v[11:12], v[3:4]
	v_fma_f64 v[3:4], -v[3:4], v[11:12], v[5:6]
	v_div_fixup_f64 v[7:8], v[9:10], v[7:8], 1.0
	s_delay_alu instid0(VALU_DEP_1) | instskip(NEXT) | instid1(VALU_DEP_3)
	v_mul_f64_e32 v[11:12], v[13:14], v[7:8]
	v_mul_f64_e32 v[13:14], v[3:4], v[7:8]
	s_branch .LBB203_63
.LBB203_70:                             ;   in Loop: Header=BB203_3 Depth=1
	s_mov_b32 s18, 0
.LBB203_71:                             ;   in Loop: Header=BB203_3 Depth=1
	s_wait_alu 0xfffe
	s_and_not1_b32 vcc_lo, exec_lo, s18
	s_wait_alu 0xfffe
	s_cbranch_vccnz .LBB203_99
; %bb.72:                               ;   in Loop: Header=BB203_3 Depth=1
	s_and_b32 vcc_lo, exec_lo, s34
	s_mov_b32 s18, s29
	s_wait_alu 0xfffe
	s_cbranch_vccz .LBB203_90
; %bb.73:                               ;   in Loop: Header=BB203_3 Depth=1
	v_mov_b32_e32 v3, s38
                                        ; implicit-def: $vgpr9_vgpr10
	ds_load_b128 v[23:26], v3
	ds_load_b128 v[19:22], v32
	;; [unrolled: 1-line block ×5, first 2 shown]
	s_wait_dscnt 0x4
	v_cmp_ngt_f64_e64 s18, |v[23:24]|, |v[25:26]|
	s_and_b32 vcc_lo, exec_lo, s18
	s_mov_b32 s18, -1
	s_wait_alu 0xfffe
	s_cbranch_vccz .LBB203_75
; %bb.74:                               ;   in Loop: Header=BB203_3 Depth=1
	v_div_scale_f64 v[7:8], null, v[25:26], v[25:26], v[23:24]
	v_div_scale_f64 v[44:45], vcc_lo, v[23:24], v[25:26], v[23:24]
	s_mov_b32 s18, 0
	v_rcp_f64_e32 v[9:10], v[7:8]
	s_delay_alu instid0(TRANS32_DEP_1) | instskip(NEXT) | instid1(VALU_DEP_1)
	v_fma_f64 v[42:43], -v[7:8], v[9:10], 1.0
	v_fma_f64 v[9:10], v[9:10], v[42:43], v[9:10]
	s_delay_alu instid0(VALU_DEP_1) | instskip(NEXT) | instid1(VALU_DEP_1)
	v_fma_f64 v[42:43], -v[7:8], v[9:10], 1.0
	v_fma_f64 v[9:10], v[9:10], v[42:43], v[9:10]
	s_delay_alu instid0(VALU_DEP_1) | instskip(NEXT) | instid1(VALU_DEP_1)
	v_mul_f64_e32 v[42:43], v[44:45], v[9:10]
	v_fma_f64 v[7:8], -v[7:8], v[42:43], v[44:45]
	s_wait_alu 0xfffd
	s_delay_alu instid0(VALU_DEP_1) | instskip(NEXT) | instid1(VALU_DEP_1)
	v_div_fmas_f64 v[7:8], v[7:8], v[9:10], v[42:43]
	v_div_fixup_f64 v[7:8], v[7:8], v[25:26], v[23:24]
	s_delay_alu instid0(VALU_DEP_1) | instskip(NEXT) | instid1(VALU_DEP_1)
	v_fma_f64 v[9:10], v[23:24], v[7:8], v[25:26]
	v_div_scale_f64 v[42:43], null, v[9:10], v[9:10], 1.0
	v_div_scale_f64 v[48:49], vcc_lo, 1.0, v[9:10], 1.0
	s_delay_alu instid0(VALU_DEP_2) | instskip(NEXT) | instid1(TRANS32_DEP_1)
	v_rcp_f64_e32 v[44:45], v[42:43]
	v_fma_f64 v[46:47], -v[42:43], v[44:45], 1.0
	s_delay_alu instid0(VALU_DEP_1) | instskip(NEXT) | instid1(VALU_DEP_1)
	v_fma_f64 v[44:45], v[44:45], v[46:47], v[44:45]
	v_fma_f64 v[46:47], -v[42:43], v[44:45], 1.0
	s_delay_alu instid0(VALU_DEP_1) | instskip(NEXT) | instid1(VALU_DEP_1)
	v_fma_f64 v[44:45], v[44:45], v[46:47], v[44:45]
	v_mul_f64_e32 v[46:47], v[48:49], v[44:45]
	s_delay_alu instid0(VALU_DEP_1) | instskip(SKIP_1) | instid1(VALU_DEP_1)
	v_fma_f64 v[42:43], -v[42:43], v[46:47], v[48:49]
	s_wait_alu 0xfffd
	v_div_fmas_f64 v[42:43], v[42:43], v[44:45], v[46:47]
	s_wait_dscnt 0x3
	v_fma_f64 v[44:45], v[19:20], v[7:8], v[21:22]
	s_delay_alu instid0(VALU_DEP_2) | instskip(SKIP_1) | instid1(VALU_DEP_2)
	v_div_fixup_f64 v[9:10], v[42:43], v[9:10], 1.0
	v_fma_f64 v[42:43], v[21:22], v[7:8], -v[19:20]
	v_mul_f64_e32 v[7:8], v[44:45], v[9:10]
	s_delay_alu instid0(VALU_DEP_2)
	v_mul_f64_e32 v[9:10], v[42:43], v[9:10]
.LBB203_75:                             ;   in Loop: Header=BB203_3 Depth=1
	s_wait_alu 0xfffe
	s_and_not1_b32 vcc_lo, exec_lo, s18
	s_wait_alu 0xfffe
	s_cbranch_vccnz .LBB203_77
; %bb.76:                               ;   in Loop: Header=BB203_3 Depth=1
	v_div_scale_f64 v[7:8], null, v[23:24], v[23:24], v[25:26]
	v_div_scale_f64 v[44:45], vcc_lo, v[25:26], v[23:24], v[25:26]
	s_delay_alu instid0(VALU_DEP_2) | instskip(NEXT) | instid1(TRANS32_DEP_1)
	v_rcp_f64_e32 v[9:10], v[7:8]
	v_fma_f64 v[42:43], -v[7:8], v[9:10], 1.0
	s_delay_alu instid0(VALU_DEP_1) | instskip(NEXT) | instid1(VALU_DEP_1)
	v_fma_f64 v[9:10], v[9:10], v[42:43], v[9:10]
	v_fma_f64 v[42:43], -v[7:8], v[9:10], 1.0
	s_delay_alu instid0(VALU_DEP_1) | instskip(NEXT) | instid1(VALU_DEP_1)
	v_fma_f64 v[9:10], v[9:10], v[42:43], v[9:10]
	v_mul_f64_e32 v[42:43], v[44:45], v[9:10]
	s_delay_alu instid0(VALU_DEP_1) | instskip(SKIP_1) | instid1(VALU_DEP_1)
	v_fma_f64 v[7:8], -v[7:8], v[42:43], v[44:45]
	s_wait_alu 0xfffd
	v_div_fmas_f64 v[7:8], v[7:8], v[9:10], v[42:43]
	s_delay_alu instid0(VALU_DEP_1) | instskip(NEXT) | instid1(VALU_DEP_1)
	v_div_fixup_f64 v[7:8], v[7:8], v[23:24], v[25:26]
	v_fma_f64 v[9:10], v[25:26], v[7:8], v[23:24]
	s_delay_alu instid0(VALU_DEP_1) | instskip(SKIP_1) | instid1(VALU_DEP_2)
	v_div_scale_f64 v[23:24], null, v[9:10], v[9:10], 1.0
	v_div_scale_f64 v[44:45], vcc_lo, 1.0, v[9:10], 1.0
	v_rcp_f64_e32 v[25:26], v[23:24]
	s_delay_alu instid0(TRANS32_DEP_1) | instskip(NEXT) | instid1(VALU_DEP_1)
	v_fma_f64 v[42:43], -v[23:24], v[25:26], 1.0
	v_fma_f64 v[25:26], v[25:26], v[42:43], v[25:26]
	s_delay_alu instid0(VALU_DEP_1) | instskip(NEXT) | instid1(VALU_DEP_1)
	v_fma_f64 v[42:43], -v[23:24], v[25:26], 1.0
	v_fma_f64 v[25:26], v[25:26], v[42:43], v[25:26]
	s_delay_alu instid0(VALU_DEP_1) | instskip(NEXT) | instid1(VALU_DEP_1)
	v_mul_f64_e32 v[42:43], v[44:45], v[25:26]
	v_fma_f64 v[23:24], -v[23:24], v[42:43], v[44:45]
	s_wait_alu 0xfffd
	s_delay_alu instid0(VALU_DEP_1) | instskip(SKIP_3) | instid1(VALU_DEP_3)
	v_div_fmas_f64 v[23:24], v[23:24], v[25:26], v[42:43]
	s_wait_dscnt 0x3
	v_fma_f64 v[25:26], v[21:22], v[7:8], v[19:20]
	v_fma_f64 v[19:20], -v[19:20], v[7:8], v[21:22]
	v_div_fixup_f64 v[9:10], v[23:24], v[9:10], 1.0
	s_delay_alu instid0(VALU_DEP_1) | instskip(NEXT) | instid1(VALU_DEP_3)
	v_mul_f64_e32 v[7:8], v[25:26], v[9:10]
	v_mul_f64_e32 v[9:10], v[19:20], v[9:10]
.LBB203_77:                             ;   in Loop: Header=BB203_3 Depth=1
	s_wait_dscnt 0x3
	v_mov_b32_e32 v19, s51
	s_add_co_i32 s18, s36, s39
	ds_store_b128 v32, v[7:10]
	ds_load_b128 v[23:26], v19
	s_wait_alu 0xfffe
	v_mov_b32_e32 v19, s18
	ds_load_b128 v[19:22], v19
	s_wait_dscnt 0x1
	v_mul_f64_e32 v[42:43], v[9:10], v[25:26]
	v_mul_f64_e32 v[25:26], v[7:8], v[25:26]
	s_wait_dscnt 0x0
	v_cmp_ngt_f64_e64 s18, |v[19:20]|, |v[21:22]|
	s_delay_alu instid0(VALU_DEP_3) | instskip(NEXT) | instid1(VALU_DEP_3)
	v_fma_f64 v[42:43], v[7:8], v[23:24], -v[42:43]
	v_fma_f64 v[25:26], v[9:10], v[23:24], v[25:26]
	s_and_b32 vcc_lo, exec_lo, s18
	s_mov_b32 s18, -1
	s_delay_alu instid0(VALU_DEP_2) | instskip(NEXT) | instid1(VALU_DEP_2)
	v_add_f64_e64 v[23:24], v[15:16], -v[42:43]
	v_add_f64_e64 v[25:26], v[17:18], -v[25:26]
                                        ; implicit-def: $vgpr17_vgpr18
	s_wait_alu 0xfffe
	s_cbranch_vccz .LBB203_79
; %bb.78:                               ;   in Loop: Header=BB203_3 Depth=1
	v_div_scale_f64 v[15:16], null, v[21:22], v[21:22], v[19:20]
	v_div_scale_f64 v[44:45], vcc_lo, v[19:20], v[21:22], v[19:20]
	s_mov_b32 s18, 0
	v_rcp_f64_e32 v[17:18], v[15:16]
	s_delay_alu instid0(TRANS32_DEP_1) | instskip(NEXT) | instid1(VALU_DEP_1)
	v_fma_f64 v[42:43], -v[15:16], v[17:18], 1.0
	v_fma_f64 v[17:18], v[17:18], v[42:43], v[17:18]
	s_delay_alu instid0(VALU_DEP_1) | instskip(NEXT) | instid1(VALU_DEP_1)
	v_fma_f64 v[42:43], -v[15:16], v[17:18], 1.0
	v_fma_f64 v[17:18], v[17:18], v[42:43], v[17:18]
	s_delay_alu instid0(VALU_DEP_1) | instskip(NEXT) | instid1(VALU_DEP_1)
	v_mul_f64_e32 v[42:43], v[44:45], v[17:18]
	v_fma_f64 v[15:16], -v[15:16], v[42:43], v[44:45]
	s_wait_alu 0xfffd
	s_delay_alu instid0(VALU_DEP_1) | instskip(NEXT) | instid1(VALU_DEP_1)
	v_div_fmas_f64 v[15:16], v[15:16], v[17:18], v[42:43]
	v_div_fixup_f64 v[15:16], v[15:16], v[21:22], v[19:20]
	s_delay_alu instid0(VALU_DEP_1) | instskip(NEXT) | instid1(VALU_DEP_1)
	v_fma_f64 v[17:18], v[19:20], v[15:16], v[21:22]
	v_div_scale_f64 v[42:43], null, v[17:18], v[17:18], 1.0
	v_div_scale_f64 v[48:49], vcc_lo, 1.0, v[17:18], 1.0
	s_delay_alu instid0(VALU_DEP_2) | instskip(NEXT) | instid1(TRANS32_DEP_1)
	v_rcp_f64_e32 v[44:45], v[42:43]
	v_fma_f64 v[46:47], -v[42:43], v[44:45], 1.0
	s_delay_alu instid0(VALU_DEP_1) | instskip(NEXT) | instid1(VALU_DEP_1)
	v_fma_f64 v[44:45], v[44:45], v[46:47], v[44:45]
	v_fma_f64 v[46:47], -v[42:43], v[44:45], 1.0
	s_delay_alu instid0(VALU_DEP_1) | instskip(NEXT) | instid1(VALU_DEP_1)
	v_fma_f64 v[44:45], v[44:45], v[46:47], v[44:45]
	v_mul_f64_e32 v[46:47], v[48:49], v[44:45]
	s_delay_alu instid0(VALU_DEP_1) | instskip(SKIP_1) | instid1(VALU_DEP_1)
	v_fma_f64 v[42:43], -v[42:43], v[46:47], v[48:49]
	s_wait_alu 0xfffd
	v_div_fmas_f64 v[42:43], v[42:43], v[44:45], v[46:47]
	v_fma_f64 v[44:45], v[15:16], v[23:24], v[25:26]
	s_delay_alu instid0(VALU_DEP_2) | instskip(SKIP_1) | instid1(VALU_DEP_2)
	v_div_fixup_f64 v[17:18], v[42:43], v[17:18], 1.0
	v_fma_f64 v[42:43], v[15:16], v[25:26], -v[23:24]
	v_mul_f64_e32 v[15:16], v[44:45], v[17:18]
	s_delay_alu instid0(VALU_DEP_2)
	v_mul_f64_e32 v[17:18], v[42:43], v[17:18]
.LBB203_79:                             ;   in Loop: Header=BB203_3 Depth=1
	s_wait_alu 0xfffe
	s_and_not1_b32 vcc_lo, exec_lo, s18
	s_wait_alu 0xfffe
	s_cbranch_vccnz .LBB203_81
; %bb.80:                               ;   in Loop: Header=BB203_3 Depth=1
	v_div_scale_f64 v[15:16], null, v[19:20], v[19:20], v[21:22]
	v_div_scale_f64 v[44:45], vcc_lo, v[21:22], v[19:20], v[21:22]
	s_delay_alu instid0(VALU_DEP_2) | instskip(NEXT) | instid1(TRANS32_DEP_1)
	v_rcp_f64_e32 v[17:18], v[15:16]
	v_fma_f64 v[42:43], -v[15:16], v[17:18], 1.0
	s_delay_alu instid0(VALU_DEP_1) | instskip(NEXT) | instid1(VALU_DEP_1)
	v_fma_f64 v[17:18], v[17:18], v[42:43], v[17:18]
	v_fma_f64 v[42:43], -v[15:16], v[17:18], 1.0
	s_delay_alu instid0(VALU_DEP_1) | instskip(NEXT) | instid1(VALU_DEP_1)
	v_fma_f64 v[17:18], v[17:18], v[42:43], v[17:18]
	v_mul_f64_e32 v[42:43], v[44:45], v[17:18]
	s_delay_alu instid0(VALU_DEP_1) | instskip(SKIP_1) | instid1(VALU_DEP_1)
	v_fma_f64 v[15:16], -v[15:16], v[42:43], v[44:45]
	s_wait_alu 0xfffd
	v_div_fmas_f64 v[15:16], v[15:16], v[17:18], v[42:43]
	s_delay_alu instid0(VALU_DEP_1) | instskip(NEXT) | instid1(VALU_DEP_1)
	v_div_fixup_f64 v[15:16], v[15:16], v[19:20], v[21:22]
	v_fma_f64 v[17:18], v[21:22], v[15:16], v[19:20]
	s_delay_alu instid0(VALU_DEP_1) | instskip(SKIP_1) | instid1(VALU_DEP_2)
	v_div_scale_f64 v[19:20], null, v[17:18], v[17:18], 1.0
	v_div_scale_f64 v[44:45], vcc_lo, 1.0, v[17:18], 1.0
	v_rcp_f64_e32 v[21:22], v[19:20]
	s_delay_alu instid0(TRANS32_DEP_1) | instskip(NEXT) | instid1(VALU_DEP_1)
	v_fma_f64 v[42:43], -v[19:20], v[21:22], 1.0
	v_fma_f64 v[21:22], v[21:22], v[42:43], v[21:22]
	s_delay_alu instid0(VALU_DEP_1) | instskip(NEXT) | instid1(VALU_DEP_1)
	v_fma_f64 v[42:43], -v[19:20], v[21:22], 1.0
	v_fma_f64 v[21:22], v[21:22], v[42:43], v[21:22]
	s_delay_alu instid0(VALU_DEP_1) | instskip(NEXT) | instid1(VALU_DEP_1)
	v_mul_f64_e32 v[42:43], v[44:45], v[21:22]
	v_fma_f64 v[19:20], -v[19:20], v[42:43], v[44:45]
	s_wait_alu 0xfffd
	s_delay_alu instid0(VALU_DEP_1) | instskip(SKIP_1) | instid1(VALU_DEP_2)
	v_div_fmas_f64 v[19:20], v[19:20], v[21:22], v[42:43]
	v_fma_f64 v[21:22], v[15:16], v[25:26], v[23:24]
	v_div_fixup_f64 v[17:18], v[19:20], v[17:18], 1.0
	v_fma_f64 v[19:20], -v[15:16], v[23:24], v[25:26]
	s_delay_alu instid0(VALU_DEP_2) | instskip(NEXT) | instid1(VALU_DEP_2)
	v_mul_f64_e32 v[15:16], v[21:22], v[17:18]
	v_mul_f64_e32 v[17:18], v[19:20], v[17:18]
.LBB203_81:                             ;   in Loop: Header=BB203_3 Depth=1
	v_mov_b32_e32 v19, s52
	v_mov_b32_e32 v23, s53
	s_add_co_i32 s18, s37, s41
	ds_store_b128 v33, v[15:18]
	ds_load_b128 v[19:22], v19
	ds_load_b128 v[23:26], v23
	s_wait_dscnt 0x1
	v_mul_f64_e32 v[42:43], v[9:10], v[21:22]
	v_mul_f64_e32 v[21:22], v[7:8], v[21:22]
	s_wait_dscnt 0x0
	v_mul_f64_e32 v[44:45], v[17:18], v[25:26]
	v_mul_f64_e32 v[25:26], v[15:16], v[25:26]
	s_delay_alu instid0(VALU_DEP_4) | instskip(NEXT) | instid1(VALU_DEP_4)
	v_fma_f64 v[42:43], v[7:8], v[19:20], -v[42:43]
	v_fma_f64 v[19:20], v[9:10], v[19:20], v[21:22]
	s_delay_alu instid0(VALU_DEP_4) | instskip(NEXT) | instid1(VALU_DEP_4)
	v_fma_f64 v[44:45], v[15:16], v[23:24], -v[44:45]
	v_fma_f64 v[25:26], v[17:18], v[23:24], v[25:26]
	s_delay_alu instid0(VALU_DEP_4) | instskip(NEXT) | instid1(VALU_DEP_4)
	v_add_f64_e64 v[11:12], v[11:12], -v[42:43]
	v_add_f64_e64 v[13:14], v[13:14], -v[19:20]
	s_wait_alu 0xfffe
	v_mov_b32_e32 v19, s18
	ds_load_b128 v[19:22], v19
	s_wait_dscnt 0x0
	v_cmp_ngt_f64_e64 s18, |v[19:20]|, |v[21:22]|
	v_add_f64_e64 v[23:24], v[11:12], -v[44:45]
	v_add_f64_e64 v[25:26], v[13:14], -v[25:26]
                                        ; implicit-def: $vgpr13_vgpr14
	s_and_b32 vcc_lo, exec_lo, s18
	s_mov_b32 s18, -1
	s_wait_alu 0xfffe
	s_cbranch_vccz .LBB203_83
; %bb.82:                               ;   in Loop: Header=BB203_3 Depth=1
	v_div_scale_f64 v[11:12], null, v[21:22], v[21:22], v[19:20]
	v_div_scale_f64 v[44:45], vcc_lo, v[19:20], v[21:22], v[19:20]
	s_mov_b32 s18, 0
	v_rcp_f64_e32 v[13:14], v[11:12]
	s_delay_alu instid0(TRANS32_DEP_1) | instskip(NEXT) | instid1(VALU_DEP_1)
	v_fma_f64 v[42:43], -v[11:12], v[13:14], 1.0
	v_fma_f64 v[13:14], v[13:14], v[42:43], v[13:14]
	s_delay_alu instid0(VALU_DEP_1) | instskip(NEXT) | instid1(VALU_DEP_1)
	v_fma_f64 v[42:43], -v[11:12], v[13:14], 1.0
	v_fma_f64 v[13:14], v[13:14], v[42:43], v[13:14]
	s_delay_alu instid0(VALU_DEP_1) | instskip(NEXT) | instid1(VALU_DEP_1)
	v_mul_f64_e32 v[42:43], v[44:45], v[13:14]
	v_fma_f64 v[11:12], -v[11:12], v[42:43], v[44:45]
	s_wait_alu 0xfffd
	s_delay_alu instid0(VALU_DEP_1) | instskip(NEXT) | instid1(VALU_DEP_1)
	v_div_fmas_f64 v[11:12], v[11:12], v[13:14], v[42:43]
	v_div_fixup_f64 v[11:12], v[11:12], v[21:22], v[19:20]
	s_delay_alu instid0(VALU_DEP_1) | instskip(NEXT) | instid1(VALU_DEP_1)
	v_fma_f64 v[13:14], v[19:20], v[11:12], v[21:22]
	v_div_scale_f64 v[42:43], null, v[13:14], v[13:14], 1.0
	v_div_scale_f64 v[48:49], vcc_lo, 1.0, v[13:14], 1.0
	s_delay_alu instid0(VALU_DEP_2) | instskip(NEXT) | instid1(TRANS32_DEP_1)
	v_rcp_f64_e32 v[44:45], v[42:43]
	v_fma_f64 v[46:47], -v[42:43], v[44:45], 1.0
	s_delay_alu instid0(VALU_DEP_1) | instskip(NEXT) | instid1(VALU_DEP_1)
	v_fma_f64 v[44:45], v[44:45], v[46:47], v[44:45]
	v_fma_f64 v[46:47], -v[42:43], v[44:45], 1.0
	s_delay_alu instid0(VALU_DEP_1) | instskip(NEXT) | instid1(VALU_DEP_1)
	v_fma_f64 v[44:45], v[44:45], v[46:47], v[44:45]
	v_mul_f64_e32 v[46:47], v[48:49], v[44:45]
	s_delay_alu instid0(VALU_DEP_1) | instskip(SKIP_1) | instid1(VALU_DEP_1)
	v_fma_f64 v[42:43], -v[42:43], v[46:47], v[48:49]
	s_wait_alu 0xfffd
	v_div_fmas_f64 v[42:43], v[42:43], v[44:45], v[46:47]
	v_fma_f64 v[44:45], v[11:12], v[23:24], v[25:26]
	s_delay_alu instid0(VALU_DEP_2) | instskip(SKIP_1) | instid1(VALU_DEP_2)
	v_div_fixup_f64 v[13:14], v[42:43], v[13:14], 1.0
	v_fma_f64 v[42:43], v[11:12], v[25:26], -v[23:24]
	v_mul_f64_e32 v[11:12], v[44:45], v[13:14]
	s_delay_alu instid0(VALU_DEP_2)
	v_mul_f64_e32 v[13:14], v[42:43], v[13:14]
.LBB203_83:                             ;   in Loop: Header=BB203_3 Depth=1
	s_wait_alu 0xfffe
	s_and_not1_b32 vcc_lo, exec_lo, s18
	s_wait_alu 0xfffe
	s_cbranch_vccnz .LBB203_85
; %bb.84:                               ;   in Loop: Header=BB203_3 Depth=1
	v_div_scale_f64 v[11:12], null, v[19:20], v[19:20], v[21:22]
	v_div_scale_f64 v[44:45], vcc_lo, v[21:22], v[19:20], v[21:22]
	s_delay_alu instid0(VALU_DEP_2) | instskip(NEXT) | instid1(TRANS32_DEP_1)
	v_rcp_f64_e32 v[13:14], v[11:12]
	v_fma_f64 v[42:43], -v[11:12], v[13:14], 1.0
	s_delay_alu instid0(VALU_DEP_1) | instskip(NEXT) | instid1(VALU_DEP_1)
	v_fma_f64 v[13:14], v[13:14], v[42:43], v[13:14]
	v_fma_f64 v[42:43], -v[11:12], v[13:14], 1.0
	s_delay_alu instid0(VALU_DEP_1) | instskip(NEXT) | instid1(VALU_DEP_1)
	v_fma_f64 v[13:14], v[13:14], v[42:43], v[13:14]
	v_mul_f64_e32 v[42:43], v[44:45], v[13:14]
	s_delay_alu instid0(VALU_DEP_1) | instskip(SKIP_1) | instid1(VALU_DEP_1)
	v_fma_f64 v[11:12], -v[11:12], v[42:43], v[44:45]
	s_wait_alu 0xfffd
	v_div_fmas_f64 v[11:12], v[11:12], v[13:14], v[42:43]
	s_delay_alu instid0(VALU_DEP_1) | instskip(NEXT) | instid1(VALU_DEP_1)
	v_div_fixup_f64 v[11:12], v[11:12], v[19:20], v[21:22]
	v_fma_f64 v[13:14], v[21:22], v[11:12], v[19:20]
	s_delay_alu instid0(VALU_DEP_1) | instskip(SKIP_1) | instid1(VALU_DEP_2)
	v_div_scale_f64 v[19:20], null, v[13:14], v[13:14], 1.0
	v_div_scale_f64 v[44:45], vcc_lo, 1.0, v[13:14], 1.0
	v_rcp_f64_e32 v[21:22], v[19:20]
	s_delay_alu instid0(TRANS32_DEP_1) | instskip(NEXT) | instid1(VALU_DEP_1)
	v_fma_f64 v[42:43], -v[19:20], v[21:22], 1.0
	v_fma_f64 v[21:22], v[21:22], v[42:43], v[21:22]
	s_delay_alu instid0(VALU_DEP_1) | instskip(NEXT) | instid1(VALU_DEP_1)
	v_fma_f64 v[42:43], -v[19:20], v[21:22], 1.0
	v_fma_f64 v[21:22], v[21:22], v[42:43], v[21:22]
	s_delay_alu instid0(VALU_DEP_1) | instskip(NEXT) | instid1(VALU_DEP_1)
	v_mul_f64_e32 v[42:43], v[44:45], v[21:22]
	v_fma_f64 v[19:20], -v[19:20], v[42:43], v[44:45]
	s_wait_alu 0xfffd
	s_delay_alu instid0(VALU_DEP_1) | instskip(SKIP_1) | instid1(VALU_DEP_2)
	v_div_fmas_f64 v[19:20], v[19:20], v[21:22], v[42:43]
	v_fma_f64 v[21:22], v[11:12], v[25:26], v[23:24]
	v_div_fixup_f64 v[13:14], v[19:20], v[13:14], 1.0
	v_fma_f64 v[19:20], -v[11:12], v[23:24], v[25:26]
	s_delay_alu instid0(VALU_DEP_2) | instskip(NEXT) | instid1(VALU_DEP_2)
	v_mul_f64_e32 v[11:12], v[21:22], v[13:14]
	v_mul_f64_e32 v[13:14], v[19:20], v[13:14]
.LBB203_85:                             ;   in Loop: Header=BB203_3 Depth=1
	v_mov_b32_e32 v19, s54
	v_mov_b32_e32 v23, s55
	ds_store_b128 v34, v[11:14]
	ds_load_b128 v[19:22], v19
	ds_load_b128 v[23:26], v23
	s_wait_dscnt 0x1
	v_mul_f64_e32 v[42:43], v[9:10], v[21:22]
	v_mul_f64_e32 v[21:22], v[7:8], v[21:22]
	s_delay_alu instid0(VALU_DEP_2) | instskip(SKIP_1) | instid1(VALU_DEP_3)
	v_fma_f64 v[42:43], v[7:8], v[19:20], -v[42:43]
	v_mov_b32_e32 v7, s56
	v_fma_f64 v[46:47], v[9:10], v[19:20], v[21:22]
	ds_load_b128 v[19:22], v7
	s_wait_dscnt 0x1
	v_mul_f64_e32 v[44:45], v[17:18], v[25:26]
	v_mul_f64_e32 v[25:26], v[15:16], v[25:26]
	v_mov_b32_e32 v7, s24
	ds_load_b128 v[7:10], v7
	s_wait_dscnt 0x1
	v_mul_f64_e32 v[48:49], v[13:14], v[21:22]
	v_mul_f64_e32 v[21:22], v[11:12], v[21:22]
	s_wait_dscnt 0x0
	v_cmp_ngt_f64_e64 s18, |v[7:8]|, |v[9:10]|
	v_add_f64_e64 v[3:4], v[3:4], -v[42:43]
	v_add_f64_e64 v[5:6], v[5:6], -v[46:47]
	v_fma_f64 v[15:16], v[15:16], v[23:24], -v[44:45]
	v_fma_f64 v[17:18], v[17:18], v[23:24], v[25:26]
	v_fma_f64 v[23:24], v[11:12], v[19:20], -v[48:49]
	v_fma_f64 v[19:20], v[13:14], v[19:20], v[21:22]
	s_and_b32 vcc_lo, exec_lo, s18
	s_mov_b32 s18, -1
	s_delay_alu instid0(VALU_DEP_4) | instskip(NEXT) | instid1(VALU_DEP_4)
	v_add_f64_e64 v[3:4], v[3:4], -v[15:16]
	v_add_f64_e64 v[5:6], v[5:6], -v[17:18]
	s_delay_alu instid0(VALU_DEP_2) | instskip(NEXT) | instid1(VALU_DEP_2)
	v_add_f64_e64 v[15:16], v[3:4], -v[23:24]
	v_add_f64_e64 v[17:18], v[5:6], -v[19:20]
                                        ; implicit-def: $vgpr5_vgpr6
	s_wait_alu 0xfffe
	s_cbranch_vccz .LBB203_87
; %bb.86:                               ;   in Loop: Header=BB203_3 Depth=1
	v_div_scale_f64 v[3:4], null, v[9:10], v[9:10], v[7:8]
	v_div_scale_f64 v[13:14], vcc_lo, v[7:8], v[9:10], v[7:8]
	s_mov_b32 s18, 0
	v_rcp_f64_e32 v[5:6], v[3:4]
	s_delay_alu instid0(TRANS32_DEP_1) | instskip(NEXT) | instid1(VALU_DEP_1)
	v_fma_f64 v[11:12], -v[3:4], v[5:6], 1.0
	v_fma_f64 v[5:6], v[5:6], v[11:12], v[5:6]
	s_delay_alu instid0(VALU_DEP_1) | instskip(NEXT) | instid1(VALU_DEP_1)
	v_fma_f64 v[11:12], -v[3:4], v[5:6], 1.0
	v_fma_f64 v[5:6], v[5:6], v[11:12], v[5:6]
	s_delay_alu instid0(VALU_DEP_1) | instskip(NEXT) | instid1(VALU_DEP_1)
	v_mul_f64_e32 v[11:12], v[13:14], v[5:6]
	v_fma_f64 v[3:4], -v[3:4], v[11:12], v[13:14]
	s_wait_alu 0xfffd
	s_delay_alu instid0(VALU_DEP_1) | instskip(NEXT) | instid1(VALU_DEP_1)
	v_div_fmas_f64 v[3:4], v[3:4], v[5:6], v[11:12]
	v_div_fixup_f64 v[3:4], v[3:4], v[9:10], v[7:8]
	s_delay_alu instid0(VALU_DEP_1) | instskip(NEXT) | instid1(VALU_DEP_1)
	v_fma_f64 v[5:6], v[7:8], v[3:4], v[9:10]
	v_div_scale_f64 v[11:12], null, v[5:6], v[5:6], 1.0
	v_div_scale_f64 v[21:22], vcc_lo, 1.0, v[5:6], 1.0
	s_delay_alu instid0(VALU_DEP_2) | instskip(NEXT) | instid1(TRANS32_DEP_1)
	v_rcp_f64_e32 v[13:14], v[11:12]
	v_fma_f64 v[19:20], -v[11:12], v[13:14], 1.0
	s_delay_alu instid0(VALU_DEP_1) | instskip(NEXT) | instid1(VALU_DEP_1)
	v_fma_f64 v[13:14], v[13:14], v[19:20], v[13:14]
	v_fma_f64 v[19:20], -v[11:12], v[13:14], 1.0
	s_delay_alu instid0(VALU_DEP_1) | instskip(NEXT) | instid1(VALU_DEP_1)
	v_fma_f64 v[13:14], v[13:14], v[19:20], v[13:14]
	v_mul_f64_e32 v[19:20], v[21:22], v[13:14]
	s_delay_alu instid0(VALU_DEP_1) | instskip(SKIP_1) | instid1(VALU_DEP_1)
	v_fma_f64 v[11:12], -v[11:12], v[19:20], v[21:22]
	s_wait_alu 0xfffd
	v_div_fmas_f64 v[11:12], v[11:12], v[13:14], v[19:20]
	v_fma_f64 v[13:14], v[3:4], v[15:16], v[17:18]
	s_delay_alu instid0(VALU_DEP_2) | instskip(SKIP_1) | instid1(VALU_DEP_2)
	v_div_fixup_f64 v[5:6], v[11:12], v[5:6], 1.0
	v_fma_f64 v[11:12], v[3:4], v[17:18], -v[15:16]
	v_mul_f64_e32 v[3:4], v[13:14], v[5:6]
	s_delay_alu instid0(VALU_DEP_2)
	v_mul_f64_e32 v[5:6], v[11:12], v[5:6]
.LBB203_87:                             ;   in Loop: Header=BB203_3 Depth=1
	s_wait_alu 0xfffe
	s_and_not1_b32 vcc_lo, exec_lo, s18
	s_wait_alu 0xfffe
	s_cbranch_vccnz .LBB203_89
; %bb.88:                               ;   in Loop: Header=BB203_3 Depth=1
	v_div_scale_f64 v[3:4], null, v[7:8], v[7:8], v[9:10]
	v_div_scale_f64 v[13:14], vcc_lo, v[9:10], v[7:8], v[9:10]
	s_delay_alu instid0(VALU_DEP_2) | instskip(NEXT) | instid1(TRANS32_DEP_1)
	v_rcp_f64_e32 v[5:6], v[3:4]
	v_fma_f64 v[11:12], -v[3:4], v[5:6], 1.0
	s_delay_alu instid0(VALU_DEP_1) | instskip(NEXT) | instid1(VALU_DEP_1)
	v_fma_f64 v[5:6], v[5:6], v[11:12], v[5:6]
	v_fma_f64 v[11:12], -v[3:4], v[5:6], 1.0
	s_delay_alu instid0(VALU_DEP_1) | instskip(NEXT) | instid1(VALU_DEP_1)
	v_fma_f64 v[5:6], v[5:6], v[11:12], v[5:6]
	v_mul_f64_e32 v[11:12], v[13:14], v[5:6]
	s_delay_alu instid0(VALU_DEP_1) | instskip(SKIP_1) | instid1(VALU_DEP_1)
	v_fma_f64 v[3:4], -v[3:4], v[11:12], v[13:14]
	s_wait_alu 0xfffd
	v_div_fmas_f64 v[3:4], v[3:4], v[5:6], v[11:12]
	s_delay_alu instid0(VALU_DEP_1) | instskip(NEXT) | instid1(VALU_DEP_1)
	v_div_fixup_f64 v[3:4], v[3:4], v[7:8], v[9:10]
	v_fma_f64 v[5:6], v[9:10], v[3:4], v[7:8]
	s_delay_alu instid0(VALU_DEP_1) | instskip(SKIP_1) | instid1(VALU_DEP_2)
	v_div_scale_f64 v[7:8], null, v[5:6], v[5:6], 1.0
	v_div_scale_f64 v[13:14], vcc_lo, 1.0, v[5:6], 1.0
	v_rcp_f64_e32 v[9:10], v[7:8]
	s_delay_alu instid0(TRANS32_DEP_1) | instskip(NEXT) | instid1(VALU_DEP_1)
	v_fma_f64 v[11:12], -v[7:8], v[9:10], 1.0
	v_fma_f64 v[9:10], v[9:10], v[11:12], v[9:10]
	s_delay_alu instid0(VALU_DEP_1) | instskip(NEXT) | instid1(VALU_DEP_1)
	v_fma_f64 v[11:12], -v[7:8], v[9:10], 1.0
	v_fma_f64 v[9:10], v[9:10], v[11:12], v[9:10]
	s_delay_alu instid0(VALU_DEP_1) | instskip(NEXT) | instid1(VALU_DEP_1)
	v_mul_f64_e32 v[11:12], v[13:14], v[9:10]
	v_fma_f64 v[7:8], -v[7:8], v[11:12], v[13:14]
	s_wait_alu 0xfffd
	s_delay_alu instid0(VALU_DEP_1) | instskip(SKIP_1) | instid1(VALU_DEP_2)
	v_div_fmas_f64 v[7:8], v[7:8], v[9:10], v[11:12]
	v_fma_f64 v[9:10], v[3:4], v[17:18], v[15:16]
	v_div_fixup_f64 v[5:6], v[7:8], v[5:6], 1.0
	v_fma_f64 v[7:8], -v[3:4], v[15:16], v[17:18]
	s_delay_alu instid0(VALU_DEP_2) | instskip(NEXT) | instid1(VALU_DEP_2)
	v_mul_f64_e32 v[3:4], v[9:10], v[5:6]
	v_mul_f64_e32 v[5:6], v[7:8], v[5:6]
.LBB203_89:                             ;   in Loop: Header=BB203_3 Depth=1
	s_mov_b32 s18, s50
	ds_store_b128 v35, v[3:6]
.LBB203_90:                             ;   in Loop: Header=BB203_3 Depth=1
	s_wait_alu 0xfffe
	s_cmp_lt_i32 s18, 0
	s_cbranch_scc1 .LBB203_99
; %bb.91:                               ;   in Loop: Header=BB203_3 Depth=1
	s_lshl_b32 s19, s18, 6
	s_wait_alu 0xfffe
	s_add_co_i32 s19, s23, s19
	s_branch .LBB203_93
.LBB203_92:                             ;   in Loop: Header=BB203_93 Depth=2
	v_sub_co_u32 v3, s25, s18, 1
	s_and_b32 vcc_lo, exec_lo, s25
	s_sub_co_i32 s19, s19, 64
	ds_store_b128 v15, v[11:14]
	v_readfirstlane_b32 s18, v3
	s_wait_alu 0xfffe
	s_cbranch_vccnz .LBB203_99
.LBB203_93:                             ;   Parent Loop BB203_3 Depth=1
                                        ; =>  This Loop Header: Depth=2
                                        ;       Child Loop BB203_94 Depth 3
	s_wait_alu 0xf1ff
	v_lshl_add_u32 v15, s18, 6, v30
	v_mov_b32_e32 v7, v40
	s_cmp_le_i32 s29, s18
	s_wait_alu 0xfffe
	s_mov_b32 s25, s19
	s_mov_b32 s57, s29
	ds_load_b128 v[3:6], v15
	s_cbranch_scc1 .LBB203_95
.LBB203_94:                             ;   Parent Loop BB203_3 Depth=1
                                        ;     Parent Loop BB203_93 Depth=2
                                        ; =>    This Inner Loop Header: Depth=3
	s_wait_alu 0xfffe
	v_mov_b32_e32 v12, s25
	s_add_co_i32 s57, s57, -1
	s_add_co_i32 s25, s25, -16
	s_wait_alu 0xfffe
	s_cmp_le_u32 s57, s18
	ds_load_b128 v[8:11], v7
	ds_load_b128 v[16:19], v12
	v_subrev_nc_u32_e32 v7, 64, v7
	s_wait_dscnt 0x0
	v_mul_f64_e32 v[12:13], v[18:19], v[10:11]
	v_mul_f64_e32 v[10:11], v[16:17], v[10:11]
	s_delay_alu instid0(VALU_DEP_2) | instskip(NEXT) | instid1(VALU_DEP_2)
	v_fma_f64 v[12:13], v[16:17], v[8:9], -v[12:13]
	v_fma_f64 v[8:9], v[18:19], v[8:9], v[10:11]
	s_delay_alu instid0(VALU_DEP_2) | instskip(NEXT) | instid1(VALU_DEP_2)
	v_add_f64_e64 v[3:4], v[3:4], -v[12:13]
	v_add_f64_e64 v[5:6], v[5:6], -v[8:9]
	s_cbranch_scc0 .LBB203_94
.LBB203_95:                             ;   in Loop: Header=BB203_93 Depth=2
	s_mul_i32 s25, s18, 0x50
                                        ; implicit-def: $vgpr11_vgpr12
	s_wait_alu 0xfffe
	v_mov_b32_e32 v7, s25
	ds_load_b128 v[7:10], v7
	s_wait_dscnt 0x0
	v_cmp_ngt_f64_e64 s25, |v[7:8]|, |v[9:10]|
	s_and_b32 vcc_lo, exec_lo, s25
	s_mov_b32 s25, -1
	s_wait_alu 0xfffe
	s_cbranch_vccz .LBB203_97
; %bb.96:                               ;   in Loop: Header=BB203_93 Depth=2
	v_div_scale_f64 v[11:12], null, v[9:10], v[9:10], v[7:8]
	v_div_scale_f64 v[18:19], vcc_lo, v[7:8], v[9:10], v[7:8]
	s_mov_b32 s25, 0
	v_rcp_f64_e32 v[13:14], v[11:12]
	s_delay_alu instid0(TRANS32_DEP_1) | instskip(NEXT) | instid1(VALU_DEP_1)
	v_fma_f64 v[16:17], -v[11:12], v[13:14], 1.0
	v_fma_f64 v[13:14], v[13:14], v[16:17], v[13:14]
	s_delay_alu instid0(VALU_DEP_1) | instskip(NEXT) | instid1(VALU_DEP_1)
	v_fma_f64 v[16:17], -v[11:12], v[13:14], 1.0
	v_fma_f64 v[13:14], v[13:14], v[16:17], v[13:14]
	s_delay_alu instid0(VALU_DEP_1) | instskip(NEXT) | instid1(VALU_DEP_1)
	v_mul_f64_e32 v[16:17], v[18:19], v[13:14]
	v_fma_f64 v[11:12], -v[11:12], v[16:17], v[18:19]
	s_wait_alu 0xfffd
	s_delay_alu instid0(VALU_DEP_1) | instskip(NEXT) | instid1(VALU_DEP_1)
	v_div_fmas_f64 v[11:12], v[11:12], v[13:14], v[16:17]
	v_div_fixup_f64 v[11:12], v[11:12], v[9:10], v[7:8]
	s_delay_alu instid0(VALU_DEP_1) | instskip(NEXT) | instid1(VALU_DEP_1)
	v_fma_f64 v[13:14], v[7:8], v[11:12], v[9:10]
	v_div_scale_f64 v[16:17], null, v[13:14], v[13:14], 1.0
	v_div_scale_f64 v[22:23], vcc_lo, 1.0, v[13:14], 1.0
	s_delay_alu instid0(VALU_DEP_2) | instskip(NEXT) | instid1(TRANS32_DEP_1)
	v_rcp_f64_e32 v[18:19], v[16:17]
	v_fma_f64 v[20:21], -v[16:17], v[18:19], 1.0
	s_delay_alu instid0(VALU_DEP_1) | instskip(NEXT) | instid1(VALU_DEP_1)
	v_fma_f64 v[18:19], v[18:19], v[20:21], v[18:19]
	v_fma_f64 v[20:21], -v[16:17], v[18:19], 1.0
	s_delay_alu instid0(VALU_DEP_1) | instskip(NEXT) | instid1(VALU_DEP_1)
	v_fma_f64 v[18:19], v[18:19], v[20:21], v[18:19]
	v_mul_f64_e32 v[20:21], v[22:23], v[18:19]
	s_delay_alu instid0(VALU_DEP_1) | instskip(SKIP_1) | instid1(VALU_DEP_1)
	v_fma_f64 v[16:17], -v[16:17], v[20:21], v[22:23]
	s_wait_alu 0xfffd
	v_div_fmas_f64 v[16:17], v[16:17], v[18:19], v[20:21]
	v_fma_f64 v[18:19], v[3:4], v[11:12], v[5:6]
	s_delay_alu instid0(VALU_DEP_2) | instskip(SKIP_1) | instid1(VALU_DEP_2)
	v_div_fixup_f64 v[13:14], v[16:17], v[13:14], 1.0
	v_fma_f64 v[16:17], v[5:6], v[11:12], -v[3:4]
	v_mul_f64_e32 v[11:12], v[18:19], v[13:14]
	s_delay_alu instid0(VALU_DEP_2)
	v_mul_f64_e32 v[13:14], v[16:17], v[13:14]
.LBB203_97:                             ;   in Loop: Header=BB203_93 Depth=2
	s_wait_alu 0xfffe
	s_and_not1_b32 vcc_lo, exec_lo, s25
	s_wait_alu 0xfffe
	s_cbranch_vccnz .LBB203_92
; %bb.98:                               ;   in Loop: Header=BB203_93 Depth=2
	v_div_scale_f64 v[11:12], null, v[7:8], v[7:8], v[9:10]
	v_div_scale_f64 v[18:19], vcc_lo, v[9:10], v[7:8], v[9:10]
	s_delay_alu instid0(VALU_DEP_2) | instskip(NEXT) | instid1(TRANS32_DEP_1)
	v_rcp_f64_e32 v[13:14], v[11:12]
	v_fma_f64 v[16:17], -v[11:12], v[13:14], 1.0
	s_delay_alu instid0(VALU_DEP_1) | instskip(NEXT) | instid1(VALU_DEP_1)
	v_fma_f64 v[13:14], v[13:14], v[16:17], v[13:14]
	v_fma_f64 v[16:17], -v[11:12], v[13:14], 1.0
	s_delay_alu instid0(VALU_DEP_1) | instskip(NEXT) | instid1(VALU_DEP_1)
	v_fma_f64 v[13:14], v[13:14], v[16:17], v[13:14]
	v_mul_f64_e32 v[16:17], v[18:19], v[13:14]
	s_delay_alu instid0(VALU_DEP_1) | instskip(SKIP_1) | instid1(VALU_DEP_1)
	v_fma_f64 v[11:12], -v[11:12], v[16:17], v[18:19]
	s_wait_alu 0xfffd
	v_div_fmas_f64 v[11:12], v[11:12], v[13:14], v[16:17]
	s_delay_alu instid0(VALU_DEP_1) | instskip(NEXT) | instid1(VALU_DEP_1)
	v_div_fixup_f64 v[11:12], v[11:12], v[7:8], v[9:10]
	v_fma_f64 v[7:8], v[9:10], v[11:12], v[7:8]
	s_delay_alu instid0(VALU_DEP_1) | instskip(SKIP_1) | instid1(VALU_DEP_2)
	v_div_scale_f64 v[9:10], null, v[7:8], v[7:8], 1.0
	v_div_scale_f64 v[18:19], vcc_lo, 1.0, v[7:8], 1.0
	v_rcp_f64_e32 v[13:14], v[9:10]
	s_delay_alu instid0(TRANS32_DEP_1) | instskip(NEXT) | instid1(VALU_DEP_1)
	v_fma_f64 v[16:17], -v[9:10], v[13:14], 1.0
	v_fma_f64 v[13:14], v[13:14], v[16:17], v[13:14]
	s_delay_alu instid0(VALU_DEP_1) | instskip(NEXT) | instid1(VALU_DEP_1)
	v_fma_f64 v[16:17], -v[9:10], v[13:14], 1.0
	v_fma_f64 v[13:14], v[13:14], v[16:17], v[13:14]
	s_delay_alu instid0(VALU_DEP_1) | instskip(NEXT) | instid1(VALU_DEP_1)
	v_mul_f64_e32 v[16:17], v[18:19], v[13:14]
	v_fma_f64 v[9:10], -v[9:10], v[16:17], v[18:19]
	s_wait_alu 0xfffd
	s_delay_alu instid0(VALU_DEP_1) | instskip(SKIP_2) | instid1(VALU_DEP_3)
	v_div_fmas_f64 v[9:10], v[9:10], v[13:14], v[16:17]
	v_fma_f64 v[13:14], v[5:6], v[11:12], v[3:4]
	v_fma_f64 v[3:4], -v[3:4], v[11:12], v[5:6]
	v_div_fixup_f64 v[7:8], v[9:10], v[7:8], 1.0
	s_delay_alu instid0(VALU_DEP_1) | instskip(NEXT) | instid1(VALU_DEP_3)
	v_mul_f64_e32 v[11:12], v[13:14], v[7:8]
	v_mul_f64_e32 v[13:14], v[3:4], v[7:8]
	s_branch .LBB203_92
.LBB203_99:                             ;   in Loop: Header=BB203_3 Depth=1
	s_mov_b32 s18, 0
.LBB203_100:                            ;   in Loop: Header=BB203_3 Depth=1
	s_wait_alu 0xfffe
	s_and_not1_b32 vcc_lo, exec_lo, s18
	s_wait_alu 0xfffe
	s_cbranch_vccnz .LBB203_128
; %bb.101:                              ;   in Loop: Header=BB203_3 Depth=1
	s_and_not1_b32 vcc_lo, exec_lo, s34
	s_mov_b32 s18, 0
	s_wait_alu 0xfffe
	s_cbranch_vccnz .LBB203_119
; %bb.102:                              ;   in Loop: Header=BB203_3 Depth=1
	ds_load_b128 v[23:26], v1
	ds_load_b128 v[19:22], v30
	ds_load_b128 v[15:18], v30 offset:64
	ds_load_b128 v[11:14], v30 offset:128
	;; [unrolled: 1-line block ×3, first 2 shown]
                                        ; implicit-def: $vgpr9_vgpr10
	s_wait_dscnt 0x4
	v_cmp_ngt_f64_e64 s18, |v[23:24]|, |v[25:26]|
	s_and_b32 vcc_lo, exec_lo, s18
	s_mov_b32 s18, -1
	s_wait_alu 0xfffe
	s_cbranch_vccz .LBB203_104
; %bb.103:                              ;   in Loop: Header=BB203_3 Depth=1
	v_div_scale_f64 v[7:8], null, v[25:26], v[25:26], v[23:24]
	v_div_scale_f64 v[44:45], vcc_lo, v[23:24], v[25:26], v[23:24]
	s_mov_b32 s18, 0
	v_rcp_f64_e32 v[9:10], v[7:8]
	s_delay_alu instid0(TRANS32_DEP_1) | instskip(NEXT) | instid1(VALU_DEP_1)
	v_fma_f64 v[42:43], -v[7:8], v[9:10], 1.0
	v_fma_f64 v[9:10], v[9:10], v[42:43], v[9:10]
	s_delay_alu instid0(VALU_DEP_1) | instskip(NEXT) | instid1(VALU_DEP_1)
	v_fma_f64 v[42:43], -v[7:8], v[9:10], 1.0
	v_fma_f64 v[9:10], v[9:10], v[42:43], v[9:10]
	s_delay_alu instid0(VALU_DEP_1) | instskip(NEXT) | instid1(VALU_DEP_1)
	v_mul_f64_e32 v[42:43], v[44:45], v[9:10]
	v_fma_f64 v[7:8], -v[7:8], v[42:43], v[44:45]
	s_wait_alu 0xfffd
	s_delay_alu instid0(VALU_DEP_1) | instskip(NEXT) | instid1(VALU_DEP_1)
	v_div_fmas_f64 v[7:8], v[7:8], v[9:10], v[42:43]
	v_div_fixup_f64 v[7:8], v[7:8], v[25:26], v[23:24]
	s_delay_alu instid0(VALU_DEP_1) | instskip(NEXT) | instid1(VALU_DEP_1)
	v_fma_f64 v[9:10], v[23:24], v[7:8], v[25:26]
	v_div_scale_f64 v[42:43], null, v[9:10], v[9:10], 1.0
	v_div_scale_f64 v[48:49], vcc_lo, 1.0, v[9:10], 1.0
	s_delay_alu instid0(VALU_DEP_2) | instskip(NEXT) | instid1(TRANS32_DEP_1)
	v_rcp_f64_e32 v[44:45], v[42:43]
	v_fma_f64 v[46:47], -v[42:43], v[44:45], 1.0
	s_delay_alu instid0(VALU_DEP_1) | instskip(NEXT) | instid1(VALU_DEP_1)
	v_fma_f64 v[44:45], v[44:45], v[46:47], v[44:45]
	v_fma_f64 v[46:47], -v[42:43], v[44:45], 1.0
	s_delay_alu instid0(VALU_DEP_1) | instskip(NEXT) | instid1(VALU_DEP_1)
	v_fma_f64 v[44:45], v[44:45], v[46:47], v[44:45]
	v_mul_f64_e32 v[46:47], v[48:49], v[44:45]
	s_delay_alu instid0(VALU_DEP_1) | instskip(SKIP_1) | instid1(VALU_DEP_1)
	v_fma_f64 v[42:43], -v[42:43], v[46:47], v[48:49]
	s_wait_alu 0xfffd
	v_div_fmas_f64 v[42:43], v[42:43], v[44:45], v[46:47]
	s_wait_dscnt 0x3
	v_fma_f64 v[44:45], v[19:20], v[7:8], v[21:22]
	s_delay_alu instid0(VALU_DEP_2) | instskip(SKIP_1) | instid1(VALU_DEP_2)
	v_div_fixup_f64 v[9:10], v[42:43], v[9:10], 1.0
	v_fma_f64 v[42:43], v[21:22], v[7:8], -v[19:20]
	v_mul_f64_e32 v[7:8], v[44:45], v[9:10]
	s_delay_alu instid0(VALU_DEP_2)
	v_mul_f64_e32 v[9:10], v[42:43], v[9:10]
.LBB203_104:                            ;   in Loop: Header=BB203_3 Depth=1
	s_wait_alu 0xfffe
	s_and_not1_b32 vcc_lo, exec_lo, s18
	s_wait_alu 0xfffe
	s_cbranch_vccnz .LBB203_106
; %bb.105:                              ;   in Loop: Header=BB203_3 Depth=1
	v_div_scale_f64 v[7:8], null, v[23:24], v[23:24], v[25:26]
	v_div_scale_f64 v[44:45], vcc_lo, v[25:26], v[23:24], v[25:26]
	s_delay_alu instid0(VALU_DEP_2) | instskip(NEXT) | instid1(TRANS32_DEP_1)
	v_rcp_f64_e32 v[9:10], v[7:8]
	v_fma_f64 v[42:43], -v[7:8], v[9:10], 1.0
	s_delay_alu instid0(VALU_DEP_1) | instskip(NEXT) | instid1(VALU_DEP_1)
	v_fma_f64 v[9:10], v[9:10], v[42:43], v[9:10]
	v_fma_f64 v[42:43], -v[7:8], v[9:10], 1.0
	s_delay_alu instid0(VALU_DEP_1) | instskip(NEXT) | instid1(VALU_DEP_1)
	v_fma_f64 v[9:10], v[9:10], v[42:43], v[9:10]
	v_mul_f64_e32 v[42:43], v[44:45], v[9:10]
	s_delay_alu instid0(VALU_DEP_1) | instskip(SKIP_1) | instid1(VALU_DEP_1)
	v_fma_f64 v[7:8], -v[7:8], v[42:43], v[44:45]
	s_wait_alu 0xfffd
	v_div_fmas_f64 v[7:8], v[7:8], v[9:10], v[42:43]
	s_delay_alu instid0(VALU_DEP_1) | instskip(NEXT) | instid1(VALU_DEP_1)
	v_div_fixup_f64 v[7:8], v[7:8], v[23:24], v[25:26]
	v_fma_f64 v[9:10], v[25:26], v[7:8], v[23:24]
	s_delay_alu instid0(VALU_DEP_1) | instskip(SKIP_1) | instid1(VALU_DEP_2)
	v_div_scale_f64 v[23:24], null, v[9:10], v[9:10], 1.0
	v_div_scale_f64 v[44:45], vcc_lo, 1.0, v[9:10], 1.0
	v_rcp_f64_e32 v[25:26], v[23:24]
	s_delay_alu instid0(TRANS32_DEP_1) | instskip(NEXT) | instid1(VALU_DEP_1)
	v_fma_f64 v[42:43], -v[23:24], v[25:26], 1.0
	v_fma_f64 v[25:26], v[25:26], v[42:43], v[25:26]
	s_delay_alu instid0(VALU_DEP_1) | instskip(NEXT) | instid1(VALU_DEP_1)
	v_fma_f64 v[42:43], -v[23:24], v[25:26], 1.0
	v_fma_f64 v[25:26], v[25:26], v[42:43], v[25:26]
	s_delay_alu instid0(VALU_DEP_1) | instskip(NEXT) | instid1(VALU_DEP_1)
	v_mul_f64_e32 v[42:43], v[44:45], v[25:26]
	v_fma_f64 v[23:24], -v[23:24], v[42:43], v[44:45]
	s_wait_alu 0xfffd
	s_delay_alu instid0(VALU_DEP_1) | instskip(SKIP_3) | instid1(VALU_DEP_3)
	v_div_fmas_f64 v[23:24], v[23:24], v[25:26], v[42:43]
	s_wait_dscnt 0x3
	v_fma_f64 v[25:26], v[21:22], v[7:8], v[19:20]
	v_fma_f64 v[19:20], -v[19:20], v[7:8], v[21:22]
	v_div_fixup_f64 v[9:10], v[23:24], v[9:10], 1.0
	s_delay_alu instid0(VALU_DEP_1) | instskip(NEXT) | instid1(VALU_DEP_3)
	v_mul_f64_e32 v[7:8], v[25:26], v[9:10]
	v_mul_f64_e32 v[9:10], v[19:20], v[9:10]
.LBB203_106:                            ;   in Loop: Header=BB203_3 Depth=1
	ds_load_b128 v[23:26], v1 offset:64
	s_wait_dscnt 0x4
	ds_load_b128 v[19:22], v1 offset:80
	ds_store_b128 v30, v[7:10]
	s_wait_dscnt 0x2
	v_mul_f64_e32 v[42:43], v[9:10], v[25:26]
	v_mul_f64_e32 v[25:26], v[7:8], v[25:26]
	s_wait_dscnt 0x1
	v_cmp_ngt_f64_e64 s18, |v[19:20]|, |v[21:22]|
	s_delay_alu instid0(VALU_DEP_3) | instskip(NEXT) | instid1(VALU_DEP_3)
	v_fma_f64 v[42:43], v[7:8], v[23:24], -v[42:43]
	v_fma_f64 v[25:26], v[9:10], v[23:24], v[25:26]
	s_and_b32 vcc_lo, exec_lo, s18
	s_mov_b32 s18, -1
	s_delay_alu instid0(VALU_DEP_2) | instskip(NEXT) | instid1(VALU_DEP_2)
	v_add_f64_e64 v[23:24], v[15:16], -v[42:43]
	v_add_f64_e64 v[25:26], v[17:18], -v[25:26]
                                        ; implicit-def: $vgpr17_vgpr18
	s_wait_alu 0xfffe
	s_cbranch_vccz .LBB203_108
; %bb.107:                              ;   in Loop: Header=BB203_3 Depth=1
	v_div_scale_f64 v[15:16], null, v[21:22], v[21:22], v[19:20]
	v_div_scale_f64 v[44:45], vcc_lo, v[19:20], v[21:22], v[19:20]
	s_mov_b32 s18, 0
	v_rcp_f64_e32 v[17:18], v[15:16]
	s_delay_alu instid0(TRANS32_DEP_1) | instskip(NEXT) | instid1(VALU_DEP_1)
	v_fma_f64 v[42:43], -v[15:16], v[17:18], 1.0
	v_fma_f64 v[17:18], v[17:18], v[42:43], v[17:18]
	s_delay_alu instid0(VALU_DEP_1) | instskip(NEXT) | instid1(VALU_DEP_1)
	v_fma_f64 v[42:43], -v[15:16], v[17:18], 1.0
	v_fma_f64 v[17:18], v[17:18], v[42:43], v[17:18]
	s_delay_alu instid0(VALU_DEP_1) | instskip(NEXT) | instid1(VALU_DEP_1)
	v_mul_f64_e32 v[42:43], v[44:45], v[17:18]
	v_fma_f64 v[15:16], -v[15:16], v[42:43], v[44:45]
	s_wait_alu 0xfffd
	s_delay_alu instid0(VALU_DEP_1) | instskip(NEXT) | instid1(VALU_DEP_1)
	v_div_fmas_f64 v[15:16], v[15:16], v[17:18], v[42:43]
	v_div_fixup_f64 v[15:16], v[15:16], v[21:22], v[19:20]
	s_delay_alu instid0(VALU_DEP_1) | instskip(NEXT) | instid1(VALU_DEP_1)
	v_fma_f64 v[17:18], v[19:20], v[15:16], v[21:22]
	v_div_scale_f64 v[42:43], null, v[17:18], v[17:18], 1.0
	v_div_scale_f64 v[48:49], vcc_lo, 1.0, v[17:18], 1.0
	s_delay_alu instid0(VALU_DEP_2) | instskip(NEXT) | instid1(TRANS32_DEP_1)
	v_rcp_f64_e32 v[44:45], v[42:43]
	v_fma_f64 v[46:47], -v[42:43], v[44:45], 1.0
	s_delay_alu instid0(VALU_DEP_1) | instskip(NEXT) | instid1(VALU_DEP_1)
	v_fma_f64 v[44:45], v[44:45], v[46:47], v[44:45]
	v_fma_f64 v[46:47], -v[42:43], v[44:45], 1.0
	s_delay_alu instid0(VALU_DEP_1) | instskip(NEXT) | instid1(VALU_DEP_1)
	v_fma_f64 v[44:45], v[44:45], v[46:47], v[44:45]
	v_mul_f64_e32 v[46:47], v[48:49], v[44:45]
	s_delay_alu instid0(VALU_DEP_1) | instskip(SKIP_1) | instid1(VALU_DEP_1)
	v_fma_f64 v[42:43], -v[42:43], v[46:47], v[48:49]
	s_wait_alu 0xfffd
	v_div_fmas_f64 v[42:43], v[42:43], v[44:45], v[46:47]
	v_fma_f64 v[44:45], v[15:16], v[23:24], v[25:26]
	s_delay_alu instid0(VALU_DEP_2) | instskip(SKIP_1) | instid1(VALU_DEP_2)
	v_div_fixup_f64 v[17:18], v[42:43], v[17:18], 1.0
	v_fma_f64 v[42:43], v[15:16], v[25:26], -v[23:24]
	v_mul_f64_e32 v[15:16], v[44:45], v[17:18]
	s_delay_alu instid0(VALU_DEP_2)
	v_mul_f64_e32 v[17:18], v[42:43], v[17:18]
.LBB203_108:                            ;   in Loop: Header=BB203_3 Depth=1
	s_wait_alu 0xfffe
	s_and_not1_b32 vcc_lo, exec_lo, s18
	s_wait_alu 0xfffe
	s_cbranch_vccnz .LBB203_110
; %bb.109:                              ;   in Loop: Header=BB203_3 Depth=1
	v_div_scale_f64 v[15:16], null, v[19:20], v[19:20], v[21:22]
	v_div_scale_f64 v[44:45], vcc_lo, v[21:22], v[19:20], v[21:22]
	s_delay_alu instid0(VALU_DEP_2) | instskip(NEXT) | instid1(TRANS32_DEP_1)
	v_rcp_f64_e32 v[17:18], v[15:16]
	v_fma_f64 v[42:43], -v[15:16], v[17:18], 1.0
	s_delay_alu instid0(VALU_DEP_1) | instskip(NEXT) | instid1(VALU_DEP_1)
	v_fma_f64 v[17:18], v[17:18], v[42:43], v[17:18]
	v_fma_f64 v[42:43], -v[15:16], v[17:18], 1.0
	s_delay_alu instid0(VALU_DEP_1) | instskip(NEXT) | instid1(VALU_DEP_1)
	v_fma_f64 v[17:18], v[17:18], v[42:43], v[17:18]
	v_mul_f64_e32 v[42:43], v[44:45], v[17:18]
	s_delay_alu instid0(VALU_DEP_1) | instskip(SKIP_1) | instid1(VALU_DEP_1)
	v_fma_f64 v[15:16], -v[15:16], v[42:43], v[44:45]
	s_wait_alu 0xfffd
	v_div_fmas_f64 v[15:16], v[15:16], v[17:18], v[42:43]
	s_delay_alu instid0(VALU_DEP_1) | instskip(NEXT) | instid1(VALU_DEP_1)
	v_div_fixup_f64 v[15:16], v[15:16], v[19:20], v[21:22]
	v_fma_f64 v[17:18], v[21:22], v[15:16], v[19:20]
	s_delay_alu instid0(VALU_DEP_1) | instskip(SKIP_1) | instid1(VALU_DEP_2)
	v_div_scale_f64 v[19:20], null, v[17:18], v[17:18], 1.0
	v_div_scale_f64 v[44:45], vcc_lo, 1.0, v[17:18], 1.0
	v_rcp_f64_e32 v[21:22], v[19:20]
	s_delay_alu instid0(TRANS32_DEP_1) | instskip(NEXT) | instid1(VALU_DEP_1)
	v_fma_f64 v[42:43], -v[19:20], v[21:22], 1.0
	v_fma_f64 v[21:22], v[21:22], v[42:43], v[21:22]
	s_delay_alu instid0(VALU_DEP_1) | instskip(NEXT) | instid1(VALU_DEP_1)
	v_fma_f64 v[42:43], -v[19:20], v[21:22], 1.0
	v_fma_f64 v[21:22], v[21:22], v[42:43], v[21:22]
	s_delay_alu instid0(VALU_DEP_1) | instskip(NEXT) | instid1(VALU_DEP_1)
	v_mul_f64_e32 v[42:43], v[44:45], v[21:22]
	v_fma_f64 v[19:20], -v[19:20], v[42:43], v[44:45]
	s_wait_alu 0xfffd
	s_delay_alu instid0(VALU_DEP_1) | instskip(SKIP_1) | instid1(VALU_DEP_2)
	v_div_fmas_f64 v[19:20], v[19:20], v[21:22], v[42:43]
	v_fma_f64 v[21:22], v[15:16], v[25:26], v[23:24]
	v_div_fixup_f64 v[17:18], v[19:20], v[17:18], 1.0
	v_fma_f64 v[19:20], -v[15:16], v[23:24], v[25:26]
	s_delay_alu instid0(VALU_DEP_2) | instskip(NEXT) | instid1(VALU_DEP_2)
	v_mul_f64_e32 v[15:16], v[21:22], v[17:18]
	v_mul_f64_e32 v[17:18], v[19:20], v[17:18]
.LBB203_110:                            ;   in Loop: Header=BB203_3 Depth=1
	ds_load_b128 v[19:22], v1 offset:128
	ds_load_b128 v[23:26], v1 offset:144
	ds_store_b128 v30, v[15:18] offset:64
	s_wait_dscnt 0x2
	v_mul_f64_e32 v[42:43], v[9:10], v[21:22]
	v_mul_f64_e32 v[21:22], v[7:8], v[21:22]
	s_wait_dscnt 0x1
	v_mul_f64_e32 v[44:45], v[17:18], v[25:26]
	v_mul_f64_e32 v[25:26], v[15:16], v[25:26]
	s_delay_alu instid0(VALU_DEP_4) | instskip(NEXT) | instid1(VALU_DEP_4)
	v_fma_f64 v[42:43], v[7:8], v[19:20], -v[42:43]
	v_fma_f64 v[19:20], v[9:10], v[19:20], v[21:22]
	s_delay_alu instid0(VALU_DEP_4) | instskip(NEXT) | instid1(VALU_DEP_4)
	v_fma_f64 v[44:45], v[15:16], v[23:24], -v[44:45]
	v_fma_f64 v[25:26], v[17:18], v[23:24], v[25:26]
	s_delay_alu instid0(VALU_DEP_4) | instskip(NEXT) | instid1(VALU_DEP_4)
	v_add_f64_e64 v[11:12], v[11:12], -v[42:43]
	v_add_f64_e64 v[13:14], v[13:14], -v[19:20]
	ds_load_b128 v[19:22], v1 offset:160
	s_wait_dscnt 0x0
	v_cmp_ngt_f64_e64 s18, |v[19:20]|, |v[21:22]|
	v_add_f64_e64 v[23:24], v[11:12], -v[44:45]
	v_add_f64_e64 v[25:26], v[13:14], -v[25:26]
                                        ; implicit-def: $vgpr13_vgpr14
	s_and_b32 vcc_lo, exec_lo, s18
	s_mov_b32 s18, -1
	s_wait_alu 0xfffe
	s_cbranch_vccz .LBB203_112
; %bb.111:                              ;   in Loop: Header=BB203_3 Depth=1
	v_div_scale_f64 v[11:12], null, v[21:22], v[21:22], v[19:20]
	v_div_scale_f64 v[44:45], vcc_lo, v[19:20], v[21:22], v[19:20]
	s_mov_b32 s18, 0
	v_rcp_f64_e32 v[13:14], v[11:12]
	s_delay_alu instid0(TRANS32_DEP_1) | instskip(NEXT) | instid1(VALU_DEP_1)
	v_fma_f64 v[42:43], -v[11:12], v[13:14], 1.0
	v_fma_f64 v[13:14], v[13:14], v[42:43], v[13:14]
	s_delay_alu instid0(VALU_DEP_1) | instskip(NEXT) | instid1(VALU_DEP_1)
	v_fma_f64 v[42:43], -v[11:12], v[13:14], 1.0
	v_fma_f64 v[13:14], v[13:14], v[42:43], v[13:14]
	s_delay_alu instid0(VALU_DEP_1) | instskip(NEXT) | instid1(VALU_DEP_1)
	v_mul_f64_e32 v[42:43], v[44:45], v[13:14]
	v_fma_f64 v[11:12], -v[11:12], v[42:43], v[44:45]
	s_wait_alu 0xfffd
	s_delay_alu instid0(VALU_DEP_1) | instskip(NEXT) | instid1(VALU_DEP_1)
	v_div_fmas_f64 v[11:12], v[11:12], v[13:14], v[42:43]
	v_div_fixup_f64 v[11:12], v[11:12], v[21:22], v[19:20]
	s_delay_alu instid0(VALU_DEP_1) | instskip(NEXT) | instid1(VALU_DEP_1)
	v_fma_f64 v[13:14], v[19:20], v[11:12], v[21:22]
	v_div_scale_f64 v[42:43], null, v[13:14], v[13:14], 1.0
	v_div_scale_f64 v[48:49], vcc_lo, 1.0, v[13:14], 1.0
	s_delay_alu instid0(VALU_DEP_2) | instskip(NEXT) | instid1(TRANS32_DEP_1)
	v_rcp_f64_e32 v[44:45], v[42:43]
	v_fma_f64 v[46:47], -v[42:43], v[44:45], 1.0
	s_delay_alu instid0(VALU_DEP_1) | instskip(NEXT) | instid1(VALU_DEP_1)
	v_fma_f64 v[44:45], v[44:45], v[46:47], v[44:45]
	v_fma_f64 v[46:47], -v[42:43], v[44:45], 1.0
	s_delay_alu instid0(VALU_DEP_1) | instskip(NEXT) | instid1(VALU_DEP_1)
	v_fma_f64 v[44:45], v[44:45], v[46:47], v[44:45]
	v_mul_f64_e32 v[46:47], v[48:49], v[44:45]
	s_delay_alu instid0(VALU_DEP_1) | instskip(SKIP_1) | instid1(VALU_DEP_1)
	v_fma_f64 v[42:43], -v[42:43], v[46:47], v[48:49]
	s_wait_alu 0xfffd
	v_div_fmas_f64 v[42:43], v[42:43], v[44:45], v[46:47]
	v_fma_f64 v[44:45], v[11:12], v[23:24], v[25:26]
	s_delay_alu instid0(VALU_DEP_2) | instskip(SKIP_1) | instid1(VALU_DEP_2)
	v_div_fixup_f64 v[13:14], v[42:43], v[13:14], 1.0
	v_fma_f64 v[42:43], v[11:12], v[25:26], -v[23:24]
	v_mul_f64_e32 v[11:12], v[44:45], v[13:14]
	s_delay_alu instid0(VALU_DEP_2)
	v_mul_f64_e32 v[13:14], v[42:43], v[13:14]
.LBB203_112:                            ;   in Loop: Header=BB203_3 Depth=1
	s_wait_alu 0xfffe
	s_and_not1_b32 vcc_lo, exec_lo, s18
	s_wait_alu 0xfffe
	s_cbranch_vccnz .LBB203_114
; %bb.113:                              ;   in Loop: Header=BB203_3 Depth=1
	v_div_scale_f64 v[11:12], null, v[19:20], v[19:20], v[21:22]
	v_div_scale_f64 v[44:45], vcc_lo, v[21:22], v[19:20], v[21:22]
	s_delay_alu instid0(VALU_DEP_2) | instskip(NEXT) | instid1(TRANS32_DEP_1)
	v_rcp_f64_e32 v[13:14], v[11:12]
	v_fma_f64 v[42:43], -v[11:12], v[13:14], 1.0
	s_delay_alu instid0(VALU_DEP_1) | instskip(NEXT) | instid1(VALU_DEP_1)
	v_fma_f64 v[13:14], v[13:14], v[42:43], v[13:14]
	v_fma_f64 v[42:43], -v[11:12], v[13:14], 1.0
	s_delay_alu instid0(VALU_DEP_1) | instskip(NEXT) | instid1(VALU_DEP_1)
	v_fma_f64 v[13:14], v[13:14], v[42:43], v[13:14]
	v_mul_f64_e32 v[42:43], v[44:45], v[13:14]
	s_delay_alu instid0(VALU_DEP_1) | instskip(SKIP_1) | instid1(VALU_DEP_1)
	v_fma_f64 v[11:12], -v[11:12], v[42:43], v[44:45]
	s_wait_alu 0xfffd
	v_div_fmas_f64 v[11:12], v[11:12], v[13:14], v[42:43]
	s_delay_alu instid0(VALU_DEP_1) | instskip(NEXT) | instid1(VALU_DEP_1)
	v_div_fixup_f64 v[11:12], v[11:12], v[19:20], v[21:22]
	v_fma_f64 v[13:14], v[21:22], v[11:12], v[19:20]
	s_delay_alu instid0(VALU_DEP_1) | instskip(SKIP_1) | instid1(VALU_DEP_2)
	v_div_scale_f64 v[19:20], null, v[13:14], v[13:14], 1.0
	v_div_scale_f64 v[44:45], vcc_lo, 1.0, v[13:14], 1.0
	v_rcp_f64_e32 v[21:22], v[19:20]
	s_delay_alu instid0(TRANS32_DEP_1) | instskip(NEXT) | instid1(VALU_DEP_1)
	v_fma_f64 v[42:43], -v[19:20], v[21:22], 1.0
	v_fma_f64 v[21:22], v[21:22], v[42:43], v[21:22]
	s_delay_alu instid0(VALU_DEP_1) | instskip(NEXT) | instid1(VALU_DEP_1)
	v_fma_f64 v[42:43], -v[19:20], v[21:22], 1.0
	v_fma_f64 v[21:22], v[21:22], v[42:43], v[21:22]
	s_delay_alu instid0(VALU_DEP_1) | instskip(NEXT) | instid1(VALU_DEP_1)
	v_mul_f64_e32 v[42:43], v[44:45], v[21:22]
	v_fma_f64 v[19:20], -v[19:20], v[42:43], v[44:45]
	s_wait_alu 0xfffd
	s_delay_alu instid0(VALU_DEP_1) | instskip(SKIP_1) | instid1(VALU_DEP_2)
	v_div_fmas_f64 v[19:20], v[19:20], v[21:22], v[42:43]
	v_fma_f64 v[21:22], v[11:12], v[25:26], v[23:24]
	v_div_fixup_f64 v[13:14], v[19:20], v[13:14], 1.0
	v_fma_f64 v[19:20], -v[11:12], v[23:24], v[25:26]
	s_delay_alu instid0(VALU_DEP_2) | instskip(NEXT) | instid1(VALU_DEP_2)
	v_mul_f64_e32 v[11:12], v[21:22], v[13:14]
	v_mul_f64_e32 v[13:14], v[19:20], v[13:14]
.LBB203_114:                            ;   in Loop: Header=BB203_3 Depth=1
	ds_load_b128 v[19:22], v1 offset:192
	ds_load_b128 v[23:26], v1 offset:208
	s_wait_dscnt 0x1
	v_mul_f64_e32 v[42:43], v[9:10], v[21:22]
	v_mul_f64_e32 v[21:22], v[7:8], v[21:22]
	s_wait_dscnt 0x0
	v_mul_f64_e32 v[44:45], v[17:18], v[25:26]
	v_mul_f64_e32 v[25:26], v[15:16], v[25:26]
	s_delay_alu instid0(VALU_DEP_4) | instskip(NEXT) | instid1(VALU_DEP_4)
	v_fma_f64 v[42:43], v[7:8], v[19:20], -v[42:43]
	v_fma_f64 v[46:47], v[9:10], v[19:20], v[21:22]
	ds_load_b128 v[19:22], v1 offset:224
	ds_load_b128 v[7:10], v1 offset:240
	v_fma_f64 v[15:16], v[15:16], v[23:24], -v[44:45]
	v_fma_f64 v[17:18], v[17:18], v[23:24], v[25:26]
	ds_store_b128 v30, v[11:14] offset:128
	s_wait_dscnt 0x2
	v_mul_f64_e32 v[48:49], v[13:14], v[21:22]
	v_mul_f64_e32 v[21:22], v[11:12], v[21:22]
	s_wait_dscnt 0x1
	v_cmp_ngt_f64_e64 s18, |v[7:8]|, |v[9:10]|
	v_add_f64_e64 v[3:4], v[3:4], -v[42:43]
	v_add_f64_e64 v[5:6], v[5:6], -v[46:47]
	v_fma_f64 v[23:24], v[11:12], v[19:20], -v[48:49]
	v_fma_f64 v[19:20], v[13:14], v[19:20], v[21:22]
	s_and_b32 vcc_lo, exec_lo, s18
	s_mov_b32 s18, -1
	s_delay_alu instid0(VALU_DEP_4) | instskip(NEXT) | instid1(VALU_DEP_4)
	v_add_f64_e64 v[3:4], v[3:4], -v[15:16]
	v_add_f64_e64 v[5:6], v[5:6], -v[17:18]
	s_delay_alu instid0(VALU_DEP_2) | instskip(NEXT) | instid1(VALU_DEP_2)
	v_add_f64_e64 v[15:16], v[3:4], -v[23:24]
	v_add_f64_e64 v[17:18], v[5:6], -v[19:20]
                                        ; implicit-def: $vgpr5_vgpr6
	s_wait_alu 0xfffe
	s_cbranch_vccz .LBB203_116
; %bb.115:                              ;   in Loop: Header=BB203_3 Depth=1
	v_div_scale_f64 v[3:4], null, v[9:10], v[9:10], v[7:8]
	v_div_scale_f64 v[13:14], vcc_lo, v[7:8], v[9:10], v[7:8]
	s_mov_b32 s18, 0
	v_rcp_f64_e32 v[5:6], v[3:4]
	s_delay_alu instid0(TRANS32_DEP_1) | instskip(NEXT) | instid1(VALU_DEP_1)
	v_fma_f64 v[11:12], -v[3:4], v[5:6], 1.0
	v_fma_f64 v[5:6], v[5:6], v[11:12], v[5:6]
	s_delay_alu instid0(VALU_DEP_1) | instskip(NEXT) | instid1(VALU_DEP_1)
	v_fma_f64 v[11:12], -v[3:4], v[5:6], 1.0
	v_fma_f64 v[5:6], v[5:6], v[11:12], v[5:6]
	s_delay_alu instid0(VALU_DEP_1) | instskip(NEXT) | instid1(VALU_DEP_1)
	v_mul_f64_e32 v[11:12], v[13:14], v[5:6]
	v_fma_f64 v[3:4], -v[3:4], v[11:12], v[13:14]
	s_wait_alu 0xfffd
	s_delay_alu instid0(VALU_DEP_1) | instskip(NEXT) | instid1(VALU_DEP_1)
	v_div_fmas_f64 v[3:4], v[3:4], v[5:6], v[11:12]
	v_div_fixup_f64 v[3:4], v[3:4], v[9:10], v[7:8]
	s_delay_alu instid0(VALU_DEP_1) | instskip(NEXT) | instid1(VALU_DEP_1)
	v_fma_f64 v[5:6], v[7:8], v[3:4], v[9:10]
	v_div_scale_f64 v[11:12], null, v[5:6], v[5:6], 1.0
	v_div_scale_f64 v[21:22], vcc_lo, 1.0, v[5:6], 1.0
	s_delay_alu instid0(VALU_DEP_2) | instskip(NEXT) | instid1(TRANS32_DEP_1)
	v_rcp_f64_e32 v[13:14], v[11:12]
	v_fma_f64 v[19:20], -v[11:12], v[13:14], 1.0
	s_delay_alu instid0(VALU_DEP_1) | instskip(NEXT) | instid1(VALU_DEP_1)
	v_fma_f64 v[13:14], v[13:14], v[19:20], v[13:14]
	v_fma_f64 v[19:20], -v[11:12], v[13:14], 1.0
	s_delay_alu instid0(VALU_DEP_1) | instskip(NEXT) | instid1(VALU_DEP_1)
	v_fma_f64 v[13:14], v[13:14], v[19:20], v[13:14]
	v_mul_f64_e32 v[19:20], v[21:22], v[13:14]
	s_delay_alu instid0(VALU_DEP_1) | instskip(SKIP_1) | instid1(VALU_DEP_1)
	v_fma_f64 v[11:12], -v[11:12], v[19:20], v[21:22]
	s_wait_alu 0xfffd
	v_div_fmas_f64 v[11:12], v[11:12], v[13:14], v[19:20]
	v_fma_f64 v[13:14], v[3:4], v[15:16], v[17:18]
	s_delay_alu instid0(VALU_DEP_2) | instskip(SKIP_1) | instid1(VALU_DEP_2)
	v_div_fixup_f64 v[5:6], v[11:12], v[5:6], 1.0
	v_fma_f64 v[11:12], v[3:4], v[17:18], -v[15:16]
	v_mul_f64_e32 v[3:4], v[13:14], v[5:6]
	s_delay_alu instid0(VALU_DEP_2)
	v_mul_f64_e32 v[5:6], v[11:12], v[5:6]
.LBB203_116:                            ;   in Loop: Header=BB203_3 Depth=1
	s_wait_alu 0xfffe
	s_and_not1_b32 vcc_lo, exec_lo, s18
	s_wait_alu 0xfffe
	s_cbranch_vccnz .LBB203_118
; %bb.117:                              ;   in Loop: Header=BB203_3 Depth=1
	v_div_scale_f64 v[3:4], null, v[7:8], v[7:8], v[9:10]
	v_div_scale_f64 v[13:14], vcc_lo, v[9:10], v[7:8], v[9:10]
	s_delay_alu instid0(VALU_DEP_2) | instskip(NEXT) | instid1(TRANS32_DEP_1)
	v_rcp_f64_e32 v[5:6], v[3:4]
	v_fma_f64 v[11:12], -v[3:4], v[5:6], 1.0
	s_delay_alu instid0(VALU_DEP_1) | instskip(NEXT) | instid1(VALU_DEP_1)
	v_fma_f64 v[5:6], v[5:6], v[11:12], v[5:6]
	v_fma_f64 v[11:12], -v[3:4], v[5:6], 1.0
	s_delay_alu instid0(VALU_DEP_1) | instskip(NEXT) | instid1(VALU_DEP_1)
	v_fma_f64 v[5:6], v[5:6], v[11:12], v[5:6]
	v_mul_f64_e32 v[11:12], v[13:14], v[5:6]
	s_delay_alu instid0(VALU_DEP_1) | instskip(SKIP_1) | instid1(VALU_DEP_1)
	v_fma_f64 v[3:4], -v[3:4], v[11:12], v[13:14]
	s_wait_alu 0xfffd
	v_div_fmas_f64 v[3:4], v[3:4], v[5:6], v[11:12]
	s_delay_alu instid0(VALU_DEP_1) | instskip(NEXT) | instid1(VALU_DEP_1)
	v_div_fixup_f64 v[3:4], v[3:4], v[7:8], v[9:10]
	v_fma_f64 v[5:6], v[9:10], v[3:4], v[7:8]
	s_delay_alu instid0(VALU_DEP_1) | instskip(SKIP_1) | instid1(VALU_DEP_2)
	v_div_scale_f64 v[7:8], null, v[5:6], v[5:6], 1.0
	v_div_scale_f64 v[13:14], vcc_lo, 1.0, v[5:6], 1.0
	v_rcp_f64_e32 v[9:10], v[7:8]
	s_delay_alu instid0(TRANS32_DEP_1) | instskip(NEXT) | instid1(VALU_DEP_1)
	v_fma_f64 v[11:12], -v[7:8], v[9:10], 1.0
	v_fma_f64 v[9:10], v[9:10], v[11:12], v[9:10]
	s_delay_alu instid0(VALU_DEP_1) | instskip(NEXT) | instid1(VALU_DEP_1)
	v_fma_f64 v[11:12], -v[7:8], v[9:10], 1.0
	v_fma_f64 v[9:10], v[9:10], v[11:12], v[9:10]
	s_delay_alu instid0(VALU_DEP_1) | instskip(NEXT) | instid1(VALU_DEP_1)
	v_mul_f64_e32 v[11:12], v[13:14], v[9:10]
	v_fma_f64 v[7:8], -v[7:8], v[11:12], v[13:14]
	s_wait_alu 0xfffd
	s_delay_alu instid0(VALU_DEP_1) | instskip(SKIP_1) | instid1(VALU_DEP_2)
	v_div_fmas_f64 v[7:8], v[7:8], v[9:10], v[11:12]
	v_fma_f64 v[9:10], v[3:4], v[17:18], v[15:16]
	v_div_fixup_f64 v[5:6], v[7:8], v[5:6], 1.0
	v_fma_f64 v[7:8], -v[3:4], v[15:16], v[17:18]
	s_delay_alu instid0(VALU_DEP_2) | instskip(NEXT) | instid1(VALU_DEP_2)
	v_mul_f64_e32 v[3:4], v[9:10], v[5:6]
	v_mul_f64_e32 v[5:6], v[7:8], v[5:6]
.LBB203_118:                            ;   in Loop: Header=BB203_3 Depth=1
	s_mov_b32 s18, 4
	ds_store_b128 v30, v[3:6] offset:192
.LBB203_119:                            ;   in Loop: Header=BB203_3 Depth=1
	s_wait_alu 0xfffe
	s_cmp_ge_i32 s18, s28
	s_cbranch_scc1 .LBB203_128
; %bb.120:                              ;   in Loop: Header=BB203_3 Depth=1
	s_lshl_b32 s19, s18, 6
	s_branch .LBB203_122
.LBB203_121:                            ;   in Loop: Header=BB203_122 Depth=2
	s_add_co_i32 s18, s18, 1
	s_add_co_i32 s19, s19, 64
	s_wait_alu 0xfffe
	s_cmp_ge_i32 s18, s28
	ds_store_b128 v15, v[11:14]
	s_cbranch_scc1 .LBB203_128
.LBB203_122:                            ;   Parent Loop BB203_3 Depth=1
                                        ; =>  This Loop Header: Depth=2
                                        ;       Child Loop BB203_123 Depth 3
	v_lshl_add_u32 v15, s18, 6, v30
	v_mov_b32_e32 v7, v30
	s_cmp_eq_u32 s18, 0
	s_wait_alu 0xfffe
	s_mov_b32 s25, s19
	s_mov_b32 s57, s18
	ds_load_b128 v[3:6], v15
	s_cbranch_scc1 .LBB203_124
.LBB203_123:                            ;   Parent Loop BB203_3 Depth=1
                                        ;     Parent Loop BB203_122 Depth=2
                                        ; =>    This Inner Loop Header: Depth=3
	s_wait_alu 0xfffe
	v_mov_b32_e32 v12, s25
	s_add_co_i32 s57, s57, -1
	s_add_co_i32 s25, s25, 16
	s_wait_alu 0xfffe
	s_cmp_eq_u32 s57, 0
	ds_load_b128 v[8:11], v7
	ds_load_b128 v[16:19], v12
	v_add_nc_u32_e32 v7, 64, v7
	s_wait_dscnt 0x0
	v_mul_f64_e32 v[12:13], v[18:19], v[10:11]
	v_mul_f64_e32 v[10:11], v[16:17], v[10:11]
	s_delay_alu instid0(VALU_DEP_2) | instskip(NEXT) | instid1(VALU_DEP_2)
	v_fma_f64 v[12:13], v[16:17], v[8:9], -v[12:13]
	v_fma_f64 v[8:9], v[18:19], v[8:9], v[10:11]
	s_delay_alu instid0(VALU_DEP_2) | instskip(NEXT) | instid1(VALU_DEP_2)
	v_add_f64_e64 v[3:4], v[3:4], -v[12:13]
	v_add_f64_e64 v[5:6], v[5:6], -v[8:9]
	s_cbranch_scc0 .LBB203_123
.LBB203_124:                            ;   in Loop: Header=BB203_122 Depth=2
	s_mul_i32 s25, s18, 0x50
                                        ; implicit-def: $vgpr11_vgpr12
	s_wait_alu 0xfffe
	v_mov_b32_e32 v7, s25
	ds_load_b128 v[7:10], v7
	s_wait_dscnt 0x0
	v_cmp_ngt_f64_e64 s25, |v[7:8]|, |v[9:10]|
	s_and_b32 vcc_lo, exec_lo, s25
	s_mov_b32 s25, -1
	s_wait_alu 0xfffe
	s_cbranch_vccz .LBB203_126
; %bb.125:                              ;   in Loop: Header=BB203_122 Depth=2
	v_div_scale_f64 v[11:12], null, v[9:10], v[9:10], v[7:8]
	v_div_scale_f64 v[18:19], vcc_lo, v[7:8], v[9:10], v[7:8]
	s_mov_b32 s25, 0
	v_rcp_f64_e32 v[13:14], v[11:12]
	s_delay_alu instid0(TRANS32_DEP_1) | instskip(NEXT) | instid1(VALU_DEP_1)
	v_fma_f64 v[16:17], -v[11:12], v[13:14], 1.0
	v_fma_f64 v[13:14], v[13:14], v[16:17], v[13:14]
	s_delay_alu instid0(VALU_DEP_1) | instskip(NEXT) | instid1(VALU_DEP_1)
	v_fma_f64 v[16:17], -v[11:12], v[13:14], 1.0
	v_fma_f64 v[13:14], v[13:14], v[16:17], v[13:14]
	s_delay_alu instid0(VALU_DEP_1) | instskip(NEXT) | instid1(VALU_DEP_1)
	v_mul_f64_e32 v[16:17], v[18:19], v[13:14]
	v_fma_f64 v[11:12], -v[11:12], v[16:17], v[18:19]
	s_wait_alu 0xfffd
	s_delay_alu instid0(VALU_DEP_1) | instskip(NEXT) | instid1(VALU_DEP_1)
	v_div_fmas_f64 v[11:12], v[11:12], v[13:14], v[16:17]
	v_div_fixup_f64 v[11:12], v[11:12], v[9:10], v[7:8]
	s_delay_alu instid0(VALU_DEP_1) | instskip(NEXT) | instid1(VALU_DEP_1)
	v_fma_f64 v[13:14], v[7:8], v[11:12], v[9:10]
	v_div_scale_f64 v[16:17], null, v[13:14], v[13:14], 1.0
	v_div_scale_f64 v[22:23], vcc_lo, 1.0, v[13:14], 1.0
	s_delay_alu instid0(VALU_DEP_2) | instskip(NEXT) | instid1(TRANS32_DEP_1)
	v_rcp_f64_e32 v[18:19], v[16:17]
	v_fma_f64 v[20:21], -v[16:17], v[18:19], 1.0
	s_delay_alu instid0(VALU_DEP_1) | instskip(NEXT) | instid1(VALU_DEP_1)
	v_fma_f64 v[18:19], v[18:19], v[20:21], v[18:19]
	v_fma_f64 v[20:21], -v[16:17], v[18:19], 1.0
	s_delay_alu instid0(VALU_DEP_1) | instskip(NEXT) | instid1(VALU_DEP_1)
	v_fma_f64 v[18:19], v[18:19], v[20:21], v[18:19]
	v_mul_f64_e32 v[20:21], v[22:23], v[18:19]
	s_delay_alu instid0(VALU_DEP_1) | instskip(SKIP_1) | instid1(VALU_DEP_1)
	v_fma_f64 v[16:17], -v[16:17], v[20:21], v[22:23]
	s_wait_alu 0xfffd
	v_div_fmas_f64 v[16:17], v[16:17], v[18:19], v[20:21]
	v_fma_f64 v[18:19], v[3:4], v[11:12], v[5:6]
	s_delay_alu instid0(VALU_DEP_2) | instskip(SKIP_1) | instid1(VALU_DEP_2)
	v_div_fixup_f64 v[13:14], v[16:17], v[13:14], 1.0
	v_fma_f64 v[16:17], v[5:6], v[11:12], -v[3:4]
	v_mul_f64_e32 v[11:12], v[18:19], v[13:14]
	s_delay_alu instid0(VALU_DEP_2)
	v_mul_f64_e32 v[13:14], v[16:17], v[13:14]
.LBB203_126:                            ;   in Loop: Header=BB203_122 Depth=2
	s_wait_alu 0xfffe
	s_and_not1_b32 vcc_lo, exec_lo, s25
	s_wait_alu 0xfffe
	s_cbranch_vccnz .LBB203_121
; %bb.127:                              ;   in Loop: Header=BB203_122 Depth=2
	v_div_scale_f64 v[11:12], null, v[7:8], v[7:8], v[9:10]
	v_div_scale_f64 v[18:19], vcc_lo, v[9:10], v[7:8], v[9:10]
	s_delay_alu instid0(VALU_DEP_2) | instskip(NEXT) | instid1(TRANS32_DEP_1)
	v_rcp_f64_e32 v[13:14], v[11:12]
	v_fma_f64 v[16:17], -v[11:12], v[13:14], 1.0
	s_delay_alu instid0(VALU_DEP_1) | instskip(NEXT) | instid1(VALU_DEP_1)
	v_fma_f64 v[13:14], v[13:14], v[16:17], v[13:14]
	v_fma_f64 v[16:17], -v[11:12], v[13:14], 1.0
	s_delay_alu instid0(VALU_DEP_1) | instskip(NEXT) | instid1(VALU_DEP_1)
	v_fma_f64 v[13:14], v[13:14], v[16:17], v[13:14]
	v_mul_f64_e32 v[16:17], v[18:19], v[13:14]
	s_delay_alu instid0(VALU_DEP_1) | instskip(SKIP_1) | instid1(VALU_DEP_1)
	v_fma_f64 v[11:12], -v[11:12], v[16:17], v[18:19]
	s_wait_alu 0xfffd
	v_div_fmas_f64 v[11:12], v[11:12], v[13:14], v[16:17]
	s_delay_alu instid0(VALU_DEP_1) | instskip(NEXT) | instid1(VALU_DEP_1)
	v_div_fixup_f64 v[11:12], v[11:12], v[7:8], v[9:10]
	v_fma_f64 v[7:8], v[9:10], v[11:12], v[7:8]
	s_delay_alu instid0(VALU_DEP_1) | instskip(SKIP_1) | instid1(VALU_DEP_2)
	v_div_scale_f64 v[9:10], null, v[7:8], v[7:8], 1.0
	v_div_scale_f64 v[18:19], vcc_lo, 1.0, v[7:8], 1.0
	v_rcp_f64_e32 v[13:14], v[9:10]
	s_delay_alu instid0(TRANS32_DEP_1) | instskip(NEXT) | instid1(VALU_DEP_1)
	v_fma_f64 v[16:17], -v[9:10], v[13:14], 1.0
	v_fma_f64 v[13:14], v[13:14], v[16:17], v[13:14]
	s_delay_alu instid0(VALU_DEP_1) | instskip(NEXT) | instid1(VALU_DEP_1)
	v_fma_f64 v[16:17], -v[9:10], v[13:14], 1.0
	v_fma_f64 v[13:14], v[13:14], v[16:17], v[13:14]
	s_delay_alu instid0(VALU_DEP_1) | instskip(NEXT) | instid1(VALU_DEP_1)
	v_mul_f64_e32 v[16:17], v[18:19], v[13:14]
	v_fma_f64 v[9:10], -v[9:10], v[16:17], v[18:19]
	s_wait_alu 0xfffd
	s_delay_alu instid0(VALU_DEP_1) | instskip(SKIP_2) | instid1(VALU_DEP_3)
	v_div_fmas_f64 v[9:10], v[9:10], v[13:14], v[16:17]
	v_fma_f64 v[13:14], v[5:6], v[11:12], v[3:4]
	v_fma_f64 v[3:4], -v[3:4], v[11:12], v[5:6]
	v_div_fixup_f64 v[7:8], v[9:10], v[7:8], 1.0
	s_delay_alu instid0(VALU_DEP_1) | instskip(NEXT) | instid1(VALU_DEP_3)
	v_mul_f64_e32 v[11:12], v[13:14], v[7:8]
	v_mul_f64_e32 v[13:14], v[3:4], v[7:8]
	s_branch .LBB203_121
.LBB203_128:                            ;   in Loop: Header=BB203_3 Depth=1
	s_and_saveexec_b32 s18, s35
	s_cbranch_execz .LBB203_2
; %bb.129:                              ;   in Loop: Header=BB203_3 Depth=1
	v_add_co_u32 v3, vcc_lo, v27, s10
	s_wait_alu 0xfffd
	v_add_co_ci_u32_e64 v4, null, s11, v28, vcc_lo
	v_mov_b32_e32 v5, v30
	s_delay_alu instid0(VALU_DEP_3) | instskip(SKIP_1) | instid1(VALU_DEP_3)
	v_add_co_u32 v3, vcc_lo, v3, s20
	s_wait_alu 0xfffd
	v_add_co_ci_u32_e64 v4, null, s21, v4, vcc_lo
	s_mov_b32 s19, s27
	v_add_co_u32 v3, vcc_lo, v3, v0
	s_wait_alu 0xfffd
	v_add_co_ci_u32_e64 v4, null, 0, v4, vcc_lo
.LBB203_130:                            ;   Parent Loop BB203_3 Depth=1
                                        ; =>  This Inner Loop Header: Depth=2
	ds_load_2addr_b64 v[6:9], v5 offset1:1
	v_add_nc_u32_e32 v5, 64, v5
	s_wait_alu 0xfffe
	s_add_co_i32 s19, s19, -1
	s_wait_alu 0xfffe
	s_cmp_lg_u32 s19, 0
	s_wait_dscnt 0x0
	flat_store_b128 v[3:4], v[6:9]
	v_add_co_u32 v3, vcc_lo, v3, s16
	s_wait_alu 0xfffd
	v_add_co_ci_u32_e64 v4, null, s17, v4, vcc_lo
	s_cbranch_scc1 .LBB203_130
	s_branch .LBB203_2
.LBB203_131:
	s_endpgm
	.section	.rodata,"a",@progbits
	.p2align	6, 0x0
	.amdhsa_kernel _ZL31rocblas_trsm_small_right_deviceI19rocblas_complex_numIdES1_PKPKS1_PKPS1_Li4EEv13rocblas_fill_18rocblas_operation_17rocblas_diagonal_iiT0_T1_lilT2_lili
		.amdhsa_group_segment_fixed_size 512
		.amdhsa_private_segment_fixed_size 0
		.amdhsa_kernarg_size 368
		.amdhsa_user_sgpr_count 2
		.amdhsa_user_sgpr_dispatch_ptr 0
		.amdhsa_user_sgpr_queue_ptr 0
		.amdhsa_user_sgpr_kernarg_segment_ptr 1
		.amdhsa_user_sgpr_dispatch_id 0
		.amdhsa_user_sgpr_private_segment_size 0
		.amdhsa_wavefront_size32 1
		.amdhsa_uses_dynamic_stack 0
		.amdhsa_enable_private_segment 0
		.amdhsa_system_sgpr_workgroup_id_x 1
		.amdhsa_system_sgpr_workgroup_id_y 0
		.amdhsa_system_sgpr_workgroup_id_z 1
		.amdhsa_system_sgpr_workgroup_info 0
		.amdhsa_system_vgpr_workitem_id 0
		.amdhsa_next_free_vgpr 50
		.amdhsa_next_free_sgpr 60
		.amdhsa_reserve_vcc 1
		.amdhsa_float_round_mode_32 0
		.amdhsa_float_round_mode_16_64 0
		.amdhsa_float_denorm_mode_32 3
		.amdhsa_float_denorm_mode_16_64 3
		.amdhsa_fp16_overflow 0
		.amdhsa_workgroup_processor_mode 1
		.amdhsa_memory_ordered 1
		.amdhsa_forward_progress 1
		.amdhsa_inst_pref_size 116
		.amdhsa_round_robin_scheduling 0
		.amdhsa_exception_fp_ieee_invalid_op 0
		.amdhsa_exception_fp_denorm_src 0
		.amdhsa_exception_fp_ieee_div_zero 0
		.amdhsa_exception_fp_ieee_overflow 0
		.amdhsa_exception_fp_ieee_underflow 0
		.amdhsa_exception_fp_ieee_inexact 0
		.amdhsa_exception_int_div_zero 0
	.end_amdhsa_kernel
	.section	.text._ZL31rocblas_trsm_small_right_deviceI19rocblas_complex_numIdES1_PKPKS1_PKPS1_Li4EEv13rocblas_fill_18rocblas_operation_17rocblas_diagonal_iiT0_T1_lilT2_lili,"axG",@progbits,_ZL31rocblas_trsm_small_right_deviceI19rocblas_complex_numIdES1_PKPKS1_PKPS1_Li4EEv13rocblas_fill_18rocblas_operation_17rocblas_diagonal_iiT0_T1_lilT2_lili,comdat
.Lfunc_end203:
	.size	_ZL31rocblas_trsm_small_right_deviceI19rocblas_complex_numIdES1_PKPKS1_PKPS1_Li4EEv13rocblas_fill_18rocblas_operation_17rocblas_diagonal_iiT0_T1_lilT2_lili, .Lfunc_end203-_ZL31rocblas_trsm_small_right_deviceI19rocblas_complex_numIdES1_PKPKS1_PKPS1_Li4EEv13rocblas_fill_18rocblas_operation_17rocblas_diagonal_iiT0_T1_lilT2_lili
                                        ; -- End function
	.set _ZL31rocblas_trsm_small_right_deviceI19rocblas_complex_numIdES1_PKPKS1_PKPS1_Li4EEv13rocblas_fill_18rocblas_operation_17rocblas_diagonal_iiT0_T1_lilT2_lili.num_vgpr, 50
	.set _ZL31rocblas_trsm_small_right_deviceI19rocblas_complex_numIdES1_PKPKS1_PKPS1_Li4EEv13rocblas_fill_18rocblas_operation_17rocblas_diagonal_iiT0_T1_lilT2_lili.num_agpr, 0
	.set _ZL31rocblas_trsm_small_right_deviceI19rocblas_complex_numIdES1_PKPKS1_PKPS1_Li4EEv13rocblas_fill_18rocblas_operation_17rocblas_diagonal_iiT0_T1_lilT2_lili.numbered_sgpr, 60
	.set _ZL31rocblas_trsm_small_right_deviceI19rocblas_complex_numIdES1_PKPKS1_PKPS1_Li4EEv13rocblas_fill_18rocblas_operation_17rocblas_diagonal_iiT0_T1_lilT2_lili.num_named_barrier, 0
	.set _ZL31rocblas_trsm_small_right_deviceI19rocblas_complex_numIdES1_PKPKS1_PKPS1_Li4EEv13rocblas_fill_18rocblas_operation_17rocblas_diagonal_iiT0_T1_lilT2_lili.private_seg_size, 0
	.set _ZL31rocblas_trsm_small_right_deviceI19rocblas_complex_numIdES1_PKPKS1_PKPS1_Li4EEv13rocblas_fill_18rocblas_operation_17rocblas_diagonal_iiT0_T1_lilT2_lili.uses_vcc, 1
	.set _ZL31rocblas_trsm_small_right_deviceI19rocblas_complex_numIdES1_PKPKS1_PKPS1_Li4EEv13rocblas_fill_18rocblas_operation_17rocblas_diagonal_iiT0_T1_lilT2_lili.uses_flat_scratch, 0
	.set _ZL31rocblas_trsm_small_right_deviceI19rocblas_complex_numIdES1_PKPKS1_PKPS1_Li4EEv13rocblas_fill_18rocblas_operation_17rocblas_diagonal_iiT0_T1_lilT2_lili.has_dyn_sized_stack, 0
	.set _ZL31rocblas_trsm_small_right_deviceI19rocblas_complex_numIdES1_PKPKS1_PKPS1_Li4EEv13rocblas_fill_18rocblas_operation_17rocblas_diagonal_iiT0_T1_lilT2_lili.has_recursion, 0
	.set _ZL31rocblas_trsm_small_right_deviceI19rocblas_complex_numIdES1_PKPKS1_PKPS1_Li4EEv13rocblas_fill_18rocblas_operation_17rocblas_diagonal_iiT0_T1_lilT2_lili.has_indirect_call, 0
	.section	.AMDGPU.csdata,"",@progbits
; Kernel info:
; codeLenInByte = 14840
; TotalNumSgprs: 62
; NumVgprs: 50
; ScratchSize: 0
; MemoryBound: 0
; FloatMode: 240
; IeeeMode: 1
; LDSByteSize: 512 bytes/workgroup (compile time only)
; SGPRBlocks: 0
; VGPRBlocks: 6
; NumSGPRsForWavesPerEU: 62
; NumVGPRsForWavesPerEU: 50
; Occupancy: 16
; WaveLimiterHint : 0
; COMPUTE_PGM_RSRC2:SCRATCH_EN: 0
; COMPUTE_PGM_RSRC2:USER_SGPR: 2
; COMPUTE_PGM_RSRC2:TRAP_HANDLER: 0
; COMPUTE_PGM_RSRC2:TGID_X_EN: 1
; COMPUTE_PGM_RSRC2:TGID_Y_EN: 0
; COMPUTE_PGM_RSRC2:TGID_Z_EN: 1
; COMPUTE_PGM_RSRC2:TIDIG_COMP_CNT: 0
	.section	.text._ZL38rocblas_trsm_small_left_device_sharedBILi8ELi8ELb0E19rocblas_complex_numIdES1_PKPKS1_PKPS1_Ev13rocblas_fill_18rocblas_operation_17rocblas_diagonal_iiT3_T4_lilT5_lili,"axG",@progbits,_ZL38rocblas_trsm_small_left_device_sharedBILi8ELi8ELb0E19rocblas_complex_numIdES1_PKPKS1_PKPS1_Ev13rocblas_fill_18rocblas_operation_17rocblas_diagonal_iiT3_T4_lilT5_lili,comdat
	.globl	_ZL38rocblas_trsm_small_left_device_sharedBILi8ELi8ELb0E19rocblas_complex_numIdES1_PKPKS1_PKPS1_Ev13rocblas_fill_18rocblas_operation_17rocblas_diagonal_iiT3_T4_lilT5_lili ; -- Begin function _ZL38rocblas_trsm_small_left_device_sharedBILi8ELi8ELb0E19rocblas_complex_numIdES1_PKPKS1_PKPS1_Ev13rocblas_fill_18rocblas_operation_17rocblas_diagonal_iiT3_T4_lilT5_lili
	.p2align	8
	.type	_ZL38rocblas_trsm_small_left_device_sharedBILi8ELi8ELb0E19rocblas_complex_numIdES1_PKPKS1_PKPS1_Ev13rocblas_fill_18rocblas_operation_17rocblas_diagonal_iiT3_T4_lilT5_lili,@function
_ZL38rocblas_trsm_small_left_device_sharedBILi8ELi8ELb0E19rocblas_complex_numIdES1_PKPKS1_PKPS1_Ev13rocblas_fill_18rocblas_operation_17rocblas_diagonal_iiT3_T4_lilT5_lili: ; @_ZL38rocblas_trsm_small_left_device_sharedBILi8ELi8ELb0E19rocblas_complex_numIdES1_PKPKS1_PKPS1_Ev13rocblas_fill_18rocblas_operation_17rocblas_diagonal_iiT3_T4_lilT5_lili
; %bb.0:
	s_load_b32 s24, s[0:1], 0x68
	s_lshr_b32 s2, ttmp7, 16
	s_wait_kmcnt 0x0
	s_cmp_ge_u32 s2, s24
	s_cbranch_scc1 .LBB204_62
; %bb.1:
	s_clause 0x5
	s_load_b32 s22, s[0:1], 0x38
	s_load_b32 s34, s[0:1], 0x58
	s_load_b128 s[16:19], s[0:1], 0x4
	s_load_b32 s3, s[0:1], 0x70
	s_load_b128 s[12:15], s[0:1], 0x48
	s_load_b256 s[4:11], s[0:1], 0x18
	v_dual_mov_b32 v13, 0 :: v_dual_lshlrev_b32 v12, 4, v0
	v_lshlrev_b32_e32 v5, 7, v0
	s_mov_b32 s21, 0
	s_delay_alu instid0(VALU_DEP_2) | instskip(NEXT) | instid1(VALU_DEP_2)
	v_or_b32_e32 v14, 0x400, v12
	v_add_nc_u32_e32 v19, v12, v5
	s_wait_kmcnt 0x0
	s_ashr_i32 s23, s22, 31
	s_ashr_i32 s35, s34, 31
	s_cmp_eq_u32 s16, 0x71
	v_mad_co_i64_i32 v[1:2], null, s34, v0, 0
	s_cselect_b32 s0, -1, 0
	s_min_i32 s25, s18, 8
	s_lshl_b32 s30, ttmp9, 3
	s_add_co_i32 s3, s3, -1
	s_add_co_i32 s26, s25, -1
	s_sub_co_i32 s1, s19, s30
	s_cmp_ge_u32 ttmp9, s3
	v_lshlrev_b64_e32 v[8:9], 4, v[1:2]
	s_cselect_b32 s1, s1, 8
	s_ashr_i32 s31, s30, 31
	s_cmp_lg_u32 s17, 0x84
	v_cmp_gt_i32_e32 vcc_lo, s1, v0
	s_cselect_b32 s27, -1, 0
	s_cmp_gt_i32 s18, 0
	v_cmp_gt_i32_e64 s1, s25, v0
	s_cselect_b32 s3, -1, 0
	s_cmp_lg_u32 s16, 0x6f
	s_mul_u64 s[18:19], s[34:35], s[30:31]
	s_cselect_b32 s28, -1, 0
	s_lshl_b64 s[16:17], s[30:31], 4
	s_lshl_b64 s[30:31], s[10:11], 4
	v_or_b32_e32 v0, s16, v12
	s_lshl_b64 s[10:11], s[14:15], 4
	s_and_b32 s29, vcc_lo, s3
	s_lshl_b64 s[14:15], s[22:23], 4
	s_delay_alu instid0(VALU_DEP_1) | instskip(SKIP_2) | instid1(VALU_DEP_1)
	v_mul_lo_u32 v6, v0, s35
	v_mad_co_u64_u32 v[3:4], null, v0, s34, s[10:11]
	v_add_co_u32 v0, s3, s30, v12
	v_add_co_ci_u32_e64 v15, null, s31, 0, s3
	s_mul_i32 s3, s17, s34
	v_or_b32_e32 v16, 8, v0
	s_wait_alu 0xfffe
	v_add3_u32 v17, s3, v4, v6
	v_or_b32_e32 v18, 8, v3
	s_lshl_b32 s3, s25, 7
	s_or_b32 s30, 0, 8
	s_wait_alu 0xfffe
	s_add_co_i32 s22, s3, 0xffffff80
	s_lshl_b64 s[16:17], s[18:19], 4
	s_branch .LBB204_3
.LBB204_2:                              ;   in Loop: Header=BB204_3 Depth=1
	s_wait_alu 0xfffe
	s_or_b32 exec_lo, exec_lo, s3
	s_add_co_i32 s2, s2, 0x10000
	s_wait_alu 0xfffe
	s_cmp_lt_u32 s2, s24
	s_cbranch_scc0 .LBB204_62
.LBB204_3:                              ; =>This Loop Header: Depth=1
                                        ;     Child Loop BB204_5 Depth 2
                                        ;     Child Loop BB204_16 Depth 2
	;; [unrolled: 1-line block ×3, first 2 shown]
                                        ;       Child Loop BB204_23 Depth 3
                                        ;         Child Loop BB204_24 Depth 4
                                        ;         Child Loop BB204_27 Depth 4
                                        ;           Child Loop BB204_28 Depth 5
                                        ;         Child Loop BB204_32 Depth 4
                                        ;           Child Loop BB204_34 Depth 5
                                        ;     Child Loop BB204_42 Depth 2
                                        ;       Child Loop BB204_45 Depth 3
                                        ;         Child Loop BB204_46 Depth 4
                                        ;         Child Loop BB204_48 Depth 4
                                        ;           Child Loop BB204_49 Depth 5
                                        ;         Child Loop BB204_53 Depth 4
                                        ;           Child Loop BB204_55 Depth 5
                                        ;     Child Loop BB204_61 Depth 2
	s_mov_b32 s3, s21
	s_wait_alu 0xfffe
	s_lshl_b64 s[18:19], s[2:3], 3
	s_delay_alu instid0(SALU_CYCLE_1)
	s_add_nc_u64 s[34:35], s[12:13], s[18:19]
	global_load_b64 v[10:11], v13, s[34:35]
	s_and_saveexec_b32 s3, s1
	s_cbranch_execz .LBB204_14
; %bb.4:                                ;   in Loop: Header=BB204_3 Depth=1
	s_add_nc_u64 s[18:19], s[8:9], s[18:19]
	v_mov_b32_e32 v2, v12
	global_load_b64 v[0:1], v13, s[18:19]
	s_mov_b32 s18, s25
	s_wait_loadcnt 0x0
	v_add_co_u32 v0, vcc_lo, v0, v16
	s_wait_alu 0xfffd
	v_add_co_ci_u32_e64 v1, null, v1, v15, vcc_lo
.LBB204_5:                              ;   Parent Loop BB204_3 Depth=1
                                        ; =>  This Inner Loop Header: Depth=2
	flat_load_b128 v[3:6], v[0:1] offset:-8
	v_add_co_u32 v0, vcc_lo, v0, s14
	s_wait_alu 0xfffd
	v_add_co_ci_u32_e64 v1, null, s15, v1, vcc_lo
	s_add_co_i32 s18, s18, -1
	s_delay_alu instid0(SALU_CYCLE_1) | instskip(SKIP_2) | instid1(VALU_DEP_1)
	s_cmp_eq_u32 s18, 0
	s_wait_loadcnt_dscnt 0x0
	v_xor_b32_e32 v7, 0x80000000, v6
	v_cndmask_b32_e64 v6, v6, v7, s0
	ds_store_b128 v2, v[3:6]
	v_add_nc_u32_e32 v2, 0x80, v2
	s_cbranch_scc0 .LBB204_5
; %bb.6:                                ;   in Loop: Header=BB204_3 Depth=1
	s_and_b32 vcc_lo, exec_lo, s27
	s_wait_alu 0xfffe
	s_cbranch_vccz .LBB204_12
; %bb.7:                                ;   in Loop: Header=BB204_3 Depth=1
	ds_load_b128 v[0:3], v19
                                        ; implicit-def: $vgpr6_vgpr7
	s_wait_dscnt 0x0
	v_cmp_ngt_f64_e64 s18, |v[0:1]|, |v[2:3]|
	s_and_saveexec_b32 s19, s18
	s_delay_alu instid0(SALU_CYCLE_1)
	s_xor_b32 s18, exec_lo, s19
	s_cbranch_execz .LBB204_9
; %bb.8:                                ;   in Loop: Header=BB204_3 Depth=1
	v_div_scale_f64 v[4:5], null, v[2:3], v[2:3], v[0:1]
	v_div_scale_f64 v[22:23], vcc_lo, v[0:1], v[2:3], v[0:1]
	s_delay_alu instid0(VALU_DEP_2) | instskip(NEXT) | instid1(TRANS32_DEP_1)
	v_rcp_f64_e32 v[6:7], v[4:5]
	v_fma_f64 v[20:21], -v[4:5], v[6:7], 1.0
	s_delay_alu instid0(VALU_DEP_1) | instskip(NEXT) | instid1(VALU_DEP_1)
	v_fma_f64 v[6:7], v[6:7], v[20:21], v[6:7]
	v_fma_f64 v[20:21], -v[4:5], v[6:7], 1.0
	s_delay_alu instid0(VALU_DEP_1) | instskip(NEXT) | instid1(VALU_DEP_1)
	v_fma_f64 v[6:7], v[6:7], v[20:21], v[6:7]
	v_mul_f64_e32 v[20:21], v[22:23], v[6:7]
	s_delay_alu instid0(VALU_DEP_1) | instskip(SKIP_1) | instid1(VALU_DEP_1)
	v_fma_f64 v[4:5], -v[4:5], v[20:21], v[22:23]
	s_wait_alu 0xfffd
	v_div_fmas_f64 v[4:5], v[4:5], v[6:7], v[20:21]
	s_delay_alu instid0(VALU_DEP_1) | instskip(NEXT) | instid1(VALU_DEP_1)
	v_div_fixup_f64 v[4:5], v[4:5], v[2:3], v[0:1]
	v_fma_f64 v[0:1], v[0:1], v[4:5], v[2:3]
	s_delay_alu instid0(VALU_DEP_1) | instskip(SKIP_1) | instid1(VALU_DEP_2)
	v_div_scale_f64 v[2:3], null, v[0:1], v[0:1], 1.0
	v_div_scale_f64 v[22:23], vcc_lo, 1.0, v[0:1], 1.0
	v_rcp_f64_e32 v[6:7], v[2:3]
	s_delay_alu instid0(TRANS32_DEP_1) | instskip(NEXT) | instid1(VALU_DEP_1)
	v_fma_f64 v[20:21], -v[2:3], v[6:7], 1.0
	v_fma_f64 v[6:7], v[6:7], v[20:21], v[6:7]
	s_delay_alu instid0(VALU_DEP_1) | instskip(NEXT) | instid1(VALU_DEP_1)
	v_fma_f64 v[20:21], -v[2:3], v[6:7], 1.0
	v_fma_f64 v[6:7], v[6:7], v[20:21], v[6:7]
	s_delay_alu instid0(VALU_DEP_1) | instskip(NEXT) | instid1(VALU_DEP_1)
	v_mul_f64_e32 v[20:21], v[22:23], v[6:7]
	v_fma_f64 v[2:3], -v[2:3], v[20:21], v[22:23]
	s_wait_alu 0xfffd
	s_delay_alu instid0(VALU_DEP_1) | instskip(SKIP_1) | instid1(VALU_DEP_2)
	v_div_fmas_f64 v[2:3], v[2:3], v[6:7], v[20:21]
	v_add_f64_e32 v[6:7], 0, v[4:5]
	v_div_fixup_f64 v[0:1], v[2:3], v[0:1], 1.0
	v_fma_f64 v[2:3], v[4:5], 0, -1.0
	s_delay_alu instid0(VALU_DEP_2) | instskip(NEXT) | instid1(VALU_DEP_2)
	v_mul_f64_e32 v[4:5], v[6:7], v[0:1]
	v_mul_f64_e32 v[6:7], v[2:3], v[0:1]
                                        ; implicit-def: $vgpr0_vgpr1
.LBB204_9:                              ;   in Loop: Header=BB204_3 Depth=1
	s_and_not1_saveexec_b32 s18, s18
	s_cbranch_execz .LBB204_11
; %bb.10:                               ;   in Loop: Header=BB204_3 Depth=1
	v_div_scale_f64 v[4:5], null, v[0:1], v[0:1], v[2:3]
	v_div_scale_f64 v[22:23], vcc_lo, v[2:3], v[0:1], v[2:3]
	s_delay_alu instid0(VALU_DEP_2) | instskip(NEXT) | instid1(TRANS32_DEP_1)
	v_rcp_f64_e32 v[6:7], v[4:5]
	v_fma_f64 v[20:21], -v[4:5], v[6:7], 1.0
	s_delay_alu instid0(VALU_DEP_1) | instskip(NEXT) | instid1(VALU_DEP_1)
	v_fma_f64 v[6:7], v[6:7], v[20:21], v[6:7]
	v_fma_f64 v[20:21], -v[4:5], v[6:7], 1.0
	s_delay_alu instid0(VALU_DEP_1) | instskip(NEXT) | instid1(VALU_DEP_1)
	v_fma_f64 v[6:7], v[6:7], v[20:21], v[6:7]
	v_mul_f64_e32 v[20:21], v[22:23], v[6:7]
	s_delay_alu instid0(VALU_DEP_1) | instskip(SKIP_1) | instid1(VALU_DEP_1)
	v_fma_f64 v[4:5], -v[4:5], v[20:21], v[22:23]
	s_wait_alu 0xfffd
	v_div_fmas_f64 v[4:5], v[4:5], v[6:7], v[20:21]
	s_delay_alu instid0(VALU_DEP_1) | instskip(NEXT) | instid1(VALU_DEP_1)
	v_div_fixup_f64 v[4:5], v[4:5], v[0:1], v[2:3]
	v_fma_f64 v[0:1], v[2:3], v[4:5], v[0:1]
	s_delay_alu instid0(VALU_DEP_1) | instskip(SKIP_1) | instid1(VALU_DEP_2)
	v_div_scale_f64 v[2:3], null, v[0:1], v[0:1], 1.0
	v_div_scale_f64 v[22:23], vcc_lo, 1.0, v[0:1], 1.0
	v_rcp_f64_e32 v[6:7], v[2:3]
	s_delay_alu instid0(TRANS32_DEP_1) | instskip(NEXT) | instid1(VALU_DEP_1)
	v_fma_f64 v[20:21], -v[2:3], v[6:7], 1.0
	v_fma_f64 v[6:7], v[6:7], v[20:21], v[6:7]
	s_delay_alu instid0(VALU_DEP_1) | instskip(NEXT) | instid1(VALU_DEP_1)
	v_fma_f64 v[20:21], -v[2:3], v[6:7], 1.0
	v_fma_f64 v[6:7], v[6:7], v[20:21], v[6:7]
	s_delay_alu instid0(VALU_DEP_1) | instskip(NEXT) | instid1(VALU_DEP_1)
	v_mul_f64_e32 v[20:21], v[22:23], v[6:7]
	v_fma_f64 v[2:3], -v[2:3], v[20:21], v[22:23]
	s_wait_alu 0xfffd
	s_delay_alu instid0(VALU_DEP_1) | instskip(SKIP_1) | instid1(VALU_DEP_2)
	v_div_fmas_f64 v[2:3], v[2:3], v[6:7], v[20:21]
	v_fma_f64 v[6:7], v[4:5], 0, 1.0
	v_div_fixup_f64 v[0:1], v[2:3], v[0:1], 1.0
	v_add_f64_e64 v[2:3], -v[4:5], 0
	s_delay_alu instid0(VALU_DEP_2) | instskip(NEXT) | instid1(VALU_DEP_2)
	v_mul_f64_e32 v[4:5], v[6:7], v[0:1]
	v_mul_f64_e32 v[6:7], v[2:3], v[0:1]
.LBB204_11:                             ;   in Loop: Header=BB204_3 Depth=1
	s_or_b32 exec_lo, exec_lo, s18
	s_branch .LBB204_13
.LBB204_12:                             ;   in Loop: Header=BB204_3 Depth=1
	v_mov_b32_e32 v6, 0
	v_dual_mov_b32 v7, 0 :: v_dual_mov_b32 v4, 0
	v_mov_b32_e32 v5, 0x3ff00000
.LBB204_13:                             ;   in Loop: Header=BB204_3 Depth=1
	ds_store_b128 v19, v[4:7]
.LBB204_14:                             ;   in Loop: Header=BB204_3 Depth=1
	s_wait_alu 0xfffe
	s_or_b32 exec_lo, exec_lo, s3
	s_and_saveexec_b32 s3, s29
	s_cbranch_execz .LBB204_17
; %bb.15:                               ;   in Loop: Header=BB204_3 Depth=1
	s_wait_loadcnt 0x0
	v_add_co_u32 v0, vcc_lo, v10, v18
	s_wait_alu 0xfffd
	v_add_co_ci_u32_e64 v1, null, v11, v17, vcc_lo
	v_mov_b32_e32 v2, v14
	s_mov_b32 s18, s25
.LBB204_16:                             ;   Parent Loop BB204_3 Depth=1
                                        ; =>  This Inner Loop Header: Depth=2
	flat_load_b128 v[3:6], v[0:1] offset:-8
	v_add_co_u32 v0, vcc_lo, v0, 16
	s_wait_alu 0xfffd
	v_add_co_ci_u32_e64 v1, null, 0, v1, vcc_lo
	s_add_co_i32 s18, s18, -1
	s_delay_alu instid0(SALU_CYCLE_1) | instskip(SKIP_3) | instid1(VALU_DEP_2)
	s_cmp_lg_u32 s18, 0
	s_wait_loadcnt_dscnt 0x0
	v_mul_f64_e32 v[20:21], s[6:7], v[5:6]
	v_mul_f64_e32 v[5:6], s[4:5], v[5:6]
	v_fma_f64 v[20:21], s[4:5], v[3:4], -v[20:21]
	s_delay_alu instid0(VALU_DEP_2)
	v_fma_f64 v[22:23], s[6:7], v[3:4], v[5:6]
	ds_store_b128 v2, v[20:23]
	v_add_nc_u32_e32 v2, 0x80, v2
	s_cbranch_scc1 .LBB204_16
.LBB204_17:                             ;   in Loop: Header=BB204_3 Depth=1
	s_wait_alu 0xfffe
	s_or_b32 exec_lo, exec_lo, s3
	s_delay_alu instid0(SALU_CYCLE_1)
	s_and_not1_b32 vcc_lo, exec_lo, s28
	s_mov_b32 s3, -1
	; wave barrier
	s_wait_loadcnt_dscnt 0x0
	global_inv scope:SCOPE_SE
	s_wait_alu 0xfffe
	s_cbranch_vccnz .LBB204_39
; %bb.18:                               ;   in Loop: Header=BB204_3 Depth=1
	s_mov_b32 s20, 0
	s_delay_alu instid0(SALU_CYCLE_1)
	s_mov_b32 s3, s20
	s_branch .LBB204_20
.LBB204_19:                             ;   in Loop: Header=BB204_20 Depth=2
	s_cmp_lt_i32 s3, s25
	s_cselect_b32 s18, -1, 0
	s_add_co_i32 s19, s20, 1
	s_cmp_lt_u32 s20, 2
	s_cselect_b32 s20, -1, 0
	s_delay_alu instid0(SALU_CYCLE_1)
	s_and_b32 s18, s18, s20
	s_mov_b32 s20, s19
	s_and_b32 vcc_lo, exec_lo, s18
	s_wait_alu 0xfffe
	s_cbranch_vccz .LBB204_38
.LBB204_20:                             ;   Parent Loop BB204_3 Depth=1
                                        ; =>  This Loop Header: Depth=2
                                        ;       Child Loop BB204_23 Depth 3
                                        ;         Child Loop BB204_24 Depth 4
                                        ;         Child Loop BB204_27 Depth 4
                                        ;           Child Loop BB204_28 Depth 5
                                        ;         Child Loop BB204_32 Depth 4
                                        ;           Child Loop BB204_34 Depth 5
	s_getpc_b64 s[18:19]
	s_sext_i32_i16 s19, s19
	s_add_co_u32 s18, s18, __const._ZL38rocblas_trsm_small_left_device_sharedBILi8ELi8ELb0E19rocblas_complex_numIdES1_PKPKS1_PKPS1_Ev13rocblas_fill_18rocblas_operation_17rocblas_diagonal_iiT3_T4_lilT5_lili.step_sizes@rel32@lo+8
	s_add_co_ci_u32 s19, s19, __const._ZL38rocblas_trsm_small_left_device_sharedBILi8ELi8ELb0E19rocblas_complex_numIdES1_PKPKS1_PKPS1_Ev13rocblas_fill_18rocblas_operation_17rocblas_diagonal_iiT3_T4_lilT5_lili.step_sizes@rel32@hi+16
	s_lshl_b64 s[34:35], s[20:21], 2
	s_wait_alu 0xfffe
	s_add_nc_u64 s[18:19], s[18:19], s[34:35]
	s_load_b32 s18, s[18:19], 0x0
	s_wait_kmcnt 0x0
	s_add_co_i32 s19, s18, -1
	s_delay_alu instid0(SALU_CYCLE_1)
	s_add_co_i32 s23, s19, s3
	s_wait_alu 0xfffe
	s_cmp_ge_i32 s23, s25
	s_cbranch_scc1 .LBB204_19
; %bb.21:                               ;   in Loop: Header=BB204_20 Depth=2
	s_lshl_b32 s23, s3, 7
	s_max_i32 s31, s18, 1
	s_wait_alu 0xfffe
	v_add_nc_u32_e32 v4, s23, v14
	s_lshl_b32 s33, s18, 7
	s_mul_i32 s34, s3, 0x90
	s_mul_i32 s35, s18, 0x90
	s_branch .LBB204_23
.LBB204_22:                             ;   in Loop: Header=BB204_23 Depth=3
	s_add_co_i32 s3, s3, s18
	v_add_nc_u32_e32 v4, s33, v4
	s_wait_alu 0xfffe
	s_add_co_i32 s36, s19, s3
	s_add_co_i32 s23, s23, s33
	;; [unrolled: 1-line block ×3, first 2 shown]
	s_wait_alu 0xfffe
	s_cmp_ge_i32 s36, s25
	s_cbranch_scc1 .LBB204_19
.LBB204_23:                             ;   Parent Loop BB204_3 Depth=1
                                        ;     Parent Loop BB204_20 Depth=2
                                        ; =>    This Loop Header: Depth=3
                                        ;         Child Loop BB204_24 Depth 4
                                        ;         Child Loop BB204_27 Depth 4
                                        ;           Child Loop BB204_28 Depth 5
                                        ;         Child Loop BB204_32 Depth 4
                                        ;           Child Loop BB204_34 Depth 5
	v_mov_b32_e32 v0, v4
	s_mov_b32 s36, 0
	s_wait_alu 0xfffe
	s_mov_b32 s37, s31
.LBB204_24:                             ;   Parent Loop BB204_3 Depth=1
                                        ;     Parent Loop BB204_20 Depth=2
                                        ;       Parent Loop BB204_23 Depth=3
                                        ; =>      This Inner Loop Header: Depth=4
	ds_load_b128 v[20:23], v0
	v_add_nc_u32_e32 v0, 0x80, v0
	s_wait_alu 0xfffe
	s_add_co_i32 s37, s37, -1
	s_wait_dscnt 0x0
	scratch_store_b128 off, v[20:23], s36
	s_add_co_i32 s36, s36, 16
	s_wait_alu 0xfffe
	s_cmp_eq_u32 s37, 0
	s_cbranch_scc0 .LBB204_24
; %bb.25:                               ;   in Loop: Header=BB204_23 Depth=3
	s_cmp_lt_i32 s3, 1
	s_cbranch_scc1 .LBB204_30
; %bb.26:                               ;   in Loop: Header=BB204_23 Depth=3
	s_mov_b32 s36, 0
	s_mov_b32 s37, s23
.LBB204_27:                             ;   Parent Loop BB204_3 Depth=1
                                        ;     Parent Loop BB204_20 Depth=2
                                        ;       Parent Loop BB204_23 Depth=3
                                        ; =>      This Loop Header: Depth=4
                                        ;           Child Loop BB204_28 Depth 5
	s_wait_alu 0xfffe
	v_lshl_add_u32 v0, s36, 7, v14
	s_mov_b32 s38, s30
	s_mov_b32 s39, s37
	;; [unrolled: 1-line block ×3, first 2 shown]
	ds_load_b128 v[0:3], v0
.LBB204_28:                             ;   Parent Loop BB204_3 Depth=1
                                        ;     Parent Loop BB204_20 Depth=2
                                        ;       Parent Loop BB204_23 Depth=3
                                        ;         Parent Loop BB204_27 Depth=4
                                        ; =>        This Inner Loop Header: Depth=5
	scratch_load_b128 v[20:23], off, s38 offset:-8
	s_wait_alu 0xfffe
	v_mov_b32_e32 v5, s39
	s_add_co_i32 s40, s40, -1
	s_addk_co_i32 s39, 0x80
	ds_load_b128 v[24:27], v5
	s_wait_dscnt 0x0
	v_mul_f64_e32 v[5:6], v[2:3], v[26:27]
	v_mul_f64_e32 v[26:27], v[0:1], v[26:27]
	s_delay_alu instid0(VALU_DEP_2) | instskip(NEXT) | instid1(VALU_DEP_2)
	v_fma_f64 v[5:6], v[0:1], v[24:25], -v[5:6]
	v_fma_f64 v[24:25], v[2:3], v[24:25], v[26:27]
	s_wait_loadcnt 0x0
	s_delay_alu instid0(VALU_DEP_2) | instskip(NEXT) | instid1(VALU_DEP_2)
	v_add_f64_e64 v[20:21], v[20:21], -v[5:6]
	v_add_f64_e64 v[22:23], v[22:23], -v[24:25]
	scratch_store_b128 off, v[20:23], s38 offset:-8
	s_add_co_i32 s38, s38, 16
	s_wait_alu 0xfffe
	s_cmp_eq_u32 s40, 0
	s_cbranch_scc0 .LBB204_28
; %bb.29:                               ;   in Loop: Header=BB204_27 Depth=4
	s_add_co_i32 s36, s36, 1
	s_add_co_i32 s37, s37, 16
	s_wait_alu 0xfffe
	s_cmp_eq_u32 s36, s3
	s_cbranch_scc0 .LBB204_27
.LBB204_30:                             ;   in Loop: Header=BB204_23 Depth=3
	s_lshl_b32 s36, s3, 7
	s_mov_b32 s37, 0
	s_mov_b32 s38, s34
	s_branch .LBB204_32
.LBB204_31:                             ;   in Loop: Header=BB204_32 Depth=4
	s_wait_alu 0xfffe
	s_mulk_i32 s40, 0x90
	s_addk_co_i32 s38, 0x80
	s_wait_alu 0xfffe
	v_mov_b32_e32 v5, s40
	s_lshl_b32 s40, s37, 4
	s_add_co_i32 s37, s37, 1
	s_wait_alu 0xfffe
	s_cmp_eq_u32 s37, s31
	ds_load_b128 v[20:23], v5
	s_wait_loadcnt_dscnt 0x0
	v_mul_f64_e32 v[5:6], v[22:23], v[2:3]
	v_mul_f64_e32 v[2:3], v[20:21], v[2:3]
	s_delay_alu instid0(VALU_DEP_2) | instskip(NEXT) | instid1(VALU_DEP_2)
	v_fma_f64 v[20:21], v[20:21], v[0:1], -v[5:6]
	v_fma_f64 v[22:23], v[22:23], v[0:1], v[2:3]
	v_add_nc_u32_e32 v0, s39, v14
	scratch_store_b128 off, v[20:23], s40
	ds_store_b128 v0, v[20:23]
	s_cbranch_scc1 .LBB204_22
.LBB204_32:                             ;   Parent Loop BB204_3 Depth=1
                                        ;     Parent Loop BB204_20 Depth=2
                                        ;       Parent Loop BB204_23 Depth=3
                                        ; =>      This Loop Header: Depth=4
                                        ;           Child Loop BB204_34 Depth 5
	s_wait_alu 0xfffe
	s_cmp_lg_u32 s37, 0
	s_cbranch_scc0 .LBB204_36
; %bb.33:                               ;   in Loop: Header=BB204_32 Depth=4
	s_lshl_b32 s41, s37, 4
	s_add_co_i32 s40, s37, s3
	scratch_load_b128 v[0:3], off, s41
	s_wait_alu 0xfffe
	s_lshl_b32 s39, s40, 7
	s_mov_b32 s42, s38
	s_mov_b32 s43, s30
	;; [unrolled: 1-line block ×3, first 2 shown]
.LBB204_34:                             ;   Parent Loop BB204_3 Depth=1
                                        ;     Parent Loop BB204_20 Depth=2
                                        ;       Parent Loop BB204_23 Depth=3
                                        ;         Parent Loop BB204_32 Depth=4
                                        ; =>        This Inner Loop Header: Depth=5
	scratch_load_b128 v[20:23], off, s43 offset:-8
	s_wait_alu 0xfffe
	v_mov_b32_e32 v5, s42
	s_add_co_i32 s44, s44, -1
	s_add_co_i32 s43, s43, 16
	s_add_co_i32 s42, s42, 16
	s_cmp_eq_u32 s44, 0
	ds_load_b128 v[24:27], v5
	s_wait_loadcnt_dscnt 0x0
	v_mul_f64_e32 v[5:6], v[26:27], v[22:23]
	v_mul_f64_e32 v[22:23], v[24:25], v[22:23]
	s_delay_alu instid0(VALU_DEP_2) | instskip(NEXT) | instid1(VALU_DEP_2)
	v_fma_f64 v[5:6], v[24:25], v[20:21], -v[5:6]
	v_fma_f64 v[20:21], v[26:27], v[20:21], v[22:23]
	s_delay_alu instid0(VALU_DEP_2) | instskip(NEXT) | instid1(VALU_DEP_2)
	v_add_f64_e64 v[0:1], v[0:1], -v[5:6]
	v_add_f64_e64 v[2:3], v[2:3], -v[20:21]
	scratch_store_b128 off, v[0:3], s41
	s_cbranch_scc0 .LBB204_34
; %bb.35:                               ;   in Loop: Header=BB204_32 Depth=4
	s_branch .LBB204_31
.LBB204_36:                             ;   in Loop: Header=BB204_32 Depth=4
                                        ; implicit-def: $vgpr0_vgpr1
                                        ; implicit-def: $sgpr40
                                        ; implicit-def: $sgpr39
	s_cbranch_execz .LBB204_31
; %bb.37:                               ;   in Loop: Header=BB204_32 Depth=4
	scratch_load_b128 v[0:3], off, off
	s_mov_b32 s39, s36
	s_mov_b32 s40, s3
	s_branch .LBB204_31
.LBB204_38:                             ;   in Loop: Header=BB204_3 Depth=1
	s_mov_b32 s3, 0
.LBB204_39:                             ;   in Loop: Header=BB204_3 Depth=1
	s_wait_alu 0xfffe
	s_and_b32 vcc_lo, exec_lo, s3
	s_wait_alu 0xfffe
	s_cbranch_vccz .LBB204_59
; %bb.40:                               ;   in Loop: Header=BB204_3 Depth=1
	s_mov_b32 s20, 0
	s_mov_b32 s3, s26
	s_branch .LBB204_42
.LBB204_41:                             ;   in Loop: Header=BB204_42 Depth=2
	s_cmp_gt_i32 s3, -1
	s_cselect_b32 s18, -1, 0
	s_add_co_i32 s19, s20, 1
	s_cmp_lt_u32 s20, 2
	s_cselect_b32 s20, -1, 0
	s_delay_alu instid0(SALU_CYCLE_1)
	s_and_b32 s18, s18, s20
	s_mov_b32 s20, s19
	s_and_not1_b32 vcc_lo, exec_lo, s18
	s_wait_alu 0xfffe
	s_cbranch_vccnz .LBB204_59
.LBB204_42:                             ;   Parent Loop BB204_3 Depth=1
                                        ; =>  This Loop Header: Depth=2
                                        ;       Child Loop BB204_45 Depth 3
                                        ;         Child Loop BB204_46 Depth 4
                                        ;         Child Loop BB204_48 Depth 4
                                        ;           Child Loop BB204_49 Depth 5
                                        ;         Child Loop BB204_53 Depth 4
                                        ;           Child Loop BB204_55 Depth 5
	s_getpc_b64 s[18:19]
	s_sext_i32_i16 s19, s19
	s_add_co_u32 s18, s18, __const._ZL38rocblas_trsm_small_left_device_sharedBILi8ELi8ELb0E19rocblas_complex_numIdES1_PKPKS1_PKPS1_Ev13rocblas_fill_18rocblas_operation_17rocblas_diagonal_iiT3_T4_lilT5_lili.step_sizes@rel32@lo+8
	s_add_co_ci_u32 s19, s19, __const._ZL38rocblas_trsm_small_left_device_sharedBILi8ELi8ELb0E19rocblas_complex_numIdES1_PKPKS1_PKPS1_Ev13rocblas_fill_18rocblas_operation_17rocblas_diagonal_iiT3_T4_lilT5_lili.step_sizes@rel32@hi+16
	s_lshl_b64 s[34:35], s[20:21], 2
	s_wait_alu 0xfffe
	s_add_nc_u64 s[18:19], s[18:19], s[34:35]
	s_load_b32 s18, s[18:19], 0x0
	s_wait_kmcnt 0x0
	s_add_co_i32 s19, s18, -1
	s_delay_alu instid0(SALU_CYCLE_1)
	s_cmp_lt_i32 s3, s19
	s_cbranch_scc1 .LBB204_41
; %bb.43:                               ;   in Loop: Header=BB204_42 Depth=2
	v_lshl_add_u32 v4, s3, 7, v14
	s_lshl_b32 s31, s18, 7
	s_lshl_b32 s33, s3, 4
	;; [unrolled: 1-line block ×3, first 2 shown]
	s_max_i32 s23, s18, 1
	s_wait_alu 0xfffe
	s_sub_co_i32 s31, 0, s31
	s_add_co_i32 s33, s22, s33
	s_sub_co_i32 s34, 0, s34
	s_mul_i32 s35, s3, 0x90
	s_mul_i32 s36, s18, 0xffffff70
	s_branch .LBB204_45
.LBB204_44:                             ;   in Loop: Header=BB204_45 Depth=3
	v_add_nc_u32_e32 v4, s31, v4
	s_sub_co_i32 s3, s3, s18
	s_add_co_i32 s33, s33, s34
	s_add_co_i32 s35, s35, s36
	s_wait_alu 0xfffe
	s_cmp_lt_i32 s3, s19
	s_cbranch_scc1 .LBB204_41
.LBB204_45:                             ;   Parent Loop BB204_3 Depth=1
                                        ;     Parent Loop BB204_42 Depth=2
                                        ; =>    This Loop Header: Depth=3
                                        ;         Child Loop BB204_46 Depth 4
                                        ;         Child Loop BB204_48 Depth 4
                                        ;           Child Loop BB204_49 Depth 5
                                        ;         Child Loop BB204_53 Depth 4
                                        ;           Child Loop BB204_55 Depth 5
	v_mov_b32_e32 v0, v4
	s_mov_b32 s37, 0
	s_mov_b32 s38, s23
.LBB204_46:                             ;   Parent Loop BB204_3 Depth=1
                                        ;     Parent Loop BB204_42 Depth=2
                                        ;       Parent Loop BB204_45 Depth=3
                                        ; =>      This Inner Loop Header: Depth=4
	ds_load_b128 v[20:23], v0
	v_add_nc_u32_e32 v0, 0xffffff80, v0
	s_wait_alu 0xfffe
	s_add_co_i32 s38, s38, -1
	s_wait_dscnt 0x0
	scratch_store_b128 off, v[20:23], s37
	s_add_co_i32 s37, s37, 16
	s_wait_alu 0xfffe
	s_cmp_eq_u32 s38, 0
	s_cbranch_scc0 .LBB204_46
; %bb.47:                               ;   in Loop: Header=BB204_45 Depth=3
	s_cmp_le_i32 s26, s3
	s_mov_b32 s37, s33
	s_mov_b32 s38, s26
	s_cbranch_scc1 .LBB204_51
.LBB204_48:                             ;   Parent Loop BB204_3 Depth=1
                                        ;     Parent Loop BB204_42 Depth=2
                                        ;       Parent Loop BB204_45 Depth=3
                                        ; =>      This Loop Header: Depth=4
                                        ;           Child Loop BB204_49 Depth 5
	s_wait_alu 0xfffe
	v_lshl_add_u32 v0, s38, 7, v14
	s_mov_b32 s39, s30
	s_mov_b32 s40, s37
	;; [unrolled: 1-line block ×3, first 2 shown]
	ds_load_b128 v[0:3], v0
.LBB204_49:                             ;   Parent Loop BB204_3 Depth=1
                                        ;     Parent Loop BB204_42 Depth=2
                                        ;       Parent Loop BB204_45 Depth=3
                                        ;         Parent Loop BB204_48 Depth=4
                                        ; =>        This Inner Loop Header: Depth=5
	scratch_load_b128 v[20:23], off, s39 offset:-8
	s_wait_alu 0xfffe
	v_mov_b32_e32 v5, s40
	s_add_co_i32 s41, s41, -1
	s_add_co_i32 s40, s40, -16
	ds_load_b128 v[24:27], v5
	s_wait_dscnt 0x0
	v_mul_f64_e32 v[5:6], v[2:3], v[26:27]
	v_mul_f64_e32 v[26:27], v[0:1], v[26:27]
	s_delay_alu instid0(VALU_DEP_2) | instskip(NEXT) | instid1(VALU_DEP_2)
	v_fma_f64 v[5:6], v[0:1], v[24:25], -v[5:6]
	v_fma_f64 v[24:25], v[2:3], v[24:25], v[26:27]
	s_wait_loadcnt 0x0
	s_delay_alu instid0(VALU_DEP_2) | instskip(NEXT) | instid1(VALU_DEP_2)
	v_add_f64_e64 v[20:21], v[20:21], -v[5:6]
	v_add_f64_e64 v[22:23], v[22:23], -v[24:25]
	scratch_store_b128 off, v[20:23], s39 offset:-8
	s_add_co_i32 s39, s39, 16
	s_wait_alu 0xfffe
	s_cmp_eq_u32 s41, 0
	s_cbranch_scc0 .LBB204_49
; %bb.50:                               ;   in Loop: Header=BB204_48 Depth=4
	s_add_co_i32 s38, s38, -1
	s_addk_co_i32 s37, 0xff80
	s_wait_alu 0xfffe
	s_cmp_le_i32 s38, s3
	s_cbranch_scc0 .LBB204_48
.LBB204_51:                             ;   in Loop: Header=BB204_45 Depth=3
	s_mov_b32 s37, 0
	s_mov_b32 s38, s35
	s_branch .LBB204_53
.LBB204_52:                             ;   in Loop: Header=BB204_53 Depth=4
	s_wait_alu 0xfffe
	s_mul_i32 s40, s39, 0x90
	s_add_co_i32 s38, s38, -16
	s_wait_alu 0xfffe
	v_mov_b32_e32 v5, s40
	s_lshl_b32 s40, s37, 4
	s_add_co_i32 s37, s37, 1
	s_wait_alu 0xfffe
	s_cmp_eq_u32 s37, s23
	ds_load_b128 v[20:23], v5
	s_wait_loadcnt_dscnt 0x0
	v_mul_f64_e32 v[5:6], v[22:23], v[2:3]
	v_mul_f64_e32 v[2:3], v[20:21], v[2:3]
	s_delay_alu instid0(VALU_DEP_2) | instskip(NEXT) | instid1(VALU_DEP_2)
	v_fma_f64 v[20:21], v[20:21], v[0:1], -v[5:6]
	v_fma_f64 v[22:23], v[22:23], v[0:1], v[2:3]
	v_lshl_add_u32 v0, s39, 7, v14
	scratch_store_b128 off, v[20:23], s40
	ds_store_b128 v0, v[20:23]
	s_cbranch_scc1 .LBB204_44
.LBB204_53:                             ;   Parent Loop BB204_3 Depth=1
                                        ;     Parent Loop BB204_42 Depth=2
                                        ;       Parent Loop BB204_45 Depth=3
                                        ; =>      This Loop Header: Depth=4
                                        ;           Child Loop BB204_55 Depth 5
	s_wait_alu 0xfffe
	s_cmp_lg_u32 s37, 0
	s_cbranch_scc0 .LBB204_57
; %bb.54:                               ;   in Loop: Header=BB204_53 Depth=4
	s_lshl_b32 s40, s37, 4
	s_sub_co_i32 s39, s3, s37
	scratch_load_b128 v[0:3], off, s40
	s_mov_b32 s41, s30
	s_mov_b32 s42, s38
	;; [unrolled: 1-line block ×3, first 2 shown]
.LBB204_55:                             ;   Parent Loop BB204_3 Depth=1
                                        ;     Parent Loop BB204_42 Depth=2
                                        ;       Parent Loop BB204_45 Depth=3
                                        ;         Parent Loop BB204_53 Depth=4
                                        ; =>        This Inner Loop Header: Depth=5
	scratch_load_b128 v[20:23], off, s41 offset:-8
	s_wait_alu 0xfffe
	v_mov_b32_e32 v5, s42
	s_add_co_i32 s43, s43, -1
	s_addk_co_i32 s42, 0xff80
	s_add_co_i32 s41, s41, 16
	s_wait_alu 0xfffe
	s_cmp_eq_u32 s43, 0
	ds_load_b128 v[24:27], v5
	s_wait_loadcnt_dscnt 0x0
	v_mul_f64_e32 v[5:6], v[26:27], v[22:23]
	v_mul_f64_e32 v[22:23], v[24:25], v[22:23]
	s_delay_alu instid0(VALU_DEP_2) | instskip(NEXT) | instid1(VALU_DEP_2)
	v_fma_f64 v[5:6], v[24:25], v[20:21], -v[5:6]
	v_fma_f64 v[20:21], v[26:27], v[20:21], v[22:23]
	s_delay_alu instid0(VALU_DEP_2) | instskip(NEXT) | instid1(VALU_DEP_2)
	v_add_f64_e64 v[0:1], v[0:1], -v[5:6]
	v_add_f64_e64 v[2:3], v[2:3], -v[20:21]
	scratch_store_b128 off, v[0:3], s40
	s_cbranch_scc0 .LBB204_55
; %bb.56:                               ;   in Loop: Header=BB204_53 Depth=4
	s_branch .LBB204_52
.LBB204_57:                             ;   in Loop: Header=BB204_53 Depth=4
                                        ; implicit-def: $vgpr0_vgpr1
                                        ; implicit-def: $sgpr39
	s_cbranch_execz .LBB204_52
; %bb.58:                               ;   in Loop: Header=BB204_53 Depth=4
	scratch_load_b128 v[0:3], off, off
	s_mov_b32 s39, s3
	s_branch .LBB204_52
.LBB204_59:                             ;   in Loop: Header=BB204_3 Depth=1
	s_wait_storecnt 0x0
	; wave barrier
	s_wait_loadcnt_dscnt 0x0
	global_inv scope:SCOPE_SE
	s_and_saveexec_b32 s3, s29
	s_cbranch_execz .LBB204_2
; %bb.60:                               ;   in Loop: Header=BB204_3 Depth=1
	v_add_co_u32 v0, vcc_lo, v10, s10
	s_wait_alu 0xfffd
	v_add_co_ci_u32_e64 v1, null, s11, v11, vcc_lo
	v_mov_b32_e32 v2, v14
	s_delay_alu instid0(VALU_DEP_3) | instskip(SKIP_1) | instid1(VALU_DEP_3)
	v_add_co_u32 v0, vcc_lo, v0, s16
	s_wait_alu 0xfffd
	v_add_co_ci_u32_e64 v1, null, s17, v1, vcc_lo
	s_mov_b32 s18, s25
	v_add_co_u32 v0, vcc_lo, v0, v8
	s_wait_alu 0xfffd
	v_add_co_ci_u32_e64 v1, null, v1, v9, vcc_lo
.LBB204_61:                             ;   Parent Loop BB204_3 Depth=1
                                        ; =>  This Inner Loop Header: Depth=2
	ds_load_2addr_b64 v[3:6], v2 offset1:1
	v_add_nc_u32_e32 v2, 0x80, v2
	s_add_co_i32 s18, s18, -1
	s_delay_alu instid0(SALU_CYCLE_1)
	s_cmp_lg_u32 s18, 0
	s_wait_dscnt 0x0
	flat_store_b128 v[0:1], v[3:6]
	v_add_co_u32 v0, vcc_lo, v0, 16
	s_wait_alu 0xfffd
	v_add_co_ci_u32_e64 v1, null, 0, v1, vcc_lo
	s_cbranch_scc1 .LBB204_61
	s_branch .LBB204_2
.LBB204_62:
	s_endpgm
	.section	.rodata,"a",@progbits
	.p2align	6, 0x0
	.amdhsa_kernel _ZL38rocblas_trsm_small_left_device_sharedBILi8ELi8ELb0E19rocblas_complex_numIdES1_PKPKS1_PKPS1_Ev13rocblas_fill_18rocblas_operation_17rocblas_diagonal_iiT3_T4_lilT5_lili
		.amdhsa_group_segment_fixed_size 2048
		.amdhsa_private_segment_fixed_size 144
		.amdhsa_kernarg_size 368
		.amdhsa_user_sgpr_count 2
		.amdhsa_user_sgpr_dispatch_ptr 0
		.amdhsa_user_sgpr_queue_ptr 0
		.amdhsa_user_sgpr_kernarg_segment_ptr 1
		.amdhsa_user_sgpr_dispatch_id 0
		.amdhsa_user_sgpr_private_segment_size 0
		.amdhsa_wavefront_size32 1
		.amdhsa_uses_dynamic_stack 0
		.amdhsa_enable_private_segment 1
		.amdhsa_system_sgpr_workgroup_id_x 1
		.amdhsa_system_sgpr_workgroup_id_y 0
		.amdhsa_system_sgpr_workgroup_id_z 1
		.amdhsa_system_sgpr_workgroup_info 0
		.amdhsa_system_vgpr_workitem_id 0
		.amdhsa_next_free_vgpr 28
		.amdhsa_next_free_sgpr 45
		.amdhsa_reserve_vcc 1
		.amdhsa_float_round_mode_32 0
		.amdhsa_float_round_mode_16_64 0
		.amdhsa_float_denorm_mode_32 3
		.amdhsa_float_denorm_mode_16_64 3
		.amdhsa_fp16_overflow 0
		.amdhsa_workgroup_processor_mode 1
		.amdhsa_memory_ordered 1
		.amdhsa_forward_progress 1
		.amdhsa_inst_pref_size 24
		.amdhsa_round_robin_scheduling 0
		.amdhsa_exception_fp_ieee_invalid_op 0
		.amdhsa_exception_fp_denorm_src 0
		.amdhsa_exception_fp_ieee_div_zero 0
		.amdhsa_exception_fp_ieee_overflow 0
		.amdhsa_exception_fp_ieee_underflow 0
		.amdhsa_exception_fp_ieee_inexact 0
		.amdhsa_exception_int_div_zero 0
	.end_amdhsa_kernel
	.section	.text._ZL38rocblas_trsm_small_left_device_sharedBILi8ELi8ELb0E19rocblas_complex_numIdES1_PKPKS1_PKPS1_Ev13rocblas_fill_18rocblas_operation_17rocblas_diagonal_iiT3_T4_lilT5_lili,"axG",@progbits,_ZL38rocblas_trsm_small_left_device_sharedBILi8ELi8ELb0E19rocblas_complex_numIdES1_PKPKS1_PKPS1_Ev13rocblas_fill_18rocblas_operation_17rocblas_diagonal_iiT3_T4_lilT5_lili,comdat
.Lfunc_end204:
	.size	_ZL38rocblas_trsm_small_left_device_sharedBILi8ELi8ELb0E19rocblas_complex_numIdES1_PKPKS1_PKPS1_Ev13rocblas_fill_18rocblas_operation_17rocblas_diagonal_iiT3_T4_lilT5_lili, .Lfunc_end204-_ZL38rocblas_trsm_small_left_device_sharedBILi8ELi8ELb0E19rocblas_complex_numIdES1_PKPKS1_PKPS1_Ev13rocblas_fill_18rocblas_operation_17rocblas_diagonal_iiT3_T4_lilT5_lili
                                        ; -- End function
	.set _ZL38rocblas_trsm_small_left_device_sharedBILi8ELi8ELb0E19rocblas_complex_numIdES1_PKPKS1_PKPS1_Ev13rocblas_fill_18rocblas_operation_17rocblas_diagonal_iiT3_T4_lilT5_lili.num_vgpr, 28
	.set _ZL38rocblas_trsm_small_left_device_sharedBILi8ELi8ELb0E19rocblas_complex_numIdES1_PKPKS1_PKPS1_Ev13rocblas_fill_18rocblas_operation_17rocblas_diagonal_iiT3_T4_lilT5_lili.num_agpr, 0
	.set _ZL38rocblas_trsm_small_left_device_sharedBILi8ELi8ELb0E19rocblas_complex_numIdES1_PKPKS1_PKPS1_Ev13rocblas_fill_18rocblas_operation_17rocblas_diagonal_iiT3_T4_lilT5_lili.numbered_sgpr, 45
	.set _ZL38rocblas_trsm_small_left_device_sharedBILi8ELi8ELb0E19rocblas_complex_numIdES1_PKPKS1_PKPS1_Ev13rocblas_fill_18rocblas_operation_17rocblas_diagonal_iiT3_T4_lilT5_lili.num_named_barrier, 0
	.set _ZL38rocblas_trsm_small_left_device_sharedBILi8ELi8ELb0E19rocblas_complex_numIdES1_PKPKS1_PKPS1_Ev13rocblas_fill_18rocblas_operation_17rocblas_diagonal_iiT3_T4_lilT5_lili.private_seg_size, 144
	.set _ZL38rocblas_trsm_small_left_device_sharedBILi8ELi8ELb0E19rocblas_complex_numIdES1_PKPKS1_PKPS1_Ev13rocblas_fill_18rocblas_operation_17rocblas_diagonal_iiT3_T4_lilT5_lili.uses_vcc, 1
	.set _ZL38rocblas_trsm_small_left_device_sharedBILi8ELi8ELb0E19rocblas_complex_numIdES1_PKPKS1_PKPS1_Ev13rocblas_fill_18rocblas_operation_17rocblas_diagonal_iiT3_T4_lilT5_lili.uses_flat_scratch, 0
	.set _ZL38rocblas_trsm_small_left_device_sharedBILi8ELi8ELb0E19rocblas_complex_numIdES1_PKPKS1_PKPS1_Ev13rocblas_fill_18rocblas_operation_17rocblas_diagonal_iiT3_T4_lilT5_lili.has_dyn_sized_stack, 0
	.set _ZL38rocblas_trsm_small_left_device_sharedBILi8ELi8ELb0E19rocblas_complex_numIdES1_PKPKS1_PKPS1_Ev13rocblas_fill_18rocblas_operation_17rocblas_diagonal_iiT3_T4_lilT5_lili.has_recursion, 0
	.set _ZL38rocblas_trsm_small_left_device_sharedBILi8ELi8ELb0E19rocblas_complex_numIdES1_PKPKS1_PKPS1_Ev13rocblas_fill_18rocblas_operation_17rocblas_diagonal_iiT3_T4_lilT5_lili.has_indirect_call, 0
	.section	.AMDGPU.csdata,"",@progbits
; Kernel info:
; codeLenInByte = 3056
; TotalNumSgprs: 47
; NumVgprs: 28
; ScratchSize: 144
; MemoryBound: 0
; FloatMode: 240
; IeeeMode: 1
; LDSByteSize: 2048 bytes/workgroup (compile time only)
; SGPRBlocks: 0
; VGPRBlocks: 3
; NumSGPRsForWavesPerEU: 47
; NumVGPRsForWavesPerEU: 28
; Occupancy: 16
; WaveLimiterHint : 0
; COMPUTE_PGM_RSRC2:SCRATCH_EN: 1
; COMPUTE_PGM_RSRC2:USER_SGPR: 2
; COMPUTE_PGM_RSRC2:TRAP_HANDLER: 0
; COMPUTE_PGM_RSRC2:TGID_X_EN: 1
; COMPUTE_PGM_RSRC2:TGID_Y_EN: 0
; COMPUTE_PGM_RSRC2:TGID_Z_EN: 1
; COMPUTE_PGM_RSRC2:TIDIG_COMP_CNT: 0
	.section	.text._ZL30rocblas_trsm_small_left_deviceILi8ELi8ELb0E19rocblas_complex_numIdES1_PKPKS1_PKPS1_Ev13rocblas_fill_18rocblas_operation_17rocblas_diagonal_iiT3_T4_lilT5_lili,"axG",@progbits,_ZL30rocblas_trsm_small_left_deviceILi8ELi8ELb0E19rocblas_complex_numIdES1_PKPKS1_PKPS1_Ev13rocblas_fill_18rocblas_operation_17rocblas_diagonal_iiT3_T4_lilT5_lili,comdat
	.globl	_ZL30rocblas_trsm_small_left_deviceILi8ELi8ELb0E19rocblas_complex_numIdES1_PKPKS1_PKPS1_Ev13rocblas_fill_18rocblas_operation_17rocblas_diagonal_iiT3_T4_lilT5_lili ; -- Begin function _ZL30rocblas_trsm_small_left_deviceILi8ELi8ELb0E19rocblas_complex_numIdES1_PKPKS1_PKPS1_Ev13rocblas_fill_18rocblas_operation_17rocblas_diagonal_iiT3_T4_lilT5_lili
	.p2align	8
	.type	_ZL30rocblas_trsm_small_left_deviceILi8ELi8ELb0E19rocblas_complex_numIdES1_PKPKS1_PKPS1_Ev13rocblas_fill_18rocblas_operation_17rocblas_diagonal_iiT3_T4_lilT5_lili,@function
_ZL30rocblas_trsm_small_left_deviceILi8ELi8ELb0E19rocblas_complex_numIdES1_PKPKS1_PKPS1_Ev13rocblas_fill_18rocblas_operation_17rocblas_diagonal_iiT3_T4_lilT5_lili: ; @_ZL30rocblas_trsm_small_left_deviceILi8ELi8ELb0E19rocblas_complex_numIdES1_PKPKS1_PKPS1_Ev13rocblas_fill_18rocblas_operation_17rocblas_diagonal_iiT3_T4_lilT5_lili
; %bb.0:
	s_load_b32 s30, s[2:3], 0x68
	s_lshr_b32 s20, ttmp7, 16
	s_wait_kmcnt 0x0
	s_cmp_ge_u32 s20, s30
	s_cbranch_scc1 .LBB205_58
; %bb.1:
	s_load_b32 s22, s[2:3], 0x38
	s_load_b64 s[0:1], s[0:1], 0x4
	s_clause 0x4
	s_load_b128 s[16:19], s[2:3], 0x4
	s_load_b32 s21, s[2:3], 0x70
	s_load_b128 s[12:15], s[2:3], 0x48
	s_load_b32 s24, s[2:3], 0x58
	s_load_b256 s[4:11], s[2:3], 0x18
	v_bfe_u32 v1, v0, 10, 10
	v_and_b32_e32 v2, 0x3ff, v0
	v_bfe_u32 v0, v0, 20, 10
	v_mov_b32_e32 v14, 0
	s_mov_b32 s36, 0
	s_delay_alu instid0(VALU_DEP_3) | instskip(SKIP_1) | instid1(VALU_DEP_1)
	v_lshlrev_b32_e32 v12, 4, v2
	v_lshlrev_b32_e32 v3, 7, v2
	v_add_nc_u32_e32 v19, v12, v3
	s_wait_kmcnt 0x0
	s_ashr_i32 s23, s22, 31
	s_lshr_b32 s0, s0, 16
	s_cmp_eq_u32 s16, 0x71
	v_mul_u32_u24_e32 v1, s1, v1
	s_mul_i32 s1, s0, s1
	s_cselect_b32 s0, -1, 0
	s_wait_alu 0xfffe
	s_lshl_b32 s2, ttmp9, 3
	v_mul_u32_u24_e32 v4, s1, v2
	v_or_b32_e32 v5, s2, v2
	s_min_i32 s3, s18, 8
	s_add_co_i32 s21, s21, -1
	s_wait_alu 0xfffe
	s_add_co_i32 s31, s3, -1
	v_add3_u32 v4, v4, v1, v0
	v_mad_co_i64_i32 v[0:1], null, s24, v5, 0
	s_sub_co_i32 s18, s19, s2
	s_cmp_ge_u32 ttmp9, s21
	v_cmp_gt_i32_e64 s1, s3, v2
	s_cselect_b32 s2, s18, 8
	s_cmp_lg_u32 s17, 0x84
	v_lshl_add_u32 v13, v4, 7, 0x400
	s_cselect_b32 s33, -1, 0
	s_cmp_lg_u32 s16, 0x6f
	v_lshlrev_b64_e32 v[8:9], 4, v[0:1]
	s_cselect_b32 s34, -1, 0
	s_lshl_b64 s[10:11], s[10:11], 4
	s_wait_alu 0xfffe
	v_cmp_gt_i32_e64 s2, s2, v2
	v_add_co_u32 v0, s10, s10, v12
	s_wait_alu 0xf1ff
	v_add_co_ci_u32_e64 v15, null, s11, 0, s10
	s_lshl_b64 s[10:11], s[14:15], 4
	v_or_b32_e32 v16, 8, v0
	s_wait_alu 0xfffe
	v_add_co_u32 v1, vcc_lo, v8, s10
	s_delay_alu instid0(VALU_DEP_1)
	v_add_co_ci_u32_e64 v17, null, s11, v9, vcc_lo
	s_lshl_b32 s35, s3, 7
	v_or_b32_e32 v18, 8, v1
	s_lshl_b64 s[14:15], s[22:23], 4
	s_addk_co_i32 s35, 0xff80
	s_mov_b32 s17, 0
	s_branch .LBB205_4
.LBB205_2:                              ;   in Loop: Header=BB205_4 Depth=1
	s_add_co_i32 s20, s20, 0x10000
	s_delay_alu instid0(SALU_CYCLE_1)
	s_cmp_ge_u32 s20, s30
	s_cselect_b32 s16, -1, 0
	s_wait_alu 0xfffe
	s_or_not1_b32 s16, s16, exec_lo
.LBB205_3:                              ;   in Loop: Header=BB205_4 Depth=1
	s_or_b32 exec_lo, exec_lo, s21
	s_wait_alu 0xfffe
	s_and_b32 s16, exec_lo, s16
	s_wait_alu 0xfffe
	s_or_b32 s36, s16, s36
	s_delay_alu instid0(SALU_CYCLE_1)
	s_and_not1_b32 exec_lo, exec_lo, s36
	s_cbranch_execz .LBB205_58
.LBB205_4:                              ; =>This Loop Header: Depth=1
                                        ;     Child Loop BB205_6 Depth 2
                                        ;     Child Loop BB205_19 Depth 2
                                        ;       Child Loop BB205_22 Depth 3
                                        ;         Child Loop BB205_23 Depth 4
                                        ;         Child Loop BB205_26 Depth 4
                                        ;           Child Loop BB205_27 Depth 5
                                        ;         Child Loop BB205_31 Depth 4
                                        ;           Child Loop BB205_33 Depth 5
                                        ;     Child Loop BB205_41 Depth 2
                                        ;       Child Loop BB205_44 Depth 3
                                        ;         Child Loop BB205_45 Depth 4
                                        ;         Child Loop BB205_47 Depth 4
                                        ;           Child Loop BB205_48 Depth 5
                                        ;         Child Loop BB205_52 Depth 4
                                        ;           Child Loop BB205_54 Depth 5
	s_mov_b32 s21, s17
	s_delay_alu instid0(SALU_CYCLE_1) | instskip(NEXT) | instid1(SALU_CYCLE_1)
	s_lshl_b64 s[18:19], s[20:21], 3
	s_add_nc_u64 s[22:23], s[12:13], s[18:19]
	global_load_b64 v[10:11], v14, s[22:23]
	s_and_saveexec_b32 s16, s1
	s_cbranch_execz .LBB205_15
; %bb.5:                                ;   in Loop: Header=BB205_4 Depth=1
	s_add_nc_u64 s[18:19], s[8:9], s[18:19]
	v_mov_b32_e32 v2, v12
	global_load_b64 v[0:1], v14, s[18:19]
	s_mov_b32 s18, s3
	s_wait_loadcnt 0x0
	v_add_co_u32 v0, vcc_lo, v0, v16
	s_wait_alu 0xfffd
	v_add_co_ci_u32_e64 v1, null, v1, v15, vcc_lo
.LBB205_6:                              ;   Parent Loop BB205_4 Depth=1
                                        ; =>  This Inner Loop Header: Depth=2
	flat_load_b128 v[3:6], v[0:1] offset:-8
	v_add_co_u32 v0, vcc_lo, v0, s14
	s_wait_alu 0xfffd
	v_add_co_ci_u32_e64 v1, null, s15, v1, vcc_lo
	s_add_co_i32 s18, s18, -1
	s_delay_alu instid0(SALU_CYCLE_1) | instskip(SKIP_2) | instid1(VALU_DEP_1)
	s_cmp_eq_u32 s18, 0
	s_wait_loadcnt_dscnt 0x0
	v_xor_b32_e32 v7, 0x80000000, v6
	v_cndmask_b32_e64 v6, v6, v7, s0
	ds_store_b128 v2, v[3:6]
	v_add_nc_u32_e32 v2, 0x80, v2
	s_cbranch_scc0 .LBB205_6
; %bb.7:                                ;   in Loop: Header=BB205_4 Depth=1
	s_and_b32 vcc_lo, exec_lo, s33
	s_wait_alu 0xfffe
	s_cbranch_vccz .LBB205_13
; %bb.8:                                ;   in Loop: Header=BB205_4 Depth=1
	ds_load_b128 v[0:3], v19
                                        ; implicit-def: $vgpr6_vgpr7
	s_wait_dscnt 0x0
	v_cmp_ngt_f64_e64 s18, |v[0:1]|, |v[2:3]|
	s_and_saveexec_b32 s19, s18
	s_delay_alu instid0(SALU_CYCLE_1)
	s_xor_b32 s18, exec_lo, s19
	s_cbranch_execz .LBB205_10
; %bb.9:                                ;   in Loop: Header=BB205_4 Depth=1
	v_div_scale_f64 v[4:5], null, v[2:3], v[2:3], v[0:1]
	v_div_scale_f64 v[22:23], vcc_lo, v[0:1], v[2:3], v[0:1]
	s_delay_alu instid0(VALU_DEP_2) | instskip(NEXT) | instid1(TRANS32_DEP_1)
	v_rcp_f64_e32 v[6:7], v[4:5]
	v_fma_f64 v[20:21], -v[4:5], v[6:7], 1.0
	s_delay_alu instid0(VALU_DEP_1) | instskip(NEXT) | instid1(VALU_DEP_1)
	v_fma_f64 v[6:7], v[6:7], v[20:21], v[6:7]
	v_fma_f64 v[20:21], -v[4:5], v[6:7], 1.0
	s_delay_alu instid0(VALU_DEP_1) | instskip(NEXT) | instid1(VALU_DEP_1)
	v_fma_f64 v[6:7], v[6:7], v[20:21], v[6:7]
	v_mul_f64_e32 v[20:21], v[22:23], v[6:7]
	s_delay_alu instid0(VALU_DEP_1) | instskip(SKIP_1) | instid1(VALU_DEP_1)
	v_fma_f64 v[4:5], -v[4:5], v[20:21], v[22:23]
	s_wait_alu 0xfffd
	v_div_fmas_f64 v[4:5], v[4:5], v[6:7], v[20:21]
	s_delay_alu instid0(VALU_DEP_1) | instskip(NEXT) | instid1(VALU_DEP_1)
	v_div_fixup_f64 v[4:5], v[4:5], v[2:3], v[0:1]
	v_fma_f64 v[0:1], v[0:1], v[4:5], v[2:3]
	s_delay_alu instid0(VALU_DEP_1) | instskip(SKIP_1) | instid1(VALU_DEP_2)
	v_div_scale_f64 v[2:3], null, v[0:1], v[0:1], 1.0
	v_div_scale_f64 v[22:23], vcc_lo, 1.0, v[0:1], 1.0
	v_rcp_f64_e32 v[6:7], v[2:3]
	s_delay_alu instid0(TRANS32_DEP_1) | instskip(NEXT) | instid1(VALU_DEP_1)
	v_fma_f64 v[20:21], -v[2:3], v[6:7], 1.0
	v_fma_f64 v[6:7], v[6:7], v[20:21], v[6:7]
	s_delay_alu instid0(VALU_DEP_1) | instskip(NEXT) | instid1(VALU_DEP_1)
	v_fma_f64 v[20:21], -v[2:3], v[6:7], 1.0
	v_fma_f64 v[6:7], v[6:7], v[20:21], v[6:7]
	s_delay_alu instid0(VALU_DEP_1) | instskip(NEXT) | instid1(VALU_DEP_1)
	v_mul_f64_e32 v[20:21], v[22:23], v[6:7]
	v_fma_f64 v[2:3], -v[2:3], v[20:21], v[22:23]
	s_wait_alu 0xfffd
	s_delay_alu instid0(VALU_DEP_1) | instskip(SKIP_1) | instid1(VALU_DEP_2)
	v_div_fmas_f64 v[2:3], v[2:3], v[6:7], v[20:21]
	v_add_f64_e32 v[6:7], 0, v[4:5]
	v_div_fixup_f64 v[0:1], v[2:3], v[0:1], 1.0
	v_fma_f64 v[2:3], v[4:5], 0, -1.0
	s_delay_alu instid0(VALU_DEP_2) | instskip(NEXT) | instid1(VALU_DEP_2)
	v_mul_f64_e32 v[4:5], v[6:7], v[0:1]
	v_mul_f64_e32 v[6:7], v[2:3], v[0:1]
                                        ; implicit-def: $vgpr0_vgpr1
.LBB205_10:                             ;   in Loop: Header=BB205_4 Depth=1
	s_and_not1_saveexec_b32 s18, s18
	s_cbranch_execz .LBB205_12
; %bb.11:                               ;   in Loop: Header=BB205_4 Depth=1
	v_div_scale_f64 v[4:5], null, v[0:1], v[0:1], v[2:3]
	v_div_scale_f64 v[22:23], vcc_lo, v[2:3], v[0:1], v[2:3]
	s_delay_alu instid0(VALU_DEP_2) | instskip(NEXT) | instid1(TRANS32_DEP_1)
	v_rcp_f64_e32 v[6:7], v[4:5]
	v_fma_f64 v[20:21], -v[4:5], v[6:7], 1.0
	s_delay_alu instid0(VALU_DEP_1) | instskip(NEXT) | instid1(VALU_DEP_1)
	v_fma_f64 v[6:7], v[6:7], v[20:21], v[6:7]
	v_fma_f64 v[20:21], -v[4:5], v[6:7], 1.0
	s_delay_alu instid0(VALU_DEP_1) | instskip(NEXT) | instid1(VALU_DEP_1)
	v_fma_f64 v[6:7], v[6:7], v[20:21], v[6:7]
	v_mul_f64_e32 v[20:21], v[22:23], v[6:7]
	s_delay_alu instid0(VALU_DEP_1) | instskip(SKIP_1) | instid1(VALU_DEP_1)
	v_fma_f64 v[4:5], -v[4:5], v[20:21], v[22:23]
	s_wait_alu 0xfffd
	v_div_fmas_f64 v[4:5], v[4:5], v[6:7], v[20:21]
	s_delay_alu instid0(VALU_DEP_1) | instskip(NEXT) | instid1(VALU_DEP_1)
	v_div_fixup_f64 v[4:5], v[4:5], v[0:1], v[2:3]
	v_fma_f64 v[0:1], v[2:3], v[4:5], v[0:1]
	s_delay_alu instid0(VALU_DEP_1) | instskip(SKIP_1) | instid1(VALU_DEP_2)
	v_div_scale_f64 v[2:3], null, v[0:1], v[0:1], 1.0
	v_div_scale_f64 v[22:23], vcc_lo, 1.0, v[0:1], 1.0
	v_rcp_f64_e32 v[6:7], v[2:3]
	s_delay_alu instid0(TRANS32_DEP_1) | instskip(NEXT) | instid1(VALU_DEP_1)
	v_fma_f64 v[20:21], -v[2:3], v[6:7], 1.0
	v_fma_f64 v[6:7], v[6:7], v[20:21], v[6:7]
	s_delay_alu instid0(VALU_DEP_1) | instskip(NEXT) | instid1(VALU_DEP_1)
	v_fma_f64 v[20:21], -v[2:3], v[6:7], 1.0
	v_fma_f64 v[6:7], v[6:7], v[20:21], v[6:7]
	s_delay_alu instid0(VALU_DEP_1) | instskip(NEXT) | instid1(VALU_DEP_1)
	v_mul_f64_e32 v[20:21], v[22:23], v[6:7]
	v_fma_f64 v[2:3], -v[2:3], v[20:21], v[22:23]
	s_wait_alu 0xfffd
	s_delay_alu instid0(VALU_DEP_1) | instskip(SKIP_1) | instid1(VALU_DEP_2)
	v_div_fmas_f64 v[2:3], v[2:3], v[6:7], v[20:21]
	v_fma_f64 v[6:7], v[4:5], 0, 1.0
	v_div_fixup_f64 v[0:1], v[2:3], v[0:1], 1.0
	v_add_f64_e64 v[2:3], -v[4:5], 0
	s_delay_alu instid0(VALU_DEP_2) | instskip(NEXT) | instid1(VALU_DEP_2)
	v_mul_f64_e32 v[4:5], v[6:7], v[0:1]
	v_mul_f64_e32 v[6:7], v[2:3], v[0:1]
.LBB205_12:                             ;   in Loop: Header=BB205_4 Depth=1
	s_or_b32 exec_lo, exec_lo, s18
	s_branch .LBB205_14
.LBB205_13:                             ;   in Loop: Header=BB205_4 Depth=1
	v_mov_b32_e32 v6, 0
	v_dual_mov_b32 v7, 0 :: v_dual_mov_b32 v4, 0
	v_mov_b32_e32 v5, 0x3ff00000
.LBB205_14:                             ;   in Loop: Header=BB205_4 Depth=1
	ds_store_b128 v19, v[4:7]
.LBB205_15:                             ;   in Loop: Header=BB205_4 Depth=1
	s_wait_alu 0xfffe
	s_or_b32 exec_lo, exec_lo, s16
	s_mov_b32 s16, -1
	; wave barrier
	s_wait_loadcnt_dscnt 0x0
	global_inv scope:SCOPE_SE
	s_and_saveexec_b32 s21, s2
	s_cbranch_execz .LBB205_3
; %bb.16:                               ;   in Loop: Header=BB205_4 Depth=1
	v_add_co_u32 v0, vcc_lo, v10, s10
	s_wait_alu 0xfffd
	v_add_co_ci_u32_e64 v1, null, s11, v11, vcc_lo
	s_delay_alu instid0(VALU_DEP_2) | instskip(SKIP_1) | instid1(VALU_DEP_2)
	v_add_co_u32 v6, vcc_lo, v0, v8
	s_wait_alu 0xfffd
	v_add_co_ci_u32_e64 v7, null, v1, v9, vcc_lo
	s_and_not1_b32 vcc_lo, exec_lo, s34
	s_wait_alu 0xfffe
	s_cbranch_vccnz .LBB205_38
; %bb.17:                               ;   in Loop: Header=BB205_4 Depth=1
	v_add_co_u32 v20, vcc_lo, v10, v18
	s_wait_alu 0xfffd
	v_add_co_ci_u32_e64 v21, null, v11, v17, vcc_lo
	s_mov_b32 s22, 0
	s_mov_b32 s18, 0
	s_branch .LBB205_19
.LBB205_18:                             ;   in Loop: Header=BB205_19 Depth=2
	s_cmp_lt_i32 s18, s3
	s_cselect_b32 s16, -1, 0
	s_add_co_i32 s19, s22, 1
	s_cmp_lt_u32 s22, 2
	s_cselect_b32 s22, -1, 0
	s_wait_alu 0xfffe
	s_and_b32 s16, s16, s22
	s_mov_b32 s22, s19
	s_wait_alu 0xfffe
	s_and_b32 vcc_lo, exec_lo, s16
	s_wait_alu 0xfffe
	s_cbranch_vccz .LBB205_37
.LBB205_19:                             ;   Parent Loop BB205_4 Depth=1
                                        ; =>  This Loop Header: Depth=2
                                        ;       Child Loop BB205_22 Depth 3
                                        ;         Child Loop BB205_23 Depth 4
                                        ;         Child Loop BB205_26 Depth 4
                                        ;           Child Loop BB205_27 Depth 5
                                        ;         Child Loop BB205_31 Depth 4
                                        ;           Child Loop BB205_33 Depth 5
	s_mov_b32 s23, s17
	s_getpc_b64 s[24:25]
	s_wait_alu 0xfffe
	s_sext_i32_i16 s25, s25
	s_add_co_u32 s24, s24, __const._ZL30rocblas_trsm_small_left_deviceILi8ELi8ELb0E19rocblas_complex_numIdES1_PKPKS1_PKPS1_Ev13rocblas_fill_18rocblas_operation_17rocblas_diagonal_iiT3_T4_lilT5_lili.step_sizes@rel32@lo+12
	s_wait_alu 0xfffe
	s_add_co_ci_u32 s25, s25, __const._ZL30rocblas_trsm_small_left_deviceILi8ELi8ELb0E19rocblas_complex_numIdES1_PKPKS1_PKPS1_Ev13rocblas_fill_18rocblas_operation_17rocblas_diagonal_iiT3_T4_lilT5_lili.step_sizes@rel32@hi+24
	s_lshl_b64 s[26:27], s[22:23], 2
	s_wait_alu 0xfffe
	s_add_nc_u64 s[24:25], s[24:25], s[26:27]
	s_load_b32 s24, s[24:25], 0x0
	s_wait_kmcnt 0x0
	s_add_co_i32 s23, s24, -1
	s_wait_alu 0xfffe
	s_add_co_i32 s16, s23, s18
	s_wait_alu 0xfffe
	s_cmp_ge_i32 s16, s3
	s_cbranch_scc1 .LBB205_18
; %bb.20:                               ;   in Loop: Header=BB205_19 Depth=2
	s_ashr_i32 s19, s18, 31
	s_ashr_i32 s25, s24, 31
	s_lshl_b64 s[26:27], s[18:19], 4
	s_max_i32 s37, s24, 1
	s_wait_alu 0xfffe
	v_add_co_u32 v4, vcc_lo, v20, s26
	s_wait_alu 0xfffd
	v_add_co_ci_u32_e64 v5, null, s27, v21, vcc_lo
	s_lshl_b64 s[26:27], s[24:25], 4
	s_lshl_b32 s19, s18, 7
	s_lshl_b32 s25, s24, 7
	s_mul_i32 s38, s18, 0x90
	s_mul_i32 s39, s24, 0x90
	s_branch .LBB205_22
.LBB205_21:                             ;   in Loop: Header=BB205_22 Depth=3
	v_add_co_u32 v4, vcc_lo, v4, s26
	s_add_co_i32 s18, s18, s24
	s_wait_alu 0xfffd
	v_add_co_ci_u32_e64 v5, null, s27, v5, vcc_lo
	s_add_co_i32 s16, s23, s18
	s_add_co_i32 s19, s19, s25
	;; [unrolled: 1-line block ×3, first 2 shown]
	s_wait_alu 0xfffe
	s_cmp_ge_i32 s16, s3
	s_cbranch_scc1 .LBB205_18
.LBB205_22:                             ;   Parent Loop BB205_4 Depth=1
                                        ;     Parent Loop BB205_19 Depth=2
                                        ; =>    This Loop Header: Depth=3
                                        ;         Child Loop BB205_23 Depth 4
                                        ;         Child Loop BB205_26 Depth 4
                                        ;           Child Loop BB205_27 Depth 5
                                        ;         Child Loop BB205_31 Depth 4
                                        ;           Child Loop BB205_33 Depth 5
	v_mov_b32_e32 v0, v4
	v_dual_mov_b32 v2, v13 :: v_dual_mov_b32 v1, v5
	s_mov_b32 s16, s37
.LBB205_23:                             ;   Parent Loop BB205_4 Depth=1
                                        ;     Parent Loop BB205_19 Depth=2
                                        ;       Parent Loop BB205_22 Depth=3
                                        ; =>      This Inner Loop Header: Depth=4
	flat_load_b128 v[22:25], v[0:1] offset:-8
	v_add_co_u32 v0, vcc_lo, v0, 16
	s_wait_alu 0xfffd
	v_add_co_ci_u32_e64 v1, null, 0, v1, vcc_lo
	s_wait_alu 0xfffe
	s_add_co_i32 s16, s16, -1
	s_wait_alu 0xfffe
	s_cmp_eq_u32 s16, 0
	s_wait_loadcnt_dscnt 0x0
	v_mul_f64_e32 v[26:27], s[6:7], v[24:25]
	v_mul_f64_e32 v[28:29], s[4:5], v[24:25]
	s_delay_alu instid0(VALU_DEP_2) | instskip(NEXT) | instid1(VALU_DEP_2)
	v_fma_f64 v[24:25], s[4:5], v[22:23], -v[26:27]
	v_fma_f64 v[26:27], s[6:7], v[22:23], v[28:29]
	ds_store_b128 v2, v[24:27]
	v_add_nc_u32_e32 v2, 16, v2
	s_cbranch_scc0 .LBB205_23
; %bb.24:                               ;   in Loop: Header=BB205_22 Depth=3
	s_cmp_lt_i32 s18, 1
	s_cbranch_scc1 .LBB205_29
; %bb.25:                               ;   in Loop: Header=BB205_22 Depth=3
	s_mov_b32 s16, 0
	s_mov_b32 s28, s19
.LBB205_26:                             ;   Parent Loop BB205_4 Depth=1
                                        ;     Parent Loop BB205_19 Depth=2
                                        ;       Parent Loop BB205_22 Depth=3
                                        ; =>      This Loop Header: Depth=4
                                        ;           Child Loop BB205_27 Depth 5
	s_wait_alu 0xfffe
	s_lshl_b64 s[40:41], s[16:17], 4
	v_mov_b32_e32 v22, v13
	s_wait_alu 0xfffe
	v_add_co_u32 v0, vcc_lo, v6, s40
	s_wait_alu 0xfffd
	v_add_co_ci_u32_e64 v1, null, s41, v7, vcc_lo
	s_mov_b32 s29, s28
	s_mov_b32 s40, s37
	flat_load_b128 v[0:3], v[0:1]
.LBB205_27:                             ;   Parent Loop BB205_4 Depth=1
                                        ;     Parent Loop BB205_19 Depth=2
                                        ;       Parent Loop BB205_22 Depth=3
                                        ;         Parent Loop BB205_26 Depth=4
                                        ; =>        This Inner Loop Header: Depth=5
	s_wait_alu 0xfffe
	v_mov_b32_e32 v23, s29
	s_add_co_i32 s40, s40, -1
	s_addk_co_i32 s29, 0x80
	s_wait_alu 0xfffe
	s_cmp_eq_u32 s40, 0
	ds_load_b128 v[23:26], v23
	s_wait_loadcnt_dscnt 0x0
	v_mul_f64_e32 v[27:28], v[2:3], v[25:26]
	v_mul_f64_e32 v[25:26], v[0:1], v[25:26]
	s_delay_alu instid0(VALU_DEP_2) | instskip(NEXT) | instid1(VALU_DEP_2)
	v_fma_f64 v[27:28], v[0:1], v[23:24], -v[27:28]
	v_fma_f64 v[29:30], v[2:3], v[23:24], v[25:26]
	ds_load_b128 v[23:26], v22
	s_wait_dscnt 0x0
	v_add_f64_e64 v[23:24], v[23:24], -v[27:28]
	v_add_f64_e64 v[25:26], v[25:26], -v[29:30]
	ds_store_b128 v22, v[23:26]
	v_add_nc_u32_e32 v22, 16, v22
	s_cbranch_scc0 .LBB205_27
; %bb.28:                               ;   in Loop: Header=BB205_26 Depth=4
	s_add_co_i32 s16, s16, 1
	s_add_co_i32 s28, s28, 16
	s_wait_alu 0xfffe
	s_cmp_eq_u32 s16, s18
	s_cbranch_scc0 .LBB205_26
.LBB205_29:                             ;   in Loop: Header=BB205_22 Depth=3
	s_mov_b32 s16, 0
	s_mov_b32 s40, s38
	s_branch .LBB205_31
.LBB205_30:                             ;   in Loop: Header=BB205_31 Depth=4
	s_wait_alu 0xfffe
	s_mul_i32 s29, s28, 0x90
	s_add_co_i32 s16, s16, 1
	s_wait_alu 0xfffe
	v_mov_b32_e32 v23, s29
	s_ashr_i32 s29, s28, 31
	s_addk_co_i32 s40, 0x80
	s_wait_alu 0xfffe
	s_lshl_b64 s[28:29], s[28:29], 4
	s_cmp_eq_u32 s16, s37
	ds_load_b128 v[23:26], v23
	s_wait_dscnt 0x0
	v_mul_f64_e32 v[27:28], v[25:26], v[2:3]
	v_mul_f64_e32 v[2:3], v[23:24], v[2:3]
	s_delay_alu instid0(VALU_DEP_2) | instskip(NEXT) | instid1(VALU_DEP_2)
	v_fma_f64 v[23:24], v[23:24], v[0:1], -v[27:28]
	v_fma_f64 v[25:26], v[25:26], v[0:1], v[2:3]
	s_wait_alu 0xfffe
	v_add_co_u32 v0, vcc_lo, v6, s28
	s_wait_alu 0xfffd
	v_add_co_ci_u32_e64 v1, null, s29, v7, vcc_lo
	ds_store_b128 v22, v[23:26]
	flat_store_b128 v[0:1], v[23:26]
	s_cbranch_scc1 .LBB205_21
.LBB205_31:                             ;   Parent Loop BB205_4 Depth=1
                                        ;     Parent Loop BB205_19 Depth=2
                                        ;       Parent Loop BB205_22 Depth=3
                                        ; =>      This Loop Header: Depth=4
                                        ;           Child Loop BB205_33 Depth 5
	s_wait_alu 0xfffe
	v_lshl_add_u32 v22, s16, 4, v13
	s_cmp_lg_u32 s16, 0
	s_cbranch_scc0 .LBB205_35
; %bb.32:                               ;   in Loop: Header=BB205_31 Depth=4
	ds_load_b128 v[0:3], v22
	v_mov_b32_e32 v23, v13
	s_add_co_i32 s28, s16, s18
	s_mov_b32 s29, s40
	s_mov_b32 s41, s16
.LBB205_33:                             ;   Parent Loop BB205_4 Depth=1
                                        ;     Parent Loop BB205_19 Depth=2
                                        ;       Parent Loop BB205_22 Depth=3
                                        ;         Parent Loop BB205_31 Depth=4
                                        ; =>        This Inner Loop Header: Depth=5
	s_wait_alu 0xfffe
	v_mov_b32_e32 v28, s29
	s_add_co_i32 s41, s41, -1
	s_add_co_i32 s29, s29, 16
	s_wait_alu 0xfffe
	s_cmp_eq_u32 s41, 0
	ds_load_b128 v[24:27], v23
	ds_load_b128 v[28:31], v28
	v_add_nc_u32_e32 v23, 16, v23
	s_wait_dscnt 0x0
	v_mul_f64_e32 v[32:33], v[30:31], v[26:27]
	v_mul_f64_e32 v[26:27], v[28:29], v[26:27]
	s_delay_alu instid0(VALU_DEP_2) | instskip(NEXT) | instid1(VALU_DEP_2)
	v_fma_f64 v[28:29], v[28:29], v[24:25], -v[32:33]
	v_fma_f64 v[24:25], v[30:31], v[24:25], v[26:27]
	s_delay_alu instid0(VALU_DEP_2) | instskip(NEXT) | instid1(VALU_DEP_2)
	v_add_f64_e64 v[0:1], v[0:1], -v[28:29]
	v_add_f64_e64 v[2:3], v[2:3], -v[24:25]
	ds_store_b128 v22, v[0:3]
	s_cbranch_scc0 .LBB205_33
; %bb.34:                               ;   in Loop: Header=BB205_31 Depth=4
	s_branch .LBB205_30
.LBB205_35:                             ;   in Loop: Header=BB205_31 Depth=4
                                        ; implicit-def: $vgpr0_vgpr1
                                        ; implicit-def: $sgpr28
	s_cbranch_execz .LBB205_30
; %bb.36:                               ;   in Loop: Header=BB205_31 Depth=4
	ds_load_b128 v[0:3], v13
	s_mov_b32 s28, s18
	s_branch .LBB205_30
.LBB205_37:                             ;   in Loop: Header=BB205_4 Depth=1
	s_mov_b32 s16, 0
.LBB205_38:                             ;   in Loop: Header=BB205_4 Depth=1
	s_wait_alu 0xfffe
	s_and_b32 vcc_lo, exec_lo, s16
	s_wait_alu 0xfffe
	s_cbranch_vccz .LBB205_2
; %bb.39:                               ;   in Loop: Header=BB205_4 Depth=1
	v_add_co_u32 v4, vcc_lo, v10, v18
	s_wait_alu 0xfffd
	v_add_co_ci_u32_e64 v5, null, v11, v17, vcc_lo
	s_mov_b32 s16, 0
	s_mov_b32 s18, s31
	s_branch .LBB205_41
.LBB205_40:                             ;   in Loop: Header=BB205_41 Depth=2
	s_cmp_gt_i32 s18, -1
	s_cselect_b32 s19, -1, 0
	s_add_co_i32 s22, s16, 1
	s_cmp_lt_u32 s16, 2
	s_cselect_b32 s16, -1, 0
	s_wait_alu 0xfffe
	s_and_b32 s16, s19, s16
	s_wait_alu 0xfffe
	s_and_not1_b32 vcc_lo, exec_lo, s16
	s_mov_b32 s16, s22
	s_wait_alu 0xfffe
	s_cbranch_vccnz .LBB205_2
.LBB205_41:                             ;   Parent Loop BB205_4 Depth=1
                                        ; =>  This Loop Header: Depth=2
                                        ;       Child Loop BB205_44 Depth 3
                                        ;         Child Loop BB205_45 Depth 4
                                        ;         Child Loop BB205_47 Depth 4
                                        ;           Child Loop BB205_48 Depth 5
                                        ;         Child Loop BB205_52 Depth 4
                                        ;           Child Loop BB205_54 Depth 5
	s_getpc_b64 s[22:23]
	s_wait_alu 0xfffe
	s_sext_i32_i16 s23, s23
	s_add_co_u32 s22, s22, __const._ZL30rocblas_trsm_small_left_deviceILi8ELi8ELb0E19rocblas_complex_numIdES1_PKPKS1_PKPS1_Ev13rocblas_fill_18rocblas_operation_17rocblas_diagonal_iiT3_T4_lilT5_lili.step_sizes@rel32@lo+12
	s_wait_alu 0xfffe
	s_add_co_ci_u32 s23, s23, __const._ZL30rocblas_trsm_small_left_deviceILi8ELi8ELb0E19rocblas_complex_numIdES1_PKPKS1_PKPS1_Ev13rocblas_fill_18rocblas_operation_17rocblas_diagonal_iiT3_T4_lilT5_lili.step_sizes@rel32@hi+24
	s_lshl_b64 s[24:25], s[16:17], 2
	s_wait_alu 0xfffe
	s_add_nc_u64 s[22:23], s[22:23], s[24:25]
	s_load_b32 s26, s[22:23], 0x0
	s_wait_kmcnt 0x0
	s_add_co_i32 s27, s26, -1
	s_wait_alu 0xfffe
	s_cmp_lt_i32 s18, s27
	s_cbranch_scc1 .LBB205_40
; %bb.42:                               ;   in Loop: Header=BB205_41 Depth=2
	s_lshl_b32 s19, s18, 4
	s_lshl_b32 s22, s26, 4
	s_max_i32 s28, s26, 1
	s_add_co_i32 s29, s35, s19
	s_wait_alu 0xfffe
	s_sub_co_i32 s37, 0, s22
	s_mul_i32 s38, s18, 0x90
	s_mul_i32 s39, s26, 0xffffff70
	s_branch .LBB205_44
.LBB205_43:                             ;   in Loop: Header=BB205_44 Depth=3
	s_sub_co_i32 s18, s18, s26
	s_add_co_i32 s29, s29, s37
	s_add_co_i32 s38, s38, s39
	s_cmp_lt_i32 s18, s27
	s_cbranch_scc1 .LBB205_40
.LBB205_44:                             ;   Parent Loop BB205_4 Depth=1
                                        ;     Parent Loop BB205_41 Depth=2
                                        ; =>    This Loop Header: Depth=3
                                        ;         Child Loop BB205_45 Depth 4
                                        ;         Child Loop BB205_47 Depth 4
                                        ;           Child Loop BB205_48 Depth 5
                                        ;         Child Loop BB205_52 Depth 4
                                        ;           Child Loop BB205_54 Depth 5
	s_ashr_i32 s19, s18, 31
	v_mov_b32_e32 v2, v13
	s_lshl_b64 s[22:23], s[18:19], 4
	s_wait_alu 0xfffe
	v_add_co_u32 v0, vcc_lo, v4, s22
	s_wait_alu 0xfffd
	v_add_co_ci_u32_e64 v1, null, s23, v5, vcc_lo
	s_mov_b32 s22, s28
.LBB205_45:                             ;   Parent Loop BB205_4 Depth=1
                                        ;     Parent Loop BB205_41 Depth=2
                                        ;       Parent Loop BB205_44 Depth=3
                                        ; =>      This Inner Loop Header: Depth=4
	flat_load_b128 v[20:23], v[0:1] offset:-8
	v_add_co_u32 v0, vcc_lo, v0, -16
	s_wait_alu 0xfffd
	v_add_co_ci_u32_e64 v1, null, -1, v1, vcc_lo
	s_wait_alu 0xfffe
	s_add_co_i32 s22, s22, -1
	s_wait_alu 0xfffe
	s_cmp_eq_u32 s22, 0
	s_wait_loadcnt_dscnt 0x0
	v_mul_f64_e32 v[10:11], s[6:7], v[22:23]
	v_mul_f64_e32 v[24:25], s[4:5], v[22:23]
	s_delay_alu instid0(VALU_DEP_2) | instskip(NEXT) | instid1(VALU_DEP_2)
	v_fma_f64 v[22:23], s[4:5], v[20:21], -v[10:11]
	v_fma_f64 v[24:25], s[6:7], v[20:21], v[24:25]
	ds_store_b128 v2, v[22:25]
	v_add_nc_u32_e32 v2, 16, v2
	s_cbranch_scc0 .LBB205_45
; %bb.46:                               ;   in Loop: Header=BB205_44 Depth=3
	s_cmp_le_i32 s31, s18
	s_mov_b32 s24, s29
	s_mov_b32 s22, s31
	s_cbranch_scc1 .LBB205_50
.LBB205_47:                             ;   Parent Loop BB205_4 Depth=1
                                        ;     Parent Loop BB205_41 Depth=2
                                        ;       Parent Loop BB205_44 Depth=3
                                        ; =>      This Loop Header: Depth=4
                                        ;           Child Loop BB205_48 Depth 5
	s_wait_alu 0xfffe
	s_ashr_i32 s23, s22, 31
	v_mov_b32_e32 v10, v13
	s_wait_alu 0xfffe
	s_lshl_b64 s[40:41], s[22:23], 4
	s_mov_b32 s23, s24
	s_wait_alu 0xfffe
	v_add_co_u32 v0, vcc_lo, v6, s40
	s_wait_alu 0xfffd
	v_add_co_ci_u32_e64 v1, null, s41, v7, vcc_lo
	s_mov_b32 s25, s28
	flat_load_b128 v[0:3], v[0:1]
.LBB205_48:                             ;   Parent Loop BB205_4 Depth=1
                                        ;     Parent Loop BB205_41 Depth=2
                                        ;       Parent Loop BB205_44 Depth=3
                                        ;         Parent Loop BB205_47 Depth=4
                                        ; =>        This Inner Loop Header: Depth=5
	v_mov_b32_e32 v11, s23
	s_wait_alu 0xfffe
	s_add_co_i32 s25, s25, -1
	s_add_co_i32 s23, s23, -16
	s_wait_alu 0xfffe
	s_cmp_eq_u32 s25, 0
	ds_load_b128 v[20:23], v11
	s_wait_loadcnt_dscnt 0x0
	v_mul_f64_e32 v[24:25], v[2:3], v[22:23]
	v_mul_f64_e32 v[22:23], v[0:1], v[22:23]
	s_delay_alu instid0(VALU_DEP_2) | instskip(NEXT) | instid1(VALU_DEP_2)
	v_fma_f64 v[24:25], v[0:1], v[20:21], -v[24:25]
	v_fma_f64 v[26:27], v[2:3], v[20:21], v[22:23]
	ds_load_b128 v[20:23], v10
	s_wait_dscnt 0x0
	v_add_f64_e64 v[20:21], v[20:21], -v[24:25]
	v_add_f64_e64 v[22:23], v[22:23], -v[26:27]
	ds_store_b128 v10, v[20:23]
	v_add_nc_u32_e32 v10, 16, v10
	s_cbranch_scc0 .LBB205_48
; %bb.49:                               ;   in Loop: Header=BB205_47 Depth=4
	s_add_co_i32 s22, s22, -1
	s_addk_co_i32 s24, 0xff80
	s_wait_alu 0xfffe
	s_cmp_le_i32 s22, s18
	s_cbranch_scc0 .LBB205_47
.LBB205_50:                             ;   in Loop: Header=BB205_44 Depth=3
	s_mov_b32 s40, 0
	s_mov_b32 s41, s38
	s_branch .LBB205_52
.LBB205_51:                             ;   in Loop: Header=BB205_52 Depth=4
	s_wait_alu 0xfffe
	s_mulk_i32 s24, 0x90
	s_lshl_b64 s[22:23], s[22:23], 4
	s_wait_alu 0xfffe
	v_mov_b32_e32 v11, s24
	s_add_co_i32 s40, s40, 1
	s_add_co_i32 s41, s41, -16
	s_wait_alu 0xfffe
	s_cmp_eq_u32 s40, s28
	ds_load_b128 v[20:23], v11
	s_wait_dscnt 0x0
	v_mul_f64_e32 v[24:25], v[22:23], v[2:3]
	v_mul_f64_e32 v[2:3], v[20:21], v[2:3]
	s_delay_alu instid0(VALU_DEP_2) | instskip(NEXT) | instid1(VALU_DEP_2)
	v_fma_f64 v[20:21], v[20:21], v[0:1], -v[24:25]
	v_fma_f64 v[22:23], v[22:23], v[0:1], v[2:3]
	v_add_co_u32 v0, vcc_lo, v6, s22
	s_wait_alu 0xfffd
	v_add_co_ci_u32_e64 v1, null, s23, v7, vcc_lo
	ds_store_b128 v10, v[20:23]
	flat_store_b128 v[0:1], v[20:23]
	s_cbranch_scc1 .LBB205_43
.LBB205_52:                             ;   Parent Loop BB205_4 Depth=1
                                        ;     Parent Loop BB205_41 Depth=2
                                        ;       Parent Loop BB205_44 Depth=3
                                        ; =>      This Loop Header: Depth=4
                                        ;           Child Loop BB205_54 Depth 5
	s_wait_alu 0xfffe
	v_lshl_add_u32 v10, s40, 4, v13
	s_cmp_lg_u32 s40, 0
	s_cbranch_scc0 .LBB205_56
; %bb.53:                               ;   in Loop: Header=BB205_52 Depth=4
	ds_load_b128 v[0:3], v10
	v_mov_b32_e32 v11, v13
	s_mov_b32 s22, s41
	s_mov_b32 s23, s40
.LBB205_54:                             ;   Parent Loop BB205_4 Depth=1
                                        ;     Parent Loop BB205_41 Depth=2
                                        ;       Parent Loop BB205_44 Depth=3
                                        ;         Parent Loop BB205_52 Depth=4
                                        ; =>        This Inner Loop Header: Depth=5
	s_wait_alu 0xfffe
	v_mov_b32_e32 v24, s22
	s_add_co_i32 s23, s23, -1
	s_addk_co_i32 s22, 0xff80
	s_wait_alu 0xfffe
	s_cmp_eq_u32 s23, 0
	ds_load_b128 v[20:23], v11
	ds_load_b128 v[24:27], v24
	v_add_nc_u32_e32 v11, 16, v11
	s_wait_dscnt 0x0
	v_mul_f64_e32 v[28:29], v[26:27], v[22:23]
	v_mul_f64_e32 v[22:23], v[24:25], v[22:23]
	s_delay_alu instid0(VALU_DEP_2) | instskip(NEXT) | instid1(VALU_DEP_2)
	v_fma_f64 v[24:25], v[24:25], v[20:21], -v[28:29]
	v_fma_f64 v[20:21], v[26:27], v[20:21], v[22:23]
	s_delay_alu instid0(VALU_DEP_2) | instskip(NEXT) | instid1(VALU_DEP_2)
	v_add_f64_e64 v[0:1], v[0:1], -v[24:25]
	v_add_f64_e64 v[2:3], v[2:3], -v[20:21]
	ds_store_b128 v10, v[0:3]
	s_cbranch_scc0 .LBB205_54
; %bb.55:                               ;   in Loop: Header=BB205_52 Depth=4
	s_sub_co_i32 s24, s18, s40
	s_wait_alu 0xfffe
	s_ashr_i32 s25, s24, 31
	s_wait_alu 0xfffe
	s_mov_b64 s[22:23], s[24:25]
	s_branch .LBB205_51
.LBB205_56:                             ;   in Loop: Header=BB205_52 Depth=4
                                        ; implicit-def: $vgpr0_vgpr1
                                        ; implicit-def: $sgpr24
                                        ; implicit-def: $sgpr22_sgpr23
	s_cbranch_execz .LBB205_51
; %bb.57:                               ;   in Loop: Header=BB205_52 Depth=4
	ds_load_b128 v[0:3], v13
	s_mov_b64 s[22:23], s[18:19]
	s_mov_b32 s24, s18
	s_branch .LBB205_51
.LBB205_58:
	s_endpgm
	.section	.rodata,"a",@progbits
	.p2align	6, 0x0
	.amdhsa_kernel _ZL30rocblas_trsm_small_left_deviceILi8ELi8ELb0E19rocblas_complex_numIdES1_PKPKS1_PKPS1_Ev13rocblas_fill_18rocblas_operation_17rocblas_diagonal_iiT3_T4_lilT5_lili
		.amdhsa_group_segment_fixed_size 2048
		.amdhsa_private_segment_fixed_size 0
		.amdhsa_kernarg_size 368
		.amdhsa_user_sgpr_count 4
		.amdhsa_user_sgpr_dispatch_ptr 1
		.amdhsa_user_sgpr_queue_ptr 0
		.amdhsa_user_sgpr_kernarg_segment_ptr 1
		.amdhsa_user_sgpr_dispatch_id 0
		.amdhsa_user_sgpr_private_segment_size 0
		.amdhsa_wavefront_size32 1
		.amdhsa_uses_dynamic_stack 0
		.amdhsa_enable_private_segment 0
		.amdhsa_system_sgpr_workgroup_id_x 1
		.amdhsa_system_sgpr_workgroup_id_y 0
		.amdhsa_system_sgpr_workgroup_id_z 1
		.amdhsa_system_sgpr_workgroup_info 0
		.amdhsa_system_vgpr_workitem_id 2
		.amdhsa_next_free_vgpr 34
		.amdhsa_next_free_sgpr 42
		.amdhsa_reserve_vcc 1
		.amdhsa_float_round_mode_32 0
		.amdhsa_float_round_mode_16_64 0
		.amdhsa_float_denorm_mode_32 3
		.amdhsa_float_denorm_mode_16_64 3
		.amdhsa_fp16_overflow 0
		.amdhsa_workgroup_processor_mode 1
		.amdhsa_memory_ordered 1
		.amdhsa_forward_progress 1
		.amdhsa_inst_pref_size 25
		.amdhsa_round_robin_scheduling 0
		.amdhsa_exception_fp_ieee_invalid_op 0
		.amdhsa_exception_fp_denorm_src 0
		.amdhsa_exception_fp_ieee_div_zero 0
		.amdhsa_exception_fp_ieee_overflow 0
		.amdhsa_exception_fp_ieee_underflow 0
		.amdhsa_exception_fp_ieee_inexact 0
		.amdhsa_exception_int_div_zero 0
	.end_amdhsa_kernel
	.section	.text._ZL30rocblas_trsm_small_left_deviceILi8ELi8ELb0E19rocblas_complex_numIdES1_PKPKS1_PKPS1_Ev13rocblas_fill_18rocblas_operation_17rocblas_diagonal_iiT3_T4_lilT5_lili,"axG",@progbits,_ZL30rocblas_trsm_small_left_deviceILi8ELi8ELb0E19rocblas_complex_numIdES1_PKPKS1_PKPS1_Ev13rocblas_fill_18rocblas_operation_17rocblas_diagonal_iiT3_T4_lilT5_lili,comdat
.Lfunc_end205:
	.size	_ZL30rocblas_trsm_small_left_deviceILi8ELi8ELb0E19rocblas_complex_numIdES1_PKPKS1_PKPS1_Ev13rocblas_fill_18rocblas_operation_17rocblas_diagonal_iiT3_T4_lilT5_lili, .Lfunc_end205-_ZL30rocblas_trsm_small_left_deviceILi8ELi8ELb0E19rocblas_complex_numIdES1_PKPKS1_PKPS1_Ev13rocblas_fill_18rocblas_operation_17rocblas_diagonal_iiT3_T4_lilT5_lili
                                        ; -- End function
	.set _ZL30rocblas_trsm_small_left_deviceILi8ELi8ELb0E19rocblas_complex_numIdES1_PKPKS1_PKPS1_Ev13rocblas_fill_18rocblas_operation_17rocblas_diagonal_iiT3_T4_lilT5_lili.num_vgpr, 34
	.set _ZL30rocblas_trsm_small_left_deviceILi8ELi8ELb0E19rocblas_complex_numIdES1_PKPKS1_PKPS1_Ev13rocblas_fill_18rocblas_operation_17rocblas_diagonal_iiT3_T4_lilT5_lili.num_agpr, 0
	.set _ZL30rocblas_trsm_small_left_deviceILi8ELi8ELb0E19rocblas_complex_numIdES1_PKPKS1_PKPS1_Ev13rocblas_fill_18rocblas_operation_17rocblas_diagonal_iiT3_T4_lilT5_lili.numbered_sgpr, 42
	.set _ZL30rocblas_trsm_small_left_deviceILi8ELi8ELb0E19rocblas_complex_numIdES1_PKPKS1_PKPS1_Ev13rocblas_fill_18rocblas_operation_17rocblas_diagonal_iiT3_T4_lilT5_lili.num_named_barrier, 0
	.set _ZL30rocblas_trsm_small_left_deviceILi8ELi8ELb0E19rocblas_complex_numIdES1_PKPKS1_PKPS1_Ev13rocblas_fill_18rocblas_operation_17rocblas_diagonal_iiT3_T4_lilT5_lili.private_seg_size, 0
	.set _ZL30rocblas_trsm_small_left_deviceILi8ELi8ELb0E19rocblas_complex_numIdES1_PKPKS1_PKPS1_Ev13rocblas_fill_18rocblas_operation_17rocblas_diagonal_iiT3_T4_lilT5_lili.uses_vcc, 1
	.set _ZL30rocblas_trsm_small_left_deviceILi8ELi8ELb0E19rocblas_complex_numIdES1_PKPKS1_PKPS1_Ev13rocblas_fill_18rocblas_operation_17rocblas_diagonal_iiT3_T4_lilT5_lili.uses_flat_scratch, 0
	.set _ZL30rocblas_trsm_small_left_deviceILi8ELi8ELb0E19rocblas_complex_numIdES1_PKPKS1_PKPS1_Ev13rocblas_fill_18rocblas_operation_17rocblas_diagonal_iiT3_T4_lilT5_lili.has_dyn_sized_stack, 0
	.set _ZL30rocblas_trsm_small_left_deviceILi8ELi8ELb0E19rocblas_complex_numIdES1_PKPKS1_PKPS1_Ev13rocblas_fill_18rocblas_operation_17rocblas_diagonal_iiT3_T4_lilT5_lili.has_recursion, 0
	.set _ZL30rocblas_trsm_small_left_deviceILi8ELi8ELb0E19rocblas_complex_numIdES1_PKPKS1_PKPS1_Ev13rocblas_fill_18rocblas_operation_17rocblas_diagonal_iiT3_T4_lilT5_lili.has_indirect_call, 0
	.section	.AMDGPU.csdata,"",@progbits
; Kernel info:
; codeLenInByte = 3088
; TotalNumSgprs: 44
; NumVgprs: 34
; ScratchSize: 0
; MemoryBound: 0
; FloatMode: 240
; IeeeMode: 1
; LDSByteSize: 2048 bytes/workgroup (compile time only)
; SGPRBlocks: 0
; VGPRBlocks: 4
; NumSGPRsForWavesPerEU: 44
; NumVGPRsForWavesPerEU: 34
; Occupancy: 16
; WaveLimiterHint : 1
; COMPUTE_PGM_RSRC2:SCRATCH_EN: 0
; COMPUTE_PGM_RSRC2:USER_SGPR: 4
; COMPUTE_PGM_RSRC2:TRAP_HANDLER: 0
; COMPUTE_PGM_RSRC2:TGID_X_EN: 1
; COMPUTE_PGM_RSRC2:TGID_Y_EN: 0
; COMPUTE_PGM_RSRC2:TGID_Z_EN: 1
; COMPUTE_PGM_RSRC2:TIDIG_COMP_CNT: 2
	.section	.text._ZL38rocblas_trsm_small_left_device_sharedBILi8ELi8ELb1E19rocblas_complex_numIdES1_PKPKS1_PKPS1_Ev13rocblas_fill_18rocblas_operation_17rocblas_diagonal_iiT3_T4_lilT5_lili,"axG",@progbits,_ZL38rocblas_trsm_small_left_device_sharedBILi8ELi8ELb1E19rocblas_complex_numIdES1_PKPKS1_PKPS1_Ev13rocblas_fill_18rocblas_operation_17rocblas_diagonal_iiT3_T4_lilT5_lili,comdat
	.globl	_ZL38rocblas_trsm_small_left_device_sharedBILi8ELi8ELb1E19rocblas_complex_numIdES1_PKPKS1_PKPS1_Ev13rocblas_fill_18rocblas_operation_17rocblas_diagonal_iiT3_T4_lilT5_lili ; -- Begin function _ZL38rocblas_trsm_small_left_device_sharedBILi8ELi8ELb1E19rocblas_complex_numIdES1_PKPKS1_PKPS1_Ev13rocblas_fill_18rocblas_operation_17rocblas_diagonal_iiT3_T4_lilT5_lili
	.p2align	8
	.type	_ZL38rocblas_trsm_small_left_device_sharedBILi8ELi8ELb1E19rocblas_complex_numIdES1_PKPKS1_PKPS1_Ev13rocblas_fill_18rocblas_operation_17rocblas_diagonal_iiT3_T4_lilT5_lili,@function
_ZL38rocblas_trsm_small_left_device_sharedBILi8ELi8ELb1E19rocblas_complex_numIdES1_PKPKS1_PKPS1_Ev13rocblas_fill_18rocblas_operation_17rocblas_diagonal_iiT3_T4_lilT5_lili: ; @_ZL38rocblas_trsm_small_left_device_sharedBILi8ELi8ELb1E19rocblas_complex_numIdES1_PKPKS1_PKPS1_Ev13rocblas_fill_18rocblas_operation_17rocblas_diagonal_iiT3_T4_lilT5_lili
; %bb.0:
	s_load_b32 s24, s[0:1], 0x68
	s_lshr_b32 s2, ttmp7, 16
	s_wait_kmcnt 0x0
	s_cmp_ge_u32 s2, s24
	s_cbranch_scc1 .LBB206_62
; %bb.1:
	s_clause 0x5
	s_load_b32 s22, s[0:1], 0x38
	s_load_b32 s34, s[0:1], 0x58
	s_load_b128 s[16:19], s[0:1], 0x4
	s_load_b32 s3, s[0:1], 0x70
	s_load_b128 s[12:15], s[0:1], 0x48
	s_load_b256 s[4:11], s[0:1], 0x18
	v_dual_mov_b32 v13, 0 :: v_dual_lshlrev_b32 v12, 4, v0
	v_lshlrev_b32_e32 v5, 7, v0
	s_mov_b32 s21, 0
	s_delay_alu instid0(VALU_DEP_2) | instskip(NEXT) | instid1(VALU_DEP_2)
	v_or_b32_e32 v14, 0x400, v12
	v_add_nc_u32_e32 v19, v12, v5
	s_wait_kmcnt 0x0
	s_ashr_i32 s23, s22, 31
	s_ashr_i32 s35, s34, 31
	s_cmp_eq_u32 s16, 0x71
	v_mad_co_i64_i32 v[1:2], null, s34, v0, 0
	s_cselect_b32 s0, -1, 0
	s_min_i32 s25, s18, 8
	s_lshl_b32 s30, ttmp9, 3
	s_add_co_i32 s3, s3, -1
	s_add_co_i32 s26, s25, -1
	s_sub_co_i32 s1, s19, s30
	s_cmp_ge_u32 ttmp9, s3
	v_lshlrev_b64_e32 v[8:9], 4, v[1:2]
	s_cselect_b32 s1, s1, 8
	s_ashr_i32 s31, s30, 31
	s_cmp_lg_u32 s17, 0x84
	v_cmp_gt_i32_e32 vcc_lo, s1, v0
	s_cselect_b32 s27, -1, 0
	s_cmp_gt_i32 s18, 0
	v_cmp_gt_i32_e64 s1, s25, v0
	s_cselect_b32 s3, -1, 0
	s_cmp_lg_u32 s16, 0x6f
	s_mul_u64 s[18:19], s[34:35], s[30:31]
	s_cselect_b32 s28, -1, 0
	s_lshl_b64 s[16:17], s[30:31], 4
	s_lshl_b64 s[30:31], s[10:11], 4
	v_or_b32_e32 v0, s16, v12
	s_lshl_b64 s[10:11], s[14:15], 4
	s_and_b32 s29, vcc_lo, s3
	s_lshl_b64 s[14:15], s[22:23], 4
	s_delay_alu instid0(VALU_DEP_1) | instskip(SKIP_2) | instid1(VALU_DEP_1)
	v_mul_lo_u32 v6, v0, s35
	v_mad_co_u64_u32 v[3:4], null, v0, s34, s[10:11]
	v_add_co_u32 v0, s3, s30, v12
	v_add_co_ci_u32_e64 v15, null, s31, 0, s3
	s_mul_i32 s3, s17, s34
	v_or_b32_e32 v16, 8, v0
	s_wait_alu 0xfffe
	v_add3_u32 v17, s3, v4, v6
	v_or_b32_e32 v18, 8, v3
	s_lshl_b32 s3, s25, 4
	s_or_b32 s30, 0, 8
	s_wait_alu 0xfffe
	s_add_co_i32 s22, s3, -16
	s_lshl_b64 s[16:17], s[18:19], 4
	s_branch .LBB206_3
.LBB206_2:                              ;   in Loop: Header=BB206_3 Depth=1
	s_wait_alu 0xfffe
	s_or_b32 exec_lo, exec_lo, s3
	s_add_co_i32 s2, s2, 0x10000
	s_wait_alu 0xfffe
	s_cmp_lt_u32 s2, s24
	s_cbranch_scc0 .LBB206_62
.LBB206_3:                              ; =>This Loop Header: Depth=1
                                        ;     Child Loop BB206_5 Depth 2
                                        ;     Child Loop BB206_16 Depth 2
	;; [unrolled: 1-line block ×3, first 2 shown]
                                        ;       Child Loop BB206_23 Depth 3
                                        ;         Child Loop BB206_24 Depth 4
                                        ;         Child Loop BB206_26 Depth 4
                                        ;           Child Loop BB206_27 Depth 5
                                        ;         Child Loop BB206_31 Depth 4
                                        ;           Child Loop BB206_33 Depth 5
                                        ;     Child Loop BB206_41 Depth 2
                                        ;       Child Loop BB206_44 Depth 3
                                        ;         Child Loop BB206_45 Depth 4
                                        ;         Child Loop BB206_48 Depth 4
                                        ;           Child Loop BB206_49 Depth 5
                                        ;         Child Loop BB206_53 Depth 4
                                        ;           Child Loop BB206_55 Depth 5
                                        ;     Child Loop BB206_61 Depth 2
	s_mov_b32 s3, s21
	s_wait_alu 0xfffe
	s_lshl_b64 s[18:19], s[2:3], 3
	s_delay_alu instid0(SALU_CYCLE_1)
	s_add_nc_u64 s[34:35], s[12:13], s[18:19]
	global_load_b64 v[10:11], v13, s[34:35]
	s_and_saveexec_b32 s3, s1
	s_cbranch_execz .LBB206_14
; %bb.4:                                ;   in Loop: Header=BB206_3 Depth=1
	s_add_nc_u64 s[18:19], s[8:9], s[18:19]
	v_mov_b32_e32 v2, v12
	global_load_b64 v[0:1], v13, s[18:19]
	s_mov_b32 s18, s25
	s_wait_loadcnt 0x0
	v_add_co_u32 v0, vcc_lo, v0, v16
	s_wait_alu 0xfffd
	v_add_co_ci_u32_e64 v1, null, v1, v15, vcc_lo
.LBB206_5:                              ;   Parent Loop BB206_3 Depth=1
                                        ; =>  This Inner Loop Header: Depth=2
	flat_load_b128 v[3:6], v[0:1] offset:-8
	v_add_co_u32 v0, vcc_lo, v0, s14
	s_wait_alu 0xfffd
	v_add_co_ci_u32_e64 v1, null, s15, v1, vcc_lo
	s_add_co_i32 s18, s18, -1
	s_delay_alu instid0(SALU_CYCLE_1) | instskip(SKIP_2) | instid1(VALU_DEP_1)
	s_cmp_eq_u32 s18, 0
	s_wait_loadcnt_dscnt 0x0
	v_xor_b32_e32 v7, 0x80000000, v6
	v_cndmask_b32_e64 v6, v6, v7, s0
	ds_store_b128 v2, v[3:6]
	v_add_nc_u32_e32 v2, 0x80, v2
	s_cbranch_scc0 .LBB206_5
; %bb.6:                                ;   in Loop: Header=BB206_3 Depth=1
	s_and_b32 vcc_lo, exec_lo, s27
	s_wait_alu 0xfffe
	s_cbranch_vccz .LBB206_12
; %bb.7:                                ;   in Loop: Header=BB206_3 Depth=1
	ds_load_b128 v[0:3], v19
                                        ; implicit-def: $vgpr6_vgpr7
	s_wait_dscnt 0x0
	v_cmp_ngt_f64_e64 s18, |v[0:1]|, |v[2:3]|
	s_and_saveexec_b32 s19, s18
	s_delay_alu instid0(SALU_CYCLE_1)
	s_xor_b32 s18, exec_lo, s19
	s_cbranch_execz .LBB206_9
; %bb.8:                                ;   in Loop: Header=BB206_3 Depth=1
	v_div_scale_f64 v[4:5], null, v[2:3], v[2:3], v[0:1]
	v_div_scale_f64 v[22:23], vcc_lo, v[0:1], v[2:3], v[0:1]
	s_delay_alu instid0(VALU_DEP_2) | instskip(NEXT) | instid1(TRANS32_DEP_1)
	v_rcp_f64_e32 v[6:7], v[4:5]
	v_fma_f64 v[20:21], -v[4:5], v[6:7], 1.0
	s_delay_alu instid0(VALU_DEP_1) | instskip(NEXT) | instid1(VALU_DEP_1)
	v_fma_f64 v[6:7], v[6:7], v[20:21], v[6:7]
	v_fma_f64 v[20:21], -v[4:5], v[6:7], 1.0
	s_delay_alu instid0(VALU_DEP_1) | instskip(NEXT) | instid1(VALU_DEP_1)
	v_fma_f64 v[6:7], v[6:7], v[20:21], v[6:7]
	v_mul_f64_e32 v[20:21], v[22:23], v[6:7]
	s_delay_alu instid0(VALU_DEP_1) | instskip(SKIP_1) | instid1(VALU_DEP_1)
	v_fma_f64 v[4:5], -v[4:5], v[20:21], v[22:23]
	s_wait_alu 0xfffd
	v_div_fmas_f64 v[4:5], v[4:5], v[6:7], v[20:21]
	s_delay_alu instid0(VALU_DEP_1) | instskip(NEXT) | instid1(VALU_DEP_1)
	v_div_fixup_f64 v[4:5], v[4:5], v[2:3], v[0:1]
	v_fma_f64 v[0:1], v[0:1], v[4:5], v[2:3]
	s_delay_alu instid0(VALU_DEP_1) | instskip(SKIP_1) | instid1(VALU_DEP_2)
	v_div_scale_f64 v[2:3], null, v[0:1], v[0:1], 1.0
	v_div_scale_f64 v[22:23], vcc_lo, 1.0, v[0:1], 1.0
	v_rcp_f64_e32 v[6:7], v[2:3]
	s_delay_alu instid0(TRANS32_DEP_1) | instskip(NEXT) | instid1(VALU_DEP_1)
	v_fma_f64 v[20:21], -v[2:3], v[6:7], 1.0
	v_fma_f64 v[6:7], v[6:7], v[20:21], v[6:7]
	s_delay_alu instid0(VALU_DEP_1) | instskip(NEXT) | instid1(VALU_DEP_1)
	v_fma_f64 v[20:21], -v[2:3], v[6:7], 1.0
	v_fma_f64 v[6:7], v[6:7], v[20:21], v[6:7]
	s_delay_alu instid0(VALU_DEP_1) | instskip(NEXT) | instid1(VALU_DEP_1)
	v_mul_f64_e32 v[20:21], v[22:23], v[6:7]
	v_fma_f64 v[2:3], -v[2:3], v[20:21], v[22:23]
	s_wait_alu 0xfffd
	s_delay_alu instid0(VALU_DEP_1) | instskip(SKIP_1) | instid1(VALU_DEP_2)
	v_div_fmas_f64 v[2:3], v[2:3], v[6:7], v[20:21]
	v_add_f64_e32 v[6:7], 0, v[4:5]
	v_div_fixup_f64 v[0:1], v[2:3], v[0:1], 1.0
	v_fma_f64 v[2:3], v[4:5], 0, -1.0
	s_delay_alu instid0(VALU_DEP_2) | instskip(NEXT) | instid1(VALU_DEP_2)
	v_mul_f64_e32 v[4:5], v[6:7], v[0:1]
	v_mul_f64_e32 v[6:7], v[2:3], v[0:1]
                                        ; implicit-def: $vgpr0_vgpr1
.LBB206_9:                              ;   in Loop: Header=BB206_3 Depth=1
	s_and_not1_saveexec_b32 s18, s18
	s_cbranch_execz .LBB206_11
; %bb.10:                               ;   in Loop: Header=BB206_3 Depth=1
	v_div_scale_f64 v[4:5], null, v[0:1], v[0:1], v[2:3]
	v_div_scale_f64 v[22:23], vcc_lo, v[2:3], v[0:1], v[2:3]
	s_delay_alu instid0(VALU_DEP_2) | instskip(NEXT) | instid1(TRANS32_DEP_1)
	v_rcp_f64_e32 v[6:7], v[4:5]
	v_fma_f64 v[20:21], -v[4:5], v[6:7], 1.0
	s_delay_alu instid0(VALU_DEP_1) | instskip(NEXT) | instid1(VALU_DEP_1)
	v_fma_f64 v[6:7], v[6:7], v[20:21], v[6:7]
	v_fma_f64 v[20:21], -v[4:5], v[6:7], 1.0
	s_delay_alu instid0(VALU_DEP_1) | instskip(NEXT) | instid1(VALU_DEP_1)
	v_fma_f64 v[6:7], v[6:7], v[20:21], v[6:7]
	v_mul_f64_e32 v[20:21], v[22:23], v[6:7]
	s_delay_alu instid0(VALU_DEP_1) | instskip(SKIP_1) | instid1(VALU_DEP_1)
	v_fma_f64 v[4:5], -v[4:5], v[20:21], v[22:23]
	s_wait_alu 0xfffd
	v_div_fmas_f64 v[4:5], v[4:5], v[6:7], v[20:21]
	s_delay_alu instid0(VALU_DEP_1) | instskip(NEXT) | instid1(VALU_DEP_1)
	v_div_fixup_f64 v[4:5], v[4:5], v[0:1], v[2:3]
	v_fma_f64 v[0:1], v[2:3], v[4:5], v[0:1]
	s_delay_alu instid0(VALU_DEP_1) | instskip(SKIP_1) | instid1(VALU_DEP_2)
	v_div_scale_f64 v[2:3], null, v[0:1], v[0:1], 1.0
	v_div_scale_f64 v[22:23], vcc_lo, 1.0, v[0:1], 1.0
	v_rcp_f64_e32 v[6:7], v[2:3]
	s_delay_alu instid0(TRANS32_DEP_1) | instskip(NEXT) | instid1(VALU_DEP_1)
	v_fma_f64 v[20:21], -v[2:3], v[6:7], 1.0
	v_fma_f64 v[6:7], v[6:7], v[20:21], v[6:7]
	s_delay_alu instid0(VALU_DEP_1) | instskip(NEXT) | instid1(VALU_DEP_1)
	v_fma_f64 v[20:21], -v[2:3], v[6:7], 1.0
	v_fma_f64 v[6:7], v[6:7], v[20:21], v[6:7]
	s_delay_alu instid0(VALU_DEP_1) | instskip(NEXT) | instid1(VALU_DEP_1)
	v_mul_f64_e32 v[20:21], v[22:23], v[6:7]
	v_fma_f64 v[2:3], -v[2:3], v[20:21], v[22:23]
	s_wait_alu 0xfffd
	s_delay_alu instid0(VALU_DEP_1) | instskip(SKIP_1) | instid1(VALU_DEP_2)
	v_div_fmas_f64 v[2:3], v[2:3], v[6:7], v[20:21]
	v_fma_f64 v[6:7], v[4:5], 0, 1.0
	v_div_fixup_f64 v[0:1], v[2:3], v[0:1], 1.0
	v_add_f64_e64 v[2:3], -v[4:5], 0
	s_delay_alu instid0(VALU_DEP_2) | instskip(NEXT) | instid1(VALU_DEP_2)
	v_mul_f64_e32 v[4:5], v[6:7], v[0:1]
	v_mul_f64_e32 v[6:7], v[2:3], v[0:1]
.LBB206_11:                             ;   in Loop: Header=BB206_3 Depth=1
	s_or_b32 exec_lo, exec_lo, s18
	s_branch .LBB206_13
.LBB206_12:                             ;   in Loop: Header=BB206_3 Depth=1
	v_mov_b32_e32 v6, 0
	v_dual_mov_b32 v7, 0 :: v_dual_mov_b32 v4, 0
	v_mov_b32_e32 v5, 0x3ff00000
.LBB206_13:                             ;   in Loop: Header=BB206_3 Depth=1
	ds_store_b128 v19, v[4:7]
.LBB206_14:                             ;   in Loop: Header=BB206_3 Depth=1
	s_wait_alu 0xfffe
	s_or_b32 exec_lo, exec_lo, s3
	s_and_saveexec_b32 s3, s29
	s_cbranch_execz .LBB206_17
; %bb.15:                               ;   in Loop: Header=BB206_3 Depth=1
	s_wait_loadcnt 0x0
	v_add_co_u32 v0, vcc_lo, v10, v18
	s_wait_alu 0xfffd
	v_add_co_ci_u32_e64 v1, null, v11, v17, vcc_lo
	v_mov_b32_e32 v2, v14
	s_mov_b32 s18, s25
.LBB206_16:                             ;   Parent Loop BB206_3 Depth=1
                                        ; =>  This Inner Loop Header: Depth=2
	flat_load_b128 v[3:6], v[0:1] offset:-8
	v_add_co_u32 v0, vcc_lo, v0, 16
	s_wait_alu 0xfffd
	v_add_co_ci_u32_e64 v1, null, 0, v1, vcc_lo
	s_add_co_i32 s18, s18, -1
	s_delay_alu instid0(SALU_CYCLE_1) | instskip(SKIP_3) | instid1(VALU_DEP_2)
	s_cmp_lg_u32 s18, 0
	s_wait_loadcnt_dscnt 0x0
	v_mul_f64_e32 v[20:21], s[6:7], v[5:6]
	v_mul_f64_e32 v[5:6], s[4:5], v[5:6]
	v_fma_f64 v[20:21], s[4:5], v[3:4], -v[20:21]
	s_delay_alu instid0(VALU_DEP_2)
	v_fma_f64 v[22:23], s[6:7], v[3:4], v[5:6]
	ds_store_b128 v2, v[20:23]
	v_add_nc_u32_e32 v2, 0x80, v2
	s_cbranch_scc1 .LBB206_16
.LBB206_17:                             ;   in Loop: Header=BB206_3 Depth=1
	s_wait_alu 0xfffe
	s_or_b32 exec_lo, exec_lo, s3
	s_delay_alu instid0(SALU_CYCLE_1)
	s_and_not1_b32 vcc_lo, exec_lo, s28
	s_mov_b32 s3, -1
	; wave barrier
	s_wait_loadcnt_dscnt 0x0
	global_inv scope:SCOPE_SE
	s_wait_alu 0xfffe
	s_cbranch_vccnz .LBB206_38
; %bb.18:                               ;   in Loop: Header=BB206_3 Depth=1
	s_mov_b32 s20, 0
	s_mov_b32 s3, s26
	s_branch .LBB206_20
.LBB206_19:                             ;   in Loop: Header=BB206_20 Depth=2
	s_cmp_gt_i32 s3, -1
	s_cselect_b32 s18, -1, 0
	s_add_co_i32 s19, s20, 1
	s_cmp_lt_u32 s20, 2
	s_cselect_b32 s20, -1, 0
	s_delay_alu instid0(SALU_CYCLE_1)
	s_and_b32 s18, s18, s20
	s_mov_b32 s20, s19
	s_and_b32 vcc_lo, exec_lo, s18
	s_wait_alu 0xfffe
	s_cbranch_vccz .LBB206_37
.LBB206_20:                             ;   Parent Loop BB206_3 Depth=1
                                        ; =>  This Loop Header: Depth=2
                                        ;       Child Loop BB206_23 Depth 3
                                        ;         Child Loop BB206_24 Depth 4
                                        ;         Child Loop BB206_26 Depth 4
                                        ;           Child Loop BB206_27 Depth 5
                                        ;         Child Loop BB206_31 Depth 4
                                        ;           Child Loop BB206_33 Depth 5
	s_getpc_b64 s[18:19]
	s_sext_i32_i16 s19, s19
	s_add_co_u32 s18, s18, __const._ZL38rocblas_trsm_small_left_device_sharedBILi8ELi8ELb1E19rocblas_complex_numIdES1_PKPKS1_PKPS1_Ev13rocblas_fill_18rocblas_operation_17rocblas_diagonal_iiT3_T4_lilT5_lili.step_sizes@rel32@lo+8
	s_add_co_ci_u32 s19, s19, __const._ZL38rocblas_trsm_small_left_device_sharedBILi8ELi8ELb1E19rocblas_complex_numIdES1_PKPKS1_PKPS1_Ev13rocblas_fill_18rocblas_operation_17rocblas_diagonal_iiT3_T4_lilT5_lili.step_sizes@rel32@hi+16
	s_lshl_b64 s[34:35], s[20:21], 2
	s_wait_alu 0xfffe
	s_add_nc_u64 s[18:19], s[18:19], s[34:35]
	s_load_b32 s18, s[18:19], 0x0
	s_wait_kmcnt 0x0
	s_add_co_i32 s19, s18, -1
	s_delay_alu instid0(SALU_CYCLE_1)
	s_cmp_lt_i32 s3, s19
	s_cbranch_scc1 .LBB206_19
; %bb.21:                               ;   in Loop: Header=BB206_20 Depth=2
	s_lshl_b32 s33, s3, 7
	s_lshl_b32 s31, s18, 7
	s_wait_alu 0xfffe
	v_add_nc_u32_e32 v4, s33, v14
	s_max_i32 s23, s18, 1
	s_sub_co_i32 s31, 0, s31
	s_add_co_i32 s33, s22, s33
	s_mul_i32 s34, s3, 0x90
	s_mul_i32 s35, s18, 0xffffff70
	s_branch .LBB206_23
.LBB206_22:                             ;   in Loop: Header=BB206_23 Depth=3
	v_add_nc_u32_e32 v4, s31, v4
	s_sub_co_i32 s3, s3, s18
	s_add_co_i32 s33, s33, s31
	s_add_co_i32 s34, s34, s35
	s_wait_alu 0xfffe
	s_cmp_lt_i32 s3, s19
	s_cbranch_scc1 .LBB206_19
.LBB206_23:                             ;   Parent Loop BB206_3 Depth=1
                                        ;     Parent Loop BB206_20 Depth=2
                                        ; =>    This Loop Header: Depth=3
                                        ;         Child Loop BB206_24 Depth 4
                                        ;         Child Loop BB206_26 Depth 4
                                        ;           Child Loop BB206_27 Depth 5
                                        ;         Child Loop BB206_31 Depth 4
                                        ;           Child Loop BB206_33 Depth 5
	v_mov_b32_e32 v0, v4
	s_mov_b32 s36, 0
	s_mov_b32 s37, s23
.LBB206_24:                             ;   Parent Loop BB206_3 Depth=1
                                        ;     Parent Loop BB206_20 Depth=2
                                        ;       Parent Loop BB206_23 Depth=3
                                        ; =>      This Inner Loop Header: Depth=4
	ds_load_b128 v[20:23], v0
	v_add_nc_u32_e32 v0, 0xffffff80, v0
	s_wait_alu 0xfffe
	s_add_co_i32 s37, s37, -1
	s_wait_dscnt 0x0
	scratch_store_b128 off, v[20:23], s36
	s_add_co_i32 s36, s36, 16
	s_wait_alu 0xfffe
	s_cmp_eq_u32 s37, 0
	s_cbranch_scc0 .LBB206_24
; %bb.25:                               ;   in Loop: Header=BB206_23 Depth=3
	s_cmp_le_i32 s26, s3
	s_mov_b32 s36, s33
	s_mov_b32 s37, s26
	s_cbranch_scc1 .LBB206_29
.LBB206_26:                             ;   Parent Loop BB206_3 Depth=1
                                        ;     Parent Loop BB206_20 Depth=2
                                        ;       Parent Loop BB206_23 Depth=3
                                        ; =>      This Loop Header: Depth=4
                                        ;           Child Loop BB206_27 Depth 5
	s_wait_alu 0xfffe
	v_lshl_add_u32 v0, s37, 7, v14
	s_mov_b32 s38, s30
	s_mov_b32 s39, s36
	;; [unrolled: 1-line block ×3, first 2 shown]
	ds_load_b128 v[0:3], v0
.LBB206_27:                             ;   Parent Loop BB206_3 Depth=1
                                        ;     Parent Loop BB206_20 Depth=2
                                        ;       Parent Loop BB206_23 Depth=3
                                        ;         Parent Loop BB206_26 Depth=4
                                        ; =>        This Inner Loop Header: Depth=5
	scratch_load_b128 v[20:23], off, s38 offset:-8
	s_wait_alu 0xfffe
	v_mov_b32_e32 v5, s39
	s_add_co_i32 s40, s40, -1
	s_addk_co_i32 s39, 0xff80
	ds_load_b128 v[24:27], v5
	s_wait_dscnt 0x0
	v_mul_f64_e32 v[5:6], v[2:3], v[26:27]
	v_mul_f64_e32 v[26:27], v[0:1], v[26:27]
	s_delay_alu instid0(VALU_DEP_2) | instskip(NEXT) | instid1(VALU_DEP_2)
	v_fma_f64 v[5:6], v[0:1], v[24:25], -v[5:6]
	v_fma_f64 v[24:25], v[2:3], v[24:25], v[26:27]
	s_wait_loadcnt 0x0
	s_delay_alu instid0(VALU_DEP_2) | instskip(NEXT) | instid1(VALU_DEP_2)
	v_add_f64_e64 v[20:21], v[20:21], -v[5:6]
	v_add_f64_e64 v[22:23], v[22:23], -v[24:25]
	scratch_store_b128 off, v[20:23], s38 offset:-8
	s_add_co_i32 s38, s38, 16
	s_wait_alu 0xfffe
	s_cmp_eq_u32 s40, 0
	s_cbranch_scc0 .LBB206_27
; %bb.28:                               ;   in Loop: Header=BB206_26 Depth=4
	s_add_co_i32 s37, s37, -1
	s_add_co_i32 s36, s36, -16
	s_wait_alu 0xfffe
	s_cmp_le_i32 s37, s3
	s_cbranch_scc0 .LBB206_26
.LBB206_29:                             ;   in Loop: Header=BB206_23 Depth=3
	s_lshl_b32 s36, s3, 7
	s_mov_b32 s37, 0
	s_mov_b32 s38, s34
	s_branch .LBB206_31
.LBB206_30:                             ;   in Loop: Header=BB206_31 Depth=4
	s_wait_alu 0xfffe
	s_mulk_i32 s40, 0x90
	s_addk_co_i32 s38, 0xff80
	s_wait_alu 0xfffe
	v_mov_b32_e32 v5, s40
	s_lshl_b32 s40, s37, 4
	s_add_co_i32 s37, s37, 1
	s_wait_alu 0xfffe
	s_cmp_eq_u32 s37, s23
	ds_load_b128 v[20:23], v5
	s_wait_loadcnt_dscnt 0x0
	v_mul_f64_e32 v[5:6], v[22:23], v[2:3]
	v_mul_f64_e32 v[2:3], v[20:21], v[2:3]
	s_delay_alu instid0(VALU_DEP_2) | instskip(NEXT) | instid1(VALU_DEP_2)
	v_fma_f64 v[20:21], v[20:21], v[0:1], -v[5:6]
	v_fma_f64 v[22:23], v[22:23], v[0:1], v[2:3]
	v_add_nc_u32_e32 v0, s39, v14
	scratch_store_b128 off, v[20:23], s40
	ds_store_b128 v0, v[20:23]
	s_cbranch_scc1 .LBB206_22
.LBB206_31:                             ;   Parent Loop BB206_3 Depth=1
                                        ;     Parent Loop BB206_20 Depth=2
                                        ;       Parent Loop BB206_23 Depth=3
                                        ; =>      This Loop Header: Depth=4
                                        ;           Child Loop BB206_33 Depth 5
	s_wait_alu 0xfffe
	s_cmp_lg_u32 s37, 0
	s_cbranch_scc0 .LBB206_35
; %bb.32:                               ;   in Loop: Header=BB206_31 Depth=4
	s_lshl_b32 s41, s37, 4
	s_sub_co_i32 s40, s3, s37
	scratch_load_b128 v[0:3], off, s41
	s_wait_alu 0xfffe
	s_lshl_b32 s39, s40, 7
	s_mov_b32 s42, s30
	s_mov_b32 s43, s38
	;; [unrolled: 1-line block ×3, first 2 shown]
.LBB206_33:                             ;   Parent Loop BB206_3 Depth=1
                                        ;     Parent Loop BB206_20 Depth=2
                                        ;       Parent Loop BB206_23 Depth=3
                                        ;         Parent Loop BB206_31 Depth=4
                                        ; =>        This Inner Loop Header: Depth=5
	scratch_load_b128 v[20:23], off, s42 offset:-8
	s_wait_alu 0xfffe
	v_mov_b32_e32 v5, s43
	s_add_co_i32 s44, s44, -1
	s_add_co_i32 s43, s43, -16
	s_add_co_i32 s42, s42, 16
	s_cmp_eq_u32 s44, 0
	ds_load_b128 v[24:27], v5
	s_wait_loadcnt_dscnt 0x0
	v_mul_f64_e32 v[5:6], v[26:27], v[22:23]
	v_mul_f64_e32 v[22:23], v[24:25], v[22:23]
	s_delay_alu instid0(VALU_DEP_2) | instskip(NEXT) | instid1(VALU_DEP_2)
	v_fma_f64 v[5:6], v[24:25], v[20:21], -v[5:6]
	v_fma_f64 v[20:21], v[26:27], v[20:21], v[22:23]
	s_delay_alu instid0(VALU_DEP_2) | instskip(NEXT) | instid1(VALU_DEP_2)
	v_add_f64_e64 v[0:1], v[0:1], -v[5:6]
	v_add_f64_e64 v[2:3], v[2:3], -v[20:21]
	scratch_store_b128 off, v[0:3], s41
	s_cbranch_scc0 .LBB206_33
; %bb.34:                               ;   in Loop: Header=BB206_31 Depth=4
	s_branch .LBB206_30
.LBB206_35:                             ;   in Loop: Header=BB206_31 Depth=4
                                        ; implicit-def: $vgpr0_vgpr1
                                        ; implicit-def: $sgpr40
                                        ; implicit-def: $sgpr39
	s_cbranch_execz .LBB206_30
; %bb.36:                               ;   in Loop: Header=BB206_31 Depth=4
	scratch_load_b128 v[0:3], off, off
	s_mov_b32 s39, s36
	s_mov_b32 s40, s3
	s_branch .LBB206_30
.LBB206_37:                             ;   in Loop: Header=BB206_3 Depth=1
	s_mov_b32 s3, 0
.LBB206_38:                             ;   in Loop: Header=BB206_3 Depth=1
	s_wait_alu 0xfffe
	s_and_b32 vcc_lo, exec_lo, s3
	s_wait_alu 0xfffe
	s_cbranch_vccz .LBB206_59
; %bb.39:                               ;   in Loop: Header=BB206_3 Depth=1
	s_mov_b32 s20, 0
	s_delay_alu instid0(SALU_CYCLE_1)
	s_mov_b32 s3, s20
	s_branch .LBB206_41
.LBB206_40:                             ;   in Loop: Header=BB206_41 Depth=2
	s_cmp_lt_i32 s3, s25
	s_cselect_b32 s18, -1, 0
	s_add_co_i32 s19, s20, 1
	s_cmp_lt_u32 s20, 2
	s_cselect_b32 s20, -1, 0
	s_delay_alu instid0(SALU_CYCLE_1)
	s_and_b32 s18, s18, s20
	s_mov_b32 s20, s19
	s_and_not1_b32 vcc_lo, exec_lo, s18
	s_wait_alu 0xfffe
	s_cbranch_vccnz .LBB206_59
.LBB206_41:                             ;   Parent Loop BB206_3 Depth=1
                                        ; =>  This Loop Header: Depth=2
                                        ;       Child Loop BB206_44 Depth 3
                                        ;         Child Loop BB206_45 Depth 4
                                        ;         Child Loop BB206_48 Depth 4
                                        ;           Child Loop BB206_49 Depth 5
                                        ;         Child Loop BB206_53 Depth 4
                                        ;           Child Loop BB206_55 Depth 5
	s_getpc_b64 s[18:19]
	s_sext_i32_i16 s19, s19
	s_add_co_u32 s18, s18, __const._ZL38rocblas_trsm_small_left_device_sharedBILi8ELi8ELb1E19rocblas_complex_numIdES1_PKPKS1_PKPS1_Ev13rocblas_fill_18rocblas_operation_17rocblas_diagonal_iiT3_T4_lilT5_lili.step_sizes@rel32@lo+8
	s_add_co_ci_u32 s19, s19, __const._ZL38rocblas_trsm_small_left_device_sharedBILi8ELi8ELb1E19rocblas_complex_numIdES1_PKPKS1_PKPS1_Ev13rocblas_fill_18rocblas_operation_17rocblas_diagonal_iiT3_T4_lilT5_lili.step_sizes@rel32@hi+16
	s_lshl_b64 s[34:35], s[20:21], 2
	s_wait_alu 0xfffe
	s_add_nc_u64 s[18:19], s[18:19], s[34:35]
	s_load_b32 s18, s[18:19], 0x0
	s_wait_kmcnt 0x0
	s_add_co_i32 s19, s18, -1
	s_delay_alu instid0(SALU_CYCLE_1) | instskip(NEXT) | instid1(SALU_CYCLE_1)
	s_add_co_i32 s23, s19, s3
	s_cmp_ge_i32 s23, s25
	s_cbranch_scc1 .LBB206_40
; %bb.42:                               ;   in Loop: Header=BB206_41 Depth=2
	v_lshl_add_u32 v4, s3, 7, v14
	s_max_i32 s23, s18, 1
	s_lshl_b32 s31, s18, 7
	s_lshl_b32 s33, s3, 4
	;; [unrolled: 1-line block ×3, first 2 shown]
	s_mul_i32 s35, s3, 0x90
	s_mul_i32 s36, s18, 0x90
	s_branch .LBB206_44
.LBB206_43:                             ;   in Loop: Header=BB206_44 Depth=3
	s_add_co_i32 s3, s3, s18
	v_add_nc_u32_e32 v4, s31, v4
	s_wait_alu 0xfffe
	s_add_co_i32 s37, s19, s3
	s_add_co_i32 s33, s33, s34
	;; [unrolled: 1-line block ×3, first 2 shown]
	s_wait_alu 0xfffe
	s_cmp_ge_i32 s37, s25
	s_cbranch_scc1 .LBB206_40
.LBB206_44:                             ;   Parent Loop BB206_3 Depth=1
                                        ;     Parent Loop BB206_41 Depth=2
                                        ; =>    This Loop Header: Depth=3
                                        ;         Child Loop BB206_45 Depth 4
                                        ;         Child Loop BB206_48 Depth 4
                                        ;           Child Loop BB206_49 Depth 5
                                        ;         Child Loop BB206_53 Depth 4
                                        ;           Child Loop BB206_55 Depth 5
	v_mov_b32_e32 v0, v4
	s_mov_b32 s37, 0
	s_mov_b32 s38, s23
.LBB206_45:                             ;   Parent Loop BB206_3 Depth=1
                                        ;     Parent Loop BB206_41 Depth=2
                                        ;       Parent Loop BB206_44 Depth=3
                                        ; =>      This Inner Loop Header: Depth=4
	ds_load_b128 v[20:23], v0
	v_add_nc_u32_e32 v0, 0x80, v0
	s_wait_alu 0xfffe
	s_add_co_i32 s38, s38, -1
	s_wait_dscnt 0x0
	scratch_store_b128 off, v[20:23], s37
	s_add_co_i32 s37, s37, 16
	s_wait_alu 0xfffe
	s_cmp_eq_u32 s38, 0
	s_cbranch_scc0 .LBB206_45
; %bb.46:                               ;   in Loop: Header=BB206_44 Depth=3
	s_cmp_lt_i32 s3, 1
	s_cbranch_scc1 .LBB206_51
; %bb.47:                               ;   in Loop: Header=BB206_44 Depth=3
	s_mov_b32 s37, 0
	s_mov_b32 s38, s33
.LBB206_48:                             ;   Parent Loop BB206_3 Depth=1
                                        ;     Parent Loop BB206_41 Depth=2
                                        ;       Parent Loop BB206_44 Depth=3
                                        ; =>      This Loop Header: Depth=4
                                        ;           Child Loop BB206_49 Depth 5
	s_wait_alu 0xfffe
	v_lshl_add_u32 v0, s37, 7, v14
	s_mov_b32 s39, s30
	s_mov_b32 s40, s38
	;; [unrolled: 1-line block ×3, first 2 shown]
	ds_load_b128 v[0:3], v0
.LBB206_49:                             ;   Parent Loop BB206_3 Depth=1
                                        ;     Parent Loop BB206_41 Depth=2
                                        ;       Parent Loop BB206_44 Depth=3
                                        ;         Parent Loop BB206_48 Depth=4
                                        ; =>        This Inner Loop Header: Depth=5
	scratch_load_b128 v[20:23], off, s39 offset:-8
	s_wait_alu 0xfffe
	v_mov_b32_e32 v5, s40
	s_add_co_i32 s41, s41, -1
	s_add_co_i32 s40, s40, 16
	ds_load_b128 v[24:27], v5
	s_wait_dscnt 0x0
	v_mul_f64_e32 v[5:6], v[2:3], v[26:27]
	v_mul_f64_e32 v[26:27], v[0:1], v[26:27]
	s_delay_alu instid0(VALU_DEP_2) | instskip(NEXT) | instid1(VALU_DEP_2)
	v_fma_f64 v[5:6], v[0:1], v[24:25], -v[5:6]
	v_fma_f64 v[24:25], v[2:3], v[24:25], v[26:27]
	s_wait_loadcnt 0x0
	s_delay_alu instid0(VALU_DEP_2) | instskip(NEXT) | instid1(VALU_DEP_2)
	v_add_f64_e64 v[20:21], v[20:21], -v[5:6]
	v_add_f64_e64 v[22:23], v[22:23], -v[24:25]
	scratch_store_b128 off, v[20:23], s39 offset:-8
	s_add_co_i32 s39, s39, 16
	s_wait_alu 0xfffe
	s_cmp_eq_u32 s41, 0
	s_cbranch_scc0 .LBB206_49
; %bb.50:                               ;   in Loop: Header=BB206_48 Depth=4
	s_add_co_i32 s37, s37, 1
	s_addk_co_i32 s38, 0x80
	s_wait_alu 0xfffe
	s_cmp_eq_u32 s37, s3
	s_cbranch_scc0 .LBB206_48
.LBB206_51:                             ;   in Loop: Header=BB206_44 Depth=3
	s_mov_b32 s37, 0
	s_mov_b32 s38, s35
	s_branch .LBB206_53
.LBB206_52:                             ;   in Loop: Header=BB206_53 Depth=4
	s_add_co_i32 s39, s37, s3
	s_add_co_i32 s38, s38, 16
	s_wait_alu 0xfffe
	s_mul_i32 s40, s39, 0x90
	s_wait_alu 0xfffe
	v_mov_b32_e32 v5, s40
	s_lshl_b32 s40, s37, 4
	s_add_co_i32 s37, s37, 1
	s_wait_alu 0xfffe
	s_cmp_eq_u32 s37, s23
	ds_load_b128 v[20:23], v5
	s_wait_loadcnt_dscnt 0x0
	v_mul_f64_e32 v[5:6], v[22:23], v[2:3]
	v_mul_f64_e32 v[2:3], v[20:21], v[2:3]
	s_delay_alu instid0(VALU_DEP_2) | instskip(NEXT) | instid1(VALU_DEP_2)
	v_fma_f64 v[20:21], v[20:21], v[0:1], -v[5:6]
	v_fma_f64 v[22:23], v[22:23], v[0:1], v[2:3]
	v_lshl_add_u32 v0, s39, 7, v14
	scratch_store_b128 off, v[20:23], s40
	ds_store_b128 v0, v[20:23]
	s_cbranch_scc1 .LBB206_43
.LBB206_53:                             ;   Parent Loop BB206_3 Depth=1
                                        ;     Parent Loop BB206_41 Depth=2
                                        ;       Parent Loop BB206_44 Depth=3
                                        ; =>      This Loop Header: Depth=4
                                        ;           Child Loop BB206_55 Depth 5
	s_wait_alu 0xfffe
	s_cmp_lg_u32 s37, 0
	s_cbranch_scc0 .LBB206_57
; %bb.54:                               ;   in Loop: Header=BB206_53 Depth=4
	s_lshl_b32 s39, s37, 4
	s_mov_b32 s40, s30
	scratch_load_b128 v[0:3], off, s39
	s_mov_b32 s41, s38
	s_mov_b32 s42, s37
.LBB206_55:                             ;   Parent Loop BB206_3 Depth=1
                                        ;     Parent Loop BB206_41 Depth=2
                                        ;       Parent Loop BB206_44 Depth=3
                                        ;         Parent Loop BB206_53 Depth=4
                                        ; =>        This Inner Loop Header: Depth=5
	scratch_load_b128 v[20:23], off, s40 offset:-8
	s_wait_alu 0xfffe
	v_mov_b32_e32 v5, s41
	s_add_co_i32 s42, s42, -1
	s_addk_co_i32 s41, 0x80
	s_add_co_i32 s40, s40, 16
	s_wait_alu 0xfffe
	s_cmp_eq_u32 s42, 0
	ds_load_b128 v[24:27], v5
	s_wait_loadcnt_dscnt 0x0
	v_mul_f64_e32 v[5:6], v[26:27], v[22:23]
	v_mul_f64_e32 v[22:23], v[24:25], v[22:23]
	s_delay_alu instid0(VALU_DEP_2) | instskip(NEXT) | instid1(VALU_DEP_2)
	v_fma_f64 v[5:6], v[24:25], v[20:21], -v[5:6]
	v_fma_f64 v[20:21], v[26:27], v[20:21], v[22:23]
	s_delay_alu instid0(VALU_DEP_2) | instskip(NEXT) | instid1(VALU_DEP_2)
	v_add_f64_e64 v[0:1], v[0:1], -v[5:6]
	v_add_f64_e64 v[2:3], v[2:3], -v[20:21]
	scratch_store_b128 off, v[0:3], s39
	s_cbranch_scc0 .LBB206_55
; %bb.56:                               ;   in Loop: Header=BB206_53 Depth=4
	s_branch .LBB206_52
.LBB206_57:                             ;   in Loop: Header=BB206_53 Depth=4
                                        ; implicit-def: $vgpr0_vgpr1
	s_cbranch_execz .LBB206_52
; %bb.58:                               ;   in Loop: Header=BB206_53 Depth=4
	scratch_load_b128 v[0:3], off, off
	s_branch .LBB206_52
.LBB206_59:                             ;   in Loop: Header=BB206_3 Depth=1
	s_wait_storecnt 0x0
	; wave barrier
	s_wait_loadcnt_dscnt 0x0
	global_inv scope:SCOPE_SE
	s_and_saveexec_b32 s3, s29
	s_cbranch_execz .LBB206_2
; %bb.60:                               ;   in Loop: Header=BB206_3 Depth=1
	v_add_co_u32 v0, vcc_lo, v10, s10
	s_wait_alu 0xfffd
	v_add_co_ci_u32_e64 v1, null, s11, v11, vcc_lo
	v_mov_b32_e32 v2, v14
	s_delay_alu instid0(VALU_DEP_3) | instskip(SKIP_1) | instid1(VALU_DEP_3)
	v_add_co_u32 v0, vcc_lo, v0, s16
	s_wait_alu 0xfffd
	v_add_co_ci_u32_e64 v1, null, s17, v1, vcc_lo
	s_mov_b32 s18, s25
	v_add_co_u32 v0, vcc_lo, v0, v8
	s_wait_alu 0xfffd
	v_add_co_ci_u32_e64 v1, null, v1, v9, vcc_lo
.LBB206_61:                             ;   Parent Loop BB206_3 Depth=1
                                        ; =>  This Inner Loop Header: Depth=2
	ds_load_2addr_b64 v[3:6], v2 offset1:1
	v_add_nc_u32_e32 v2, 0x80, v2
	s_add_co_i32 s18, s18, -1
	s_delay_alu instid0(SALU_CYCLE_1)
	s_cmp_lg_u32 s18, 0
	s_wait_dscnt 0x0
	flat_store_b128 v[0:1], v[3:6]
	v_add_co_u32 v0, vcc_lo, v0, 16
	s_wait_alu 0xfffd
	v_add_co_ci_u32_e64 v1, null, 0, v1, vcc_lo
	s_cbranch_scc1 .LBB206_61
	s_branch .LBB206_2
.LBB206_62:
	s_endpgm
	.section	.rodata,"a",@progbits
	.p2align	6, 0x0
	.amdhsa_kernel _ZL38rocblas_trsm_small_left_device_sharedBILi8ELi8ELb1E19rocblas_complex_numIdES1_PKPKS1_PKPS1_Ev13rocblas_fill_18rocblas_operation_17rocblas_diagonal_iiT3_T4_lilT5_lili
		.amdhsa_group_segment_fixed_size 2048
		.amdhsa_private_segment_fixed_size 144
		.amdhsa_kernarg_size 368
		.amdhsa_user_sgpr_count 2
		.amdhsa_user_sgpr_dispatch_ptr 0
		.amdhsa_user_sgpr_queue_ptr 0
		.amdhsa_user_sgpr_kernarg_segment_ptr 1
		.amdhsa_user_sgpr_dispatch_id 0
		.amdhsa_user_sgpr_private_segment_size 0
		.amdhsa_wavefront_size32 1
		.amdhsa_uses_dynamic_stack 0
		.amdhsa_enable_private_segment 1
		.amdhsa_system_sgpr_workgroup_id_x 1
		.amdhsa_system_sgpr_workgroup_id_y 0
		.amdhsa_system_sgpr_workgroup_id_z 1
		.amdhsa_system_sgpr_workgroup_info 0
		.amdhsa_system_vgpr_workitem_id 0
		.amdhsa_next_free_vgpr 28
		.amdhsa_next_free_sgpr 45
		.amdhsa_reserve_vcc 1
		.amdhsa_float_round_mode_32 0
		.amdhsa_float_round_mode_16_64 0
		.amdhsa_float_denorm_mode_32 3
		.amdhsa_float_denorm_mode_16_64 3
		.amdhsa_fp16_overflow 0
		.amdhsa_workgroup_processor_mode 1
		.amdhsa_memory_ordered 1
		.amdhsa_forward_progress 1
		.amdhsa_inst_pref_size 24
		.amdhsa_round_robin_scheduling 0
		.amdhsa_exception_fp_ieee_invalid_op 0
		.amdhsa_exception_fp_denorm_src 0
		.amdhsa_exception_fp_ieee_div_zero 0
		.amdhsa_exception_fp_ieee_overflow 0
		.amdhsa_exception_fp_ieee_underflow 0
		.amdhsa_exception_fp_ieee_inexact 0
		.amdhsa_exception_int_div_zero 0
	.end_amdhsa_kernel
	.section	.text._ZL38rocblas_trsm_small_left_device_sharedBILi8ELi8ELb1E19rocblas_complex_numIdES1_PKPKS1_PKPS1_Ev13rocblas_fill_18rocblas_operation_17rocblas_diagonal_iiT3_T4_lilT5_lili,"axG",@progbits,_ZL38rocblas_trsm_small_left_device_sharedBILi8ELi8ELb1E19rocblas_complex_numIdES1_PKPKS1_PKPS1_Ev13rocblas_fill_18rocblas_operation_17rocblas_diagonal_iiT3_T4_lilT5_lili,comdat
.Lfunc_end206:
	.size	_ZL38rocblas_trsm_small_left_device_sharedBILi8ELi8ELb1E19rocblas_complex_numIdES1_PKPKS1_PKPS1_Ev13rocblas_fill_18rocblas_operation_17rocblas_diagonal_iiT3_T4_lilT5_lili, .Lfunc_end206-_ZL38rocblas_trsm_small_left_device_sharedBILi8ELi8ELb1E19rocblas_complex_numIdES1_PKPKS1_PKPS1_Ev13rocblas_fill_18rocblas_operation_17rocblas_diagonal_iiT3_T4_lilT5_lili
                                        ; -- End function
	.set _ZL38rocblas_trsm_small_left_device_sharedBILi8ELi8ELb1E19rocblas_complex_numIdES1_PKPKS1_PKPS1_Ev13rocblas_fill_18rocblas_operation_17rocblas_diagonal_iiT3_T4_lilT5_lili.num_vgpr, 28
	.set _ZL38rocblas_trsm_small_left_device_sharedBILi8ELi8ELb1E19rocblas_complex_numIdES1_PKPKS1_PKPS1_Ev13rocblas_fill_18rocblas_operation_17rocblas_diagonal_iiT3_T4_lilT5_lili.num_agpr, 0
	.set _ZL38rocblas_trsm_small_left_device_sharedBILi8ELi8ELb1E19rocblas_complex_numIdES1_PKPKS1_PKPS1_Ev13rocblas_fill_18rocblas_operation_17rocblas_diagonal_iiT3_T4_lilT5_lili.numbered_sgpr, 45
	.set _ZL38rocblas_trsm_small_left_device_sharedBILi8ELi8ELb1E19rocblas_complex_numIdES1_PKPKS1_PKPS1_Ev13rocblas_fill_18rocblas_operation_17rocblas_diagonal_iiT3_T4_lilT5_lili.num_named_barrier, 0
	.set _ZL38rocblas_trsm_small_left_device_sharedBILi8ELi8ELb1E19rocblas_complex_numIdES1_PKPKS1_PKPS1_Ev13rocblas_fill_18rocblas_operation_17rocblas_diagonal_iiT3_T4_lilT5_lili.private_seg_size, 144
	.set _ZL38rocblas_trsm_small_left_device_sharedBILi8ELi8ELb1E19rocblas_complex_numIdES1_PKPKS1_PKPS1_Ev13rocblas_fill_18rocblas_operation_17rocblas_diagonal_iiT3_T4_lilT5_lili.uses_vcc, 1
	.set _ZL38rocblas_trsm_small_left_device_sharedBILi8ELi8ELb1E19rocblas_complex_numIdES1_PKPKS1_PKPS1_Ev13rocblas_fill_18rocblas_operation_17rocblas_diagonal_iiT3_T4_lilT5_lili.uses_flat_scratch, 0
	.set _ZL38rocblas_trsm_small_left_device_sharedBILi8ELi8ELb1E19rocblas_complex_numIdES1_PKPKS1_PKPS1_Ev13rocblas_fill_18rocblas_operation_17rocblas_diagonal_iiT3_T4_lilT5_lili.has_dyn_sized_stack, 0
	.set _ZL38rocblas_trsm_small_left_device_sharedBILi8ELi8ELb1E19rocblas_complex_numIdES1_PKPKS1_PKPS1_Ev13rocblas_fill_18rocblas_operation_17rocblas_diagonal_iiT3_T4_lilT5_lili.has_recursion, 0
	.set _ZL38rocblas_trsm_small_left_device_sharedBILi8ELi8ELb1E19rocblas_complex_numIdES1_PKPKS1_PKPS1_Ev13rocblas_fill_18rocblas_operation_17rocblas_diagonal_iiT3_T4_lilT5_lili.has_indirect_call, 0
	.section	.AMDGPU.csdata,"",@progbits
; Kernel info:
; codeLenInByte = 3032
; TotalNumSgprs: 47
; NumVgprs: 28
; ScratchSize: 144
; MemoryBound: 0
; FloatMode: 240
; IeeeMode: 1
; LDSByteSize: 2048 bytes/workgroup (compile time only)
; SGPRBlocks: 0
; VGPRBlocks: 3
; NumSGPRsForWavesPerEU: 47
; NumVGPRsForWavesPerEU: 28
; Occupancy: 16
; WaveLimiterHint : 0
; COMPUTE_PGM_RSRC2:SCRATCH_EN: 1
; COMPUTE_PGM_RSRC2:USER_SGPR: 2
; COMPUTE_PGM_RSRC2:TRAP_HANDLER: 0
; COMPUTE_PGM_RSRC2:TGID_X_EN: 1
; COMPUTE_PGM_RSRC2:TGID_Y_EN: 0
; COMPUTE_PGM_RSRC2:TGID_Z_EN: 1
; COMPUTE_PGM_RSRC2:TIDIG_COMP_CNT: 0
	.section	.text._ZL30rocblas_trsm_small_left_deviceILi8ELi8ELb1E19rocblas_complex_numIdES1_PKPKS1_PKPS1_Ev13rocblas_fill_18rocblas_operation_17rocblas_diagonal_iiT3_T4_lilT5_lili,"axG",@progbits,_ZL30rocblas_trsm_small_left_deviceILi8ELi8ELb1E19rocblas_complex_numIdES1_PKPKS1_PKPS1_Ev13rocblas_fill_18rocblas_operation_17rocblas_diagonal_iiT3_T4_lilT5_lili,comdat
	.globl	_ZL30rocblas_trsm_small_left_deviceILi8ELi8ELb1E19rocblas_complex_numIdES1_PKPKS1_PKPS1_Ev13rocblas_fill_18rocblas_operation_17rocblas_diagonal_iiT3_T4_lilT5_lili ; -- Begin function _ZL30rocblas_trsm_small_left_deviceILi8ELi8ELb1E19rocblas_complex_numIdES1_PKPKS1_PKPS1_Ev13rocblas_fill_18rocblas_operation_17rocblas_diagonal_iiT3_T4_lilT5_lili
	.p2align	8
	.type	_ZL30rocblas_trsm_small_left_deviceILi8ELi8ELb1E19rocblas_complex_numIdES1_PKPKS1_PKPS1_Ev13rocblas_fill_18rocblas_operation_17rocblas_diagonal_iiT3_T4_lilT5_lili,@function
_ZL30rocblas_trsm_small_left_deviceILi8ELi8ELb1E19rocblas_complex_numIdES1_PKPKS1_PKPS1_Ev13rocblas_fill_18rocblas_operation_17rocblas_diagonal_iiT3_T4_lilT5_lili: ; @_ZL30rocblas_trsm_small_left_deviceILi8ELi8ELb1E19rocblas_complex_numIdES1_PKPKS1_PKPS1_Ev13rocblas_fill_18rocblas_operation_17rocblas_diagonal_iiT3_T4_lilT5_lili
; %bb.0:
	s_load_b32 s28, s[2:3], 0x68
	s_lshr_b32 s20, ttmp7, 16
	s_wait_kmcnt 0x0
	s_cmp_ge_u32 s20, s28
	s_cbranch_scc1 .LBB207_58
; %bb.1:
	s_load_b32 s22, s[2:3], 0x38
	s_load_b64 s[0:1], s[0:1], 0x4
	s_clause 0x4
	s_load_b128 s[16:19], s[2:3], 0x4
	s_load_b32 s21, s[2:3], 0x70
	s_load_b128 s[12:15], s[2:3], 0x48
	s_load_b32 s24, s[2:3], 0x58
	s_load_b256 s[4:11], s[2:3], 0x18
	v_bfe_u32 v1, v0, 10, 10
	v_and_b32_e32 v2, 0x3ff, v0
	v_bfe_u32 v0, v0, 20, 10
	v_mov_b32_e32 v14, 0
	s_mov_b32 s34, 0
	s_delay_alu instid0(VALU_DEP_3) | instskip(SKIP_1) | instid1(VALU_DEP_1)
	v_lshlrev_b32_e32 v12, 4, v2
	v_lshlrev_b32_e32 v3, 7, v2
	v_add_nc_u32_e32 v19, v12, v3
	s_wait_kmcnt 0x0
	s_ashr_i32 s23, s22, 31
	s_lshr_b32 s0, s0, 16
	s_cmp_eq_u32 s16, 0x71
	v_mul_u32_u24_e32 v1, s1, v1
	s_mul_i32 s1, s0, s1
	s_cselect_b32 s0, -1, 0
	s_wait_alu 0xfffe
	s_lshl_b32 s2, ttmp9, 3
	v_mul_u32_u24_e32 v4, s1, v2
	v_or_b32_e32 v5, s2, v2
	s_min_i32 s3, s18, 8
	s_add_co_i32 s21, s21, -1
	s_wait_alu 0xfffe
	s_add_co_i32 s29, s3, -1
	v_add3_u32 v4, v4, v1, v0
	v_mad_co_i64_i32 v[0:1], null, s24, v5, 0
	s_sub_co_i32 s18, s19, s2
	s_cmp_ge_u32 ttmp9, s21
	v_cmp_gt_i32_e64 s1, s3, v2
	s_cselect_b32 s2, s18, 8
	s_cmp_lg_u32 s17, 0x84
	v_lshl_add_u32 v13, v4, 7, 0x400
	s_cselect_b32 s30, -1, 0
	s_cmp_lg_u32 s16, 0x6f
	v_lshlrev_b64_e32 v[8:9], 4, v[0:1]
	s_cselect_b32 s31, -1, 0
	s_lshl_b64 s[10:11], s[10:11], 4
	s_wait_alu 0xfffe
	v_cmp_gt_i32_e64 s2, s2, v2
	v_add_co_u32 v0, s10, s10, v12
	s_wait_alu 0xf1ff
	v_add_co_ci_u32_e64 v15, null, s11, 0, s10
	s_lshl_b64 s[10:11], s[14:15], 4
	v_or_b32_e32 v16, 8, v0
	s_wait_alu 0xfffe
	v_add_co_u32 v1, vcc_lo, v8, s10
	s_delay_alu instid0(VALU_DEP_1)
	v_add_co_ci_u32_e64 v17, null, s11, v9, vcc_lo
	s_lshl_b32 s33, s3, 4
	v_or_b32_e32 v18, 8, v1
	s_lshl_b64 s[14:15], s[22:23], 4
	s_add_co_i32 s33, s33, -16
	s_mov_b32 s17, 0
	s_branch .LBB207_4
.LBB207_2:                              ;   in Loop: Header=BB207_4 Depth=1
	s_add_co_i32 s20, s20, 0x10000
	s_delay_alu instid0(SALU_CYCLE_1)
	s_cmp_ge_u32 s20, s28
	s_cselect_b32 s16, -1, 0
	s_wait_alu 0xfffe
	s_or_not1_b32 s16, s16, exec_lo
.LBB207_3:                              ;   in Loop: Header=BB207_4 Depth=1
	s_or_b32 exec_lo, exec_lo, s21
	s_wait_alu 0xfffe
	s_and_b32 s16, exec_lo, s16
	s_wait_alu 0xfffe
	s_or_b32 s34, s16, s34
	s_delay_alu instid0(SALU_CYCLE_1)
	s_and_not1_b32 exec_lo, exec_lo, s34
	s_cbranch_execz .LBB207_58
.LBB207_4:                              ; =>This Loop Header: Depth=1
                                        ;     Child Loop BB207_6 Depth 2
                                        ;     Child Loop BB207_19 Depth 2
                                        ;       Child Loop BB207_22 Depth 3
                                        ;         Child Loop BB207_23 Depth 4
                                        ;         Child Loop BB207_25 Depth 4
                                        ;           Child Loop BB207_26 Depth 5
                                        ;         Child Loop BB207_30 Depth 4
                                        ;           Child Loop BB207_32 Depth 5
                                        ;     Child Loop BB207_40 Depth 2
                                        ;       Child Loop BB207_43 Depth 3
                                        ;         Child Loop BB207_44 Depth 4
                                        ;         Child Loop BB207_47 Depth 4
                                        ;           Child Loop BB207_48 Depth 5
                                        ;         Child Loop BB207_52 Depth 4
                                        ;           Child Loop BB207_54 Depth 5
	s_mov_b32 s21, s17
	s_delay_alu instid0(SALU_CYCLE_1) | instskip(NEXT) | instid1(SALU_CYCLE_1)
	s_lshl_b64 s[18:19], s[20:21], 3
	s_add_nc_u64 s[22:23], s[12:13], s[18:19]
	global_load_b64 v[10:11], v14, s[22:23]
	s_and_saveexec_b32 s16, s1
	s_cbranch_execz .LBB207_15
; %bb.5:                                ;   in Loop: Header=BB207_4 Depth=1
	s_add_nc_u64 s[18:19], s[8:9], s[18:19]
	v_mov_b32_e32 v2, v12
	global_load_b64 v[0:1], v14, s[18:19]
	s_mov_b32 s18, s3
	s_wait_loadcnt 0x0
	v_add_co_u32 v0, vcc_lo, v0, v16
	s_wait_alu 0xfffd
	v_add_co_ci_u32_e64 v1, null, v1, v15, vcc_lo
.LBB207_6:                              ;   Parent Loop BB207_4 Depth=1
                                        ; =>  This Inner Loop Header: Depth=2
	flat_load_b128 v[3:6], v[0:1] offset:-8
	v_add_co_u32 v0, vcc_lo, v0, s14
	s_wait_alu 0xfffd
	v_add_co_ci_u32_e64 v1, null, s15, v1, vcc_lo
	s_add_co_i32 s18, s18, -1
	s_delay_alu instid0(SALU_CYCLE_1) | instskip(SKIP_2) | instid1(VALU_DEP_1)
	s_cmp_eq_u32 s18, 0
	s_wait_loadcnt_dscnt 0x0
	v_xor_b32_e32 v7, 0x80000000, v6
	v_cndmask_b32_e64 v6, v6, v7, s0
	ds_store_b128 v2, v[3:6]
	v_add_nc_u32_e32 v2, 0x80, v2
	s_cbranch_scc0 .LBB207_6
; %bb.7:                                ;   in Loop: Header=BB207_4 Depth=1
	s_and_b32 vcc_lo, exec_lo, s30
	s_wait_alu 0xfffe
	s_cbranch_vccz .LBB207_13
; %bb.8:                                ;   in Loop: Header=BB207_4 Depth=1
	ds_load_b128 v[0:3], v19
                                        ; implicit-def: $vgpr6_vgpr7
	s_wait_dscnt 0x0
	v_cmp_ngt_f64_e64 s18, |v[0:1]|, |v[2:3]|
	s_and_saveexec_b32 s19, s18
	s_delay_alu instid0(SALU_CYCLE_1)
	s_xor_b32 s18, exec_lo, s19
	s_cbranch_execz .LBB207_10
; %bb.9:                                ;   in Loop: Header=BB207_4 Depth=1
	v_div_scale_f64 v[4:5], null, v[2:3], v[2:3], v[0:1]
	v_div_scale_f64 v[22:23], vcc_lo, v[0:1], v[2:3], v[0:1]
	s_delay_alu instid0(VALU_DEP_2) | instskip(NEXT) | instid1(TRANS32_DEP_1)
	v_rcp_f64_e32 v[6:7], v[4:5]
	v_fma_f64 v[20:21], -v[4:5], v[6:7], 1.0
	s_delay_alu instid0(VALU_DEP_1) | instskip(NEXT) | instid1(VALU_DEP_1)
	v_fma_f64 v[6:7], v[6:7], v[20:21], v[6:7]
	v_fma_f64 v[20:21], -v[4:5], v[6:7], 1.0
	s_delay_alu instid0(VALU_DEP_1) | instskip(NEXT) | instid1(VALU_DEP_1)
	v_fma_f64 v[6:7], v[6:7], v[20:21], v[6:7]
	v_mul_f64_e32 v[20:21], v[22:23], v[6:7]
	s_delay_alu instid0(VALU_DEP_1) | instskip(SKIP_1) | instid1(VALU_DEP_1)
	v_fma_f64 v[4:5], -v[4:5], v[20:21], v[22:23]
	s_wait_alu 0xfffd
	v_div_fmas_f64 v[4:5], v[4:5], v[6:7], v[20:21]
	s_delay_alu instid0(VALU_DEP_1) | instskip(NEXT) | instid1(VALU_DEP_1)
	v_div_fixup_f64 v[4:5], v[4:5], v[2:3], v[0:1]
	v_fma_f64 v[0:1], v[0:1], v[4:5], v[2:3]
	s_delay_alu instid0(VALU_DEP_1) | instskip(SKIP_1) | instid1(VALU_DEP_2)
	v_div_scale_f64 v[2:3], null, v[0:1], v[0:1], 1.0
	v_div_scale_f64 v[22:23], vcc_lo, 1.0, v[0:1], 1.0
	v_rcp_f64_e32 v[6:7], v[2:3]
	s_delay_alu instid0(TRANS32_DEP_1) | instskip(NEXT) | instid1(VALU_DEP_1)
	v_fma_f64 v[20:21], -v[2:3], v[6:7], 1.0
	v_fma_f64 v[6:7], v[6:7], v[20:21], v[6:7]
	s_delay_alu instid0(VALU_DEP_1) | instskip(NEXT) | instid1(VALU_DEP_1)
	v_fma_f64 v[20:21], -v[2:3], v[6:7], 1.0
	v_fma_f64 v[6:7], v[6:7], v[20:21], v[6:7]
	s_delay_alu instid0(VALU_DEP_1) | instskip(NEXT) | instid1(VALU_DEP_1)
	v_mul_f64_e32 v[20:21], v[22:23], v[6:7]
	v_fma_f64 v[2:3], -v[2:3], v[20:21], v[22:23]
	s_wait_alu 0xfffd
	s_delay_alu instid0(VALU_DEP_1) | instskip(SKIP_1) | instid1(VALU_DEP_2)
	v_div_fmas_f64 v[2:3], v[2:3], v[6:7], v[20:21]
	v_add_f64_e32 v[6:7], 0, v[4:5]
	v_div_fixup_f64 v[0:1], v[2:3], v[0:1], 1.0
	v_fma_f64 v[2:3], v[4:5], 0, -1.0
	s_delay_alu instid0(VALU_DEP_2) | instskip(NEXT) | instid1(VALU_DEP_2)
	v_mul_f64_e32 v[4:5], v[6:7], v[0:1]
	v_mul_f64_e32 v[6:7], v[2:3], v[0:1]
                                        ; implicit-def: $vgpr0_vgpr1
.LBB207_10:                             ;   in Loop: Header=BB207_4 Depth=1
	s_and_not1_saveexec_b32 s18, s18
	s_cbranch_execz .LBB207_12
; %bb.11:                               ;   in Loop: Header=BB207_4 Depth=1
	v_div_scale_f64 v[4:5], null, v[0:1], v[0:1], v[2:3]
	v_div_scale_f64 v[22:23], vcc_lo, v[2:3], v[0:1], v[2:3]
	s_delay_alu instid0(VALU_DEP_2) | instskip(NEXT) | instid1(TRANS32_DEP_1)
	v_rcp_f64_e32 v[6:7], v[4:5]
	v_fma_f64 v[20:21], -v[4:5], v[6:7], 1.0
	s_delay_alu instid0(VALU_DEP_1) | instskip(NEXT) | instid1(VALU_DEP_1)
	v_fma_f64 v[6:7], v[6:7], v[20:21], v[6:7]
	v_fma_f64 v[20:21], -v[4:5], v[6:7], 1.0
	s_delay_alu instid0(VALU_DEP_1) | instskip(NEXT) | instid1(VALU_DEP_1)
	v_fma_f64 v[6:7], v[6:7], v[20:21], v[6:7]
	v_mul_f64_e32 v[20:21], v[22:23], v[6:7]
	s_delay_alu instid0(VALU_DEP_1) | instskip(SKIP_1) | instid1(VALU_DEP_1)
	v_fma_f64 v[4:5], -v[4:5], v[20:21], v[22:23]
	s_wait_alu 0xfffd
	v_div_fmas_f64 v[4:5], v[4:5], v[6:7], v[20:21]
	s_delay_alu instid0(VALU_DEP_1) | instskip(NEXT) | instid1(VALU_DEP_1)
	v_div_fixup_f64 v[4:5], v[4:5], v[0:1], v[2:3]
	v_fma_f64 v[0:1], v[2:3], v[4:5], v[0:1]
	s_delay_alu instid0(VALU_DEP_1) | instskip(SKIP_1) | instid1(VALU_DEP_2)
	v_div_scale_f64 v[2:3], null, v[0:1], v[0:1], 1.0
	v_div_scale_f64 v[22:23], vcc_lo, 1.0, v[0:1], 1.0
	v_rcp_f64_e32 v[6:7], v[2:3]
	s_delay_alu instid0(TRANS32_DEP_1) | instskip(NEXT) | instid1(VALU_DEP_1)
	v_fma_f64 v[20:21], -v[2:3], v[6:7], 1.0
	v_fma_f64 v[6:7], v[6:7], v[20:21], v[6:7]
	s_delay_alu instid0(VALU_DEP_1) | instskip(NEXT) | instid1(VALU_DEP_1)
	v_fma_f64 v[20:21], -v[2:3], v[6:7], 1.0
	v_fma_f64 v[6:7], v[6:7], v[20:21], v[6:7]
	s_delay_alu instid0(VALU_DEP_1) | instskip(NEXT) | instid1(VALU_DEP_1)
	v_mul_f64_e32 v[20:21], v[22:23], v[6:7]
	v_fma_f64 v[2:3], -v[2:3], v[20:21], v[22:23]
	s_wait_alu 0xfffd
	s_delay_alu instid0(VALU_DEP_1) | instskip(SKIP_1) | instid1(VALU_DEP_2)
	v_div_fmas_f64 v[2:3], v[2:3], v[6:7], v[20:21]
	v_fma_f64 v[6:7], v[4:5], 0, 1.0
	v_div_fixup_f64 v[0:1], v[2:3], v[0:1], 1.0
	v_add_f64_e64 v[2:3], -v[4:5], 0
	s_delay_alu instid0(VALU_DEP_2) | instskip(NEXT) | instid1(VALU_DEP_2)
	v_mul_f64_e32 v[4:5], v[6:7], v[0:1]
	v_mul_f64_e32 v[6:7], v[2:3], v[0:1]
.LBB207_12:                             ;   in Loop: Header=BB207_4 Depth=1
	s_or_b32 exec_lo, exec_lo, s18
	s_branch .LBB207_14
.LBB207_13:                             ;   in Loop: Header=BB207_4 Depth=1
	v_mov_b32_e32 v6, 0
	v_dual_mov_b32 v7, 0 :: v_dual_mov_b32 v4, 0
	v_mov_b32_e32 v5, 0x3ff00000
.LBB207_14:                             ;   in Loop: Header=BB207_4 Depth=1
	ds_store_b128 v19, v[4:7]
.LBB207_15:                             ;   in Loop: Header=BB207_4 Depth=1
	s_wait_alu 0xfffe
	s_or_b32 exec_lo, exec_lo, s16
	s_mov_b32 s16, -1
	; wave barrier
	s_wait_loadcnt_dscnt 0x0
	global_inv scope:SCOPE_SE
	s_and_saveexec_b32 s21, s2
	s_cbranch_execz .LBB207_3
; %bb.16:                               ;   in Loop: Header=BB207_4 Depth=1
	v_add_co_u32 v0, vcc_lo, v10, s10
	s_wait_alu 0xfffd
	v_add_co_ci_u32_e64 v1, null, s11, v11, vcc_lo
	s_delay_alu instid0(VALU_DEP_2) | instskip(SKIP_1) | instid1(VALU_DEP_2)
	v_add_co_u32 v6, vcc_lo, v0, v8
	s_wait_alu 0xfffd
	v_add_co_ci_u32_e64 v7, null, v1, v9, vcc_lo
	s_and_not1_b32 vcc_lo, exec_lo, s31
	s_wait_alu 0xfffe
	s_cbranch_vccnz .LBB207_37
; %bb.17:                               ;   in Loop: Header=BB207_4 Depth=1
	v_add_co_u32 v4, vcc_lo, v10, v18
	s_wait_alu 0xfffd
	v_add_co_ci_u32_e64 v5, null, v11, v17, vcc_lo
	s_mov_b32 s16, 0
	s_mov_b32 s18, s29
	s_branch .LBB207_19
.LBB207_18:                             ;   in Loop: Header=BB207_19 Depth=2
	s_cmp_gt_i32 s18, -1
	s_cselect_b32 s19, -1, 0
	s_add_co_i32 s22, s16, 1
	s_cmp_lt_u32 s16, 2
	s_cselect_b32 s16, -1, 0
	s_wait_alu 0xfffe
	s_and_b32 s16, s19, s16
	s_wait_alu 0xfffe
	s_and_b32 vcc_lo, exec_lo, s16
	s_mov_b32 s16, s22
	s_wait_alu 0xfffe
	s_cbranch_vccz .LBB207_36
.LBB207_19:                             ;   Parent Loop BB207_4 Depth=1
                                        ; =>  This Loop Header: Depth=2
                                        ;       Child Loop BB207_22 Depth 3
                                        ;         Child Loop BB207_23 Depth 4
                                        ;         Child Loop BB207_25 Depth 4
                                        ;           Child Loop BB207_26 Depth 5
                                        ;         Child Loop BB207_30 Depth 4
                                        ;           Child Loop BB207_32 Depth 5
	s_getpc_b64 s[22:23]
	s_wait_alu 0xfffe
	s_sext_i32_i16 s23, s23
	s_add_co_u32 s22, s22, __const._ZL30rocblas_trsm_small_left_deviceILi8ELi8ELb1E19rocblas_complex_numIdES1_PKPKS1_PKPS1_Ev13rocblas_fill_18rocblas_operation_17rocblas_diagonal_iiT3_T4_lilT5_lili.step_sizes@rel32@lo+12
	s_wait_alu 0xfffe
	s_add_co_ci_u32 s23, s23, __const._ZL30rocblas_trsm_small_left_deviceILi8ELi8ELb1E19rocblas_complex_numIdES1_PKPKS1_PKPS1_Ev13rocblas_fill_18rocblas_operation_17rocblas_diagonal_iiT3_T4_lilT5_lili.step_sizes@rel32@hi+24
	s_lshl_b64 s[24:25], s[16:17], 2
	s_wait_alu 0xfffe
	s_add_nc_u64 s[22:23], s[22:23], s[24:25]
	s_load_b32 s26, s[22:23], 0x0
	s_wait_kmcnt 0x0
	s_add_co_i32 s27, s26, -1
	s_wait_alu 0xfffe
	s_cmp_lt_i32 s18, s27
	s_cbranch_scc1 .LBB207_18
; %bb.20:                               ;   in Loop: Header=BB207_19 Depth=2
	s_lshl_b32 s19, s18, 7
	s_lshl_b32 s22, s26, 7
	s_max_i32 s35, s26, 1
	s_add_co_i32 s36, s33, s19
	s_wait_alu 0xfffe
	s_sub_co_i32 s37, 0, s22
	s_mul_i32 s38, s18, 0x90
	s_mul_i32 s39, s26, 0xffffff70
	s_branch .LBB207_22
.LBB207_21:                             ;   in Loop: Header=BB207_22 Depth=3
	s_sub_co_i32 s18, s18, s26
	s_add_co_i32 s36, s36, s37
	s_add_co_i32 s38, s38, s39
	s_cmp_lt_i32 s18, s27
	s_cbranch_scc1 .LBB207_18
.LBB207_22:                             ;   Parent Loop BB207_4 Depth=1
                                        ;     Parent Loop BB207_19 Depth=2
                                        ; =>    This Loop Header: Depth=3
                                        ;         Child Loop BB207_23 Depth 4
                                        ;         Child Loop BB207_25 Depth 4
                                        ;           Child Loop BB207_26 Depth 5
                                        ;         Child Loop BB207_30 Depth 4
                                        ;           Child Loop BB207_32 Depth 5
	s_ashr_i32 s19, s18, 31
	v_mov_b32_e32 v2, v13
	s_lshl_b64 s[22:23], s[18:19], 4
	s_wait_alu 0xfffe
	v_add_co_u32 v0, vcc_lo, v4, s22
	s_wait_alu 0xfffd
	v_add_co_ci_u32_e64 v1, null, s23, v5, vcc_lo
	s_mov_b32 s22, s35
.LBB207_23:                             ;   Parent Loop BB207_4 Depth=1
                                        ;     Parent Loop BB207_19 Depth=2
                                        ;       Parent Loop BB207_22 Depth=3
                                        ; =>      This Inner Loop Header: Depth=4
	flat_load_b128 v[20:23], v[0:1] offset:-8
	v_add_co_u32 v0, vcc_lo, v0, -16
	s_wait_alu 0xfffd
	v_add_co_ci_u32_e64 v1, null, -1, v1, vcc_lo
	s_wait_alu 0xfffe
	s_add_co_i32 s22, s22, -1
	s_wait_alu 0xfffe
	s_cmp_eq_u32 s22, 0
	s_wait_loadcnt_dscnt 0x0
	v_mul_f64_e32 v[24:25], s[6:7], v[22:23]
	v_mul_f64_e32 v[26:27], s[4:5], v[22:23]
	s_delay_alu instid0(VALU_DEP_2) | instskip(NEXT) | instid1(VALU_DEP_2)
	v_fma_f64 v[22:23], s[4:5], v[20:21], -v[24:25]
	v_fma_f64 v[24:25], s[6:7], v[20:21], v[26:27]
	ds_store_b128 v2, v[22:25]
	v_add_nc_u32_e32 v2, 16, v2
	s_cbranch_scc0 .LBB207_23
; %bb.24:                               ;   in Loop: Header=BB207_22 Depth=3
	s_cmp_le_i32 s29, s18
	s_mov_b32 s24, s36
	s_mov_b32 s22, s29
	s_cbranch_scc1 .LBB207_28
.LBB207_25:                             ;   Parent Loop BB207_4 Depth=1
                                        ;     Parent Loop BB207_19 Depth=2
                                        ;       Parent Loop BB207_22 Depth=3
                                        ; =>      This Loop Header: Depth=4
                                        ;           Child Loop BB207_26 Depth 5
	s_wait_alu 0xfffe
	s_ashr_i32 s23, s22, 31
	v_mov_b32_e32 v20, v13
	s_wait_alu 0xfffe
	s_lshl_b64 s[40:41], s[22:23], 4
	s_mov_b32 s23, s24
	s_wait_alu 0xfffe
	v_add_co_u32 v0, vcc_lo, v6, s40
	s_wait_alu 0xfffd
	v_add_co_ci_u32_e64 v1, null, s41, v7, vcc_lo
	s_mov_b32 s25, s35
	flat_load_b128 v[0:3], v[0:1]
.LBB207_26:                             ;   Parent Loop BB207_4 Depth=1
                                        ;     Parent Loop BB207_19 Depth=2
                                        ;       Parent Loop BB207_22 Depth=3
                                        ;         Parent Loop BB207_25 Depth=4
                                        ; =>        This Inner Loop Header: Depth=5
	s_wait_alu 0xfffe
	v_mov_b32_e32 v21, s23
	s_add_co_i32 s25, s25, -1
	s_addk_co_i32 s23, 0xff80
	s_wait_alu 0xfffe
	s_cmp_eq_u32 s25, 0
	ds_load_b128 v[21:24], v21
	s_wait_loadcnt_dscnt 0x0
	v_mul_f64_e32 v[25:26], v[2:3], v[23:24]
	v_mul_f64_e32 v[23:24], v[0:1], v[23:24]
	s_delay_alu instid0(VALU_DEP_2) | instskip(NEXT) | instid1(VALU_DEP_2)
	v_fma_f64 v[25:26], v[0:1], v[21:22], -v[25:26]
	v_fma_f64 v[27:28], v[2:3], v[21:22], v[23:24]
	ds_load_b128 v[21:24], v20
	s_wait_dscnt 0x0
	v_add_f64_e64 v[21:22], v[21:22], -v[25:26]
	v_add_f64_e64 v[23:24], v[23:24], -v[27:28]
	ds_store_b128 v20, v[21:24]
	v_add_nc_u32_e32 v20, 16, v20
	s_cbranch_scc0 .LBB207_26
; %bb.27:                               ;   in Loop: Header=BB207_25 Depth=4
	s_add_co_i32 s22, s22, -1
	s_add_co_i32 s24, s24, -16
	s_wait_alu 0xfffe
	s_cmp_le_i32 s22, s18
	s_cbranch_scc0 .LBB207_25
.LBB207_28:                             ;   in Loop: Header=BB207_22 Depth=3
	s_mov_b32 s40, 0
	s_mov_b32 s41, s38
	s_branch .LBB207_30
.LBB207_29:                             ;   in Loop: Header=BB207_30 Depth=4
	s_wait_alu 0xfffe
	s_mulk_i32 s24, 0x90
	s_lshl_b64 s[22:23], s[22:23], 4
	s_wait_alu 0xfffe
	v_mov_b32_e32 v21, s24
	s_add_co_i32 s40, s40, 1
	s_addk_co_i32 s41, 0xff80
	s_wait_alu 0xfffe
	s_cmp_eq_u32 s40, s35
	ds_load_b128 v[21:24], v21
	s_wait_dscnt 0x0
	v_mul_f64_e32 v[25:26], v[23:24], v[2:3]
	v_mul_f64_e32 v[2:3], v[21:22], v[2:3]
	s_delay_alu instid0(VALU_DEP_2) | instskip(NEXT) | instid1(VALU_DEP_2)
	v_fma_f64 v[21:22], v[21:22], v[0:1], -v[25:26]
	v_fma_f64 v[23:24], v[23:24], v[0:1], v[2:3]
	v_add_co_u32 v0, vcc_lo, v6, s22
	s_wait_alu 0xfffd
	v_add_co_ci_u32_e64 v1, null, s23, v7, vcc_lo
	ds_store_b128 v20, v[21:24]
	flat_store_b128 v[0:1], v[21:24]
	s_cbranch_scc1 .LBB207_21
.LBB207_30:                             ;   Parent Loop BB207_4 Depth=1
                                        ;     Parent Loop BB207_19 Depth=2
                                        ;       Parent Loop BB207_22 Depth=3
                                        ; =>      This Loop Header: Depth=4
                                        ;           Child Loop BB207_32 Depth 5
	s_wait_alu 0xfffe
	v_lshl_add_u32 v20, s40, 4, v13
	s_cmp_lg_u32 s40, 0
	s_cbranch_scc0 .LBB207_34
; %bb.31:                               ;   in Loop: Header=BB207_30 Depth=4
	ds_load_b128 v[0:3], v20
	v_mov_b32_e32 v21, v13
	s_mov_b32 s22, s41
	s_mov_b32 s23, s40
.LBB207_32:                             ;   Parent Loop BB207_4 Depth=1
                                        ;     Parent Loop BB207_19 Depth=2
                                        ;       Parent Loop BB207_22 Depth=3
                                        ;         Parent Loop BB207_30 Depth=4
                                        ; =>        This Inner Loop Header: Depth=5
	s_wait_alu 0xfffe
	v_mov_b32_e32 v26, s22
	s_add_co_i32 s23, s23, -1
	s_add_co_i32 s22, s22, -16
	s_wait_alu 0xfffe
	s_cmp_eq_u32 s23, 0
	ds_load_b128 v[22:25], v21
	ds_load_b128 v[26:29], v26
	v_add_nc_u32_e32 v21, 16, v21
	s_wait_dscnt 0x0
	v_mul_f64_e32 v[30:31], v[28:29], v[24:25]
	v_mul_f64_e32 v[24:25], v[26:27], v[24:25]
	s_delay_alu instid0(VALU_DEP_2) | instskip(NEXT) | instid1(VALU_DEP_2)
	v_fma_f64 v[26:27], v[26:27], v[22:23], -v[30:31]
	v_fma_f64 v[22:23], v[28:29], v[22:23], v[24:25]
	s_delay_alu instid0(VALU_DEP_2) | instskip(NEXT) | instid1(VALU_DEP_2)
	v_add_f64_e64 v[0:1], v[0:1], -v[26:27]
	v_add_f64_e64 v[2:3], v[2:3], -v[22:23]
	ds_store_b128 v20, v[0:3]
	s_cbranch_scc0 .LBB207_32
; %bb.33:                               ;   in Loop: Header=BB207_30 Depth=4
	s_sub_co_i32 s24, s18, s40
	s_wait_alu 0xfffe
	s_ashr_i32 s25, s24, 31
	s_wait_alu 0xfffe
	s_mov_b64 s[22:23], s[24:25]
	s_branch .LBB207_29
.LBB207_34:                             ;   in Loop: Header=BB207_30 Depth=4
                                        ; implicit-def: $vgpr0_vgpr1
                                        ; implicit-def: $sgpr24
                                        ; implicit-def: $sgpr22_sgpr23
	s_cbranch_execz .LBB207_29
; %bb.35:                               ;   in Loop: Header=BB207_30 Depth=4
	ds_load_b128 v[0:3], v13
	s_mov_b64 s[22:23], s[18:19]
	s_mov_b32 s24, s18
	s_branch .LBB207_29
.LBB207_36:                             ;   in Loop: Header=BB207_4 Depth=1
	s_mov_b32 s16, 0
.LBB207_37:                             ;   in Loop: Header=BB207_4 Depth=1
	s_wait_alu 0xfffe
	s_and_b32 vcc_lo, exec_lo, s16
	s_wait_alu 0xfffe
	s_cbranch_vccz .LBB207_2
; %bb.38:                               ;   in Loop: Header=BB207_4 Depth=1
	v_add_co_u32 v10, vcc_lo, v10, v18
	s_wait_alu 0xfffd
	v_add_co_ci_u32_e64 v11, null, v11, v17, vcc_lo
	s_mov_b32 s18, 0
	s_mov_b32 s22, 0
	s_branch .LBB207_40
.LBB207_39:                             ;   in Loop: Header=BB207_40 Depth=2
	s_cmp_lt_i32 s18, s3
	s_cselect_b32 s16, -1, 0
	s_add_co_i32 s19, s22, 1
	s_cmp_lt_u32 s22, 2
	s_cselect_b32 s22, -1, 0
	s_wait_alu 0xfffe
	s_and_b32 s16, s16, s22
	s_mov_b32 s22, s19
	s_wait_alu 0xfffe
	s_and_not1_b32 vcc_lo, exec_lo, s16
	s_wait_alu 0xfffe
	s_cbranch_vccnz .LBB207_2
.LBB207_40:                             ;   Parent Loop BB207_4 Depth=1
                                        ; =>  This Loop Header: Depth=2
                                        ;       Child Loop BB207_43 Depth 3
                                        ;         Child Loop BB207_44 Depth 4
                                        ;         Child Loop BB207_47 Depth 4
                                        ;           Child Loop BB207_48 Depth 5
                                        ;         Child Loop BB207_52 Depth 4
                                        ;           Child Loop BB207_54 Depth 5
	s_mov_b32 s23, s17
	s_getpc_b64 s[24:25]
	s_wait_alu 0xfffe
	s_sext_i32_i16 s25, s25
	s_add_co_u32 s24, s24, __const._ZL30rocblas_trsm_small_left_deviceILi8ELi8ELb1E19rocblas_complex_numIdES1_PKPKS1_PKPS1_Ev13rocblas_fill_18rocblas_operation_17rocblas_diagonal_iiT3_T4_lilT5_lili.step_sizes@rel32@lo+12
	s_wait_alu 0xfffe
	s_add_co_ci_u32 s25, s25, __const._ZL30rocblas_trsm_small_left_deviceILi8ELi8ELb1E19rocblas_complex_numIdES1_PKPKS1_PKPS1_Ev13rocblas_fill_18rocblas_operation_17rocblas_diagonal_iiT3_T4_lilT5_lili.step_sizes@rel32@hi+24
	s_lshl_b64 s[26:27], s[22:23], 2
	s_wait_alu 0xfffe
	s_add_nc_u64 s[24:25], s[24:25], s[26:27]
	s_load_b32 s24, s[24:25], 0x0
	s_wait_kmcnt 0x0
	s_add_co_i32 s23, s24, -1
	s_wait_alu 0xfffe
	s_add_co_i32 s16, s23, s18
	s_wait_alu 0xfffe
	s_cmp_ge_i32 s16, s3
	s_cbranch_scc1 .LBB207_39
; %bb.41:                               ;   in Loop: Header=BB207_40 Depth=2
	s_ashr_i32 s19, s18, 31
	s_ashr_i32 s25, s24, 31
	s_lshl_b64 s[26:27], s[18:19], 4
	s_max_i32 s35, s24, 1
	s_wait_alu 0xfffe
	v_add_co_u32 v4, vcc_lo, v10, s26
	s_wait_alu 0xfffd
	v_add_co_ci_u32_e64 v5, null, s27, v11, vcc_lo
	s_lshl_b64 s[26:27], s[24:25], 4
	s_lshl_b32 s19, s18, 4
	s_lshl_b32 s25, s24, 4
	s_mul_i32 s36, s18, 0x90
	s_mul_i32 s37, s24, 0x90
	s_branch .LBB207_43
.LBB207_42:                             ;   in Loop: Header=BB207_43 Depth=3
	v_add_co_u32 v4, vcc_lo, v4, s26
	s_add_co_i32 s18, s18, s24
	s_wait_alu 0xfffd
	v_add_co_ci_u32_e64 v5, null, s27, v5, vcc_lo
	s_add_co_i32 s16, s23, s18
	s_add_co_i32 s19, s19, s25
	s_add_co_i32 s36, s36, s37
	s_wait_alu 0xfffe
	s_cmp_ge_i32 s16, s3
	s_cbranch_scc1 .LBB207_39
.LBB207_43:                             ;   Parent Loop BB207_4 Depth=1
                                        ;     Parent Loop BB207_40 Depth=2
                                        ; =>    This Loop Header: Depth=3
                                        ;         Child Loop BB207_44 Depth 4
                                        ;         Child Loop BB207_47 Depth 4
                                        ;           Child Loop BB207_48 Depth 5
                                        ;         Child Loop BB207_52 Depth 4
                                        ;           Child Loop BB207_54 Depth 5
	v_mov_b32_e32 v0, v4
	v_dual_mov_b32 v2, v13 :: v_dual_mov_b32 v1, v5
	s_mov_b32 s16, s35
.LBB207_44:                             ;   Parent Loop BB207_4 Depth=1
                                        ;     Parent Loop BB207_40 Depth=2
                                        ;       Parent Loop BB207_43 Depth=3
                                        ; =>      This Inner Loop Header: Depth=4
	flat_load_b128 v[20:23], v[0:1] offset:-8
	v_add_co_u32 v0, vcc_lo, v0, 16
	s_wait_alu 0xfffd
	v_add_co_ci_u32_e64 v1, null, 0, v1, vcc_lo
	s_wait_alu 0xfffe
	s_add_co_i32 s16, s16, -1
	s_wait_alu 0xfffe
	s_cmp_eq_u32 s16, 0
	s_wait_loadcnt_dscnt 0x0
	v_mul_f64_e32 v[24:25], s[6:7], v[22:23]
	v_mul_f64_e32 v[26:27], s[4:5], v[22:23]
	s_delay_alu instid0(VALU_DEP_2) | instskip(NEXT) | instid1(VALU_DEP_2)
	v_fma_f64 v[22:23], s[4:5], v[20:21], -v[24:25]
	v_fma_f64 v[24:25], s[6:7], v[20:21], v[26:27]
	ds_store_b128 v2, v[22:25]
	v_add_nc_u32_e32 v2, 16, v2
	s_cbranch_scc0 .LBB207_44
; %bb.45:                               ;   in Loop: Header=BB207_43 Depth=3
	s_cmp_lt_i32 s18, 1
	s_cbranch_scc1 .LBB207_50
; %bb.46:                               ;   in Loop: Header=BB207_43 Depth=3
	s_mov_b32 s16, 0
	s_mov_b32 s38, s19
.LBB207_47:                             ;   Parent Loop BB207_4 Depth=1
                                        ;     Parent Loop BB207_40 Depth=2
                                        ;       Parent Loop BB207_43 Depth=3
                                        ; =>      This Loop Header: Depth=4
                                        ;           Child Loop BB207_48 Depth 5
	s_wait_alu 0xfffe
	s_lshl_b64 s[40:41], s[16:17], 4
	v_mov_b32_e32 v20, v13
	s_wait_alu 0xfffe
	v_add_co_u32 v0, vcc_lo, v6, s40
	s_wait_alu 0xfffd
	v_add_co_ci_u32_e64 v1, null, s41, v7, vcc_lo
	s_mov_b32 s39, s38
	s_mov_b32 s40, s35
	flat_load_b128 v[0:3], v[0:1]
.LBB207_48:                             ;   Parent Loop BB207_4 Depth=1
                                        ;     Parent Loop BB207_40 Depth=2
                                        ;       Parent Loop BB207_43 Depth=3
                                        ;         Parent Loop BB207_47 Depth=4
                                        ; =>        This Inner Loop Header: Depth=5
	s_wait_alu 0xfffe
	v_mov_b32_e32 v21, s39
	s_add_co_i32 s40, s40, -1
	s_add_co_i32 s39, s39, 16
	s_wait_alu 0xfffe
	s_cmp_eq_u32 s40, 0
	ds_load_b128 v[21:24], v21
	s_wait_loadcnt_dscnt 0x0
	v_mul_f64_e32 v[25:26], v[2:3], v[23:24]
	v_mul_f64_e32 v[23:24], v[0:1], v[23:24]
	s_delay_alu instid0(VALU_DEP_2) | instskip(NEXT) | instid1(VALU_DEP_2)
	v_fma_f64 v[25:26], v[0:1], v[21:22], -v[25:26]
	v_fma_f64 v[27:28], v[2:3], v[21:22], v[23:24]
	ds_load_b128 v[21:24], v20
	s_wait_dscnt 0x0
	v_add_f64_e64 v[21:22], v[21:22], -v[25:26]
	v_add_f64_e64 v[23:24], v[23:24], -v[27:28]
	ds_store_b128 v20, v[21:24]
	v_add_nc_u32_e32 v20, 16, v20
	s_cbranch_scc0 .LBB207_48
; %bb.49:                               ;   in Loop: Header=BB207_47 Depth=4
	s_add_co_i32 s16, s16, 1
	s_addk_co_i32 s38, 0x80
	s_wait_alu 0xfffe
	s_cmp_eq_u32 s16, s18
	s_cbranch_scc0 .LBB207_47
.LBB207_50:                             ;   in Loop: Header=BB207_43 Depth=3
	s_mov_b32 s16, 0
	s_mov_b32 s38, s36
	s_branch .LBB207_52
.LBB207_51:                             ;   in Loop: Header=BB207_52 Depth=4
	s_add_co_i32 s40, s16, s18
	s_add_co_i32 s16, s16, 1
	s_wait_alu 0xfffe
	s_mul_i32 s39, s40, 0x90
	s_ashr_i32 s41, s40, 31
	s_wait_alu 0xfffe
	v_mov_b32_e32 v21, s39
	s_lshl_b64 s[40:41], s[40:41], 4
	s_add_co_i32 s38, s38, 16
	s_cmp_eq_u32 s16, s35
	ds_load_b128 v[21:24], v21
	s_wait_dscnt 0x0
	v_mul_f64_e32 v[25:26], v[23:24], v[2:3]
	v_mul_f64_e32 v[2:3], v[21:22], v[2:3]
	s_delay_alu instid0(VALU_DEP_2) | instskip(NEXT) | instid1(VALU_DEP_2)
	v_fma_f64 v[21:22], v[21:22], v[0:1], -v[25:26]
	v_fma_f64 v[23:24], v[23:24], v[0:1], v[2:3]
	s_wait_alu 0xfffe
	v_add_co_u32 v0, vcc_lo, v6, s40
	s_wait_alu 0xfffd
	v_add_co_ci_u32_e64 v1, null, s41, v7, vcc_lo
	ds_store_b128 v20, v[21:24]
	flat_store_b128 v[0:1], v[21:24]
	s_cbranch_scc1 .LBB207_42
.LBB207_52:                             ;   Parent Loop BB207_4 Depth=1
                                        ;     Parent Loop BB207_40 Depth=2
                                        ;       Parent Loop BB207_43 Depth=3
                                        ; =>      This Loop Header: Depth=4
                                        ;           Child Loop BB207_54 Depth 5
	s_wait_alu 0xfffe
	v_lshl_add_u32 v20, s16, 4, v13
	s_cmp_lg_u32 s16, 0
	s_cbranch_scc0 .LBB207_56
; %bb.53:                               ;   in Loop: Header=BB207_52 Depth=4
	ds_load_b128 v[0:3], v20
	v_mov_b32_e32 v21, v13
	s_mov_b32 s39, s38
	s_mov_b32 s40, s16
.LBB207_54:                             ;   Parent Loop BB207_4 Depth=1
                                        ;     Parent Loop BB207_40 Depth=2
                                        ;       Parent Loop BB207_43 Depth=3
                                        ;         Parent Loop BB207_52 Depth=4
                                        ; =>        This Inner Loop Header: Depth=5
	s_wait_alu 0xfffe
	v_mov_b32_e32 v26, s39
	s_add_co_i32 s40, s40, -1
	s_addk_co_i32 s39, 0x80
	s_wait_alu 0xfffe
	s_cmp_eq_u32 s40, 0
	ds_load_b128 v[22:25], v21
	ds_load_b128 v[26:29], v26
	v_add_nc_u32_e32 v21, 16, v21
	s_wait_dscnt 0x0
	v_mul_f64_e32 v[30:31], v[28:29], v[24:25]
	v_mul_f64_e32 v[24:25], v[26:27], v[24:25]
	s_delay_alu instid0(VALU_DEP_2) | instskip(NEXT) | instid1(VALU_DEP_2)
	v_fma_f64 v[26:27], v[26:27], v[22:23], -v[30:31]
	v_fma_f64 v[22:23], v[28:29], v[22:23], v[24:25]
	s_delay_alu instid0(VALU_DEP_2) | instskip(NEXT) | instid1(VALU_DEP_2)
	v_add_f64_e64 v[0:1], v[0:1], -v[26:27]
	v_add_f64_e64 v[2:3], v[2:3], -v[22:23]
	ds_store_b128 v20, v[0:3]
	s_cbranch_scc0 .LBB207_54
; %bb.55:                               ;   in Loop: Header=BB207_52 Depth=4
	s_branch .LBB207_51
.LBB207_56:                             ;   in Loop: Header=BB207_52 Depth=4
                                        ; implicit-def: $vgpr0_vgpr1
	s_cbranch_execz .LBB207_51
; %bb.57:                               ;   in Loop: Header=BB207_52 Depth=4
	ds_load_b128 v[0:3], v13
	s_branch .LBB207_51
.LBB207_58:
	s_endpgm
	.section	.rodata,"a",@progbits
	.p2align	6, 0x0
	.amdhsa_kernel _ZL30rocblas_trsm_small_left_deviceILi8ELi8ELb1E19rocblas_complex_numIdES1_PKPKS1_PKPS1_Ev13rocblas_fill_18rocblas_operation_17rocblas_diagonal_iiT3_T4_lilT5_lili
		.amdhsa_group_segment_fixed_size 2048
		.amdhsa_private_segment_fixed_size 0
		.amdhsa_kernarg_size 368
		.amdhsa_user_sgpr_count 4
		.amdhsa_user_sgpr_dispatch_ptr 1
		.amdhsa_user_sgpr_queue_ptr 0
		.amdhsa_user_sgpr_kernarg_segment_ptr 1
		.amdhsa_user_sgpr_dispatch_id 0
		.amdhsa_user_sgpr_private_segment_size 0
		.amdhsa_wavefront_size32 1
		.amdhsa_uses_dynamic_stack 0
		.amdhsa_enable_private_segment 0
		.amdhsa_system_sgpr_workgroup_id_x 1
		.amdhsa_system_sgpr_workgroup_id_y 0
		.amdhsa_system_sgpr_workgroup_id_z 1
		.amdhsa_system_sgpr_workgroup_info 0
		.amdhsa_system_vgpr_workitem_id 2
		.amdhsa_next_free_vgpr 32
		.amdhsa_next_free_sgpr 42
		.amdhsa_reserve_vcc 1
		.amdhsa_float_round_mode_32 0
		.amdhsa_float_round_mode_16_64 0
		.amdhsa_float_denorm_mode_32 3
		.amdhsa_float_denorm_mode_16_64 3
		.amdhsa_fp16_overflow 0
		.amdhsa_workgroup_processor_mode 1
		.amdhsa_memory_ordered 1
		.amdhsa_forward_progress 1
		.amdhsa_inst_pref_size 25
		.amdhsa_round_robin_scheduling 0
		.amdhsa_exception_fp_ieee_invalid_op 0
		.amdhsa_exception_fp_denorm_src 0
		.amdhsa_exception_fp_ieee_div_zero 0
		.amdhsa_exception_fp_ieee_overflow 0
		.amdhsa_exception_fp_ieee_underflow 0
		.amdhsa_exception_fp_ieee_inexact 0
		.amdhsa_exception_int_div_zero 0
	.end_amdhsa_kernel
	.section	.text._ZL30rocblas_trsm_small_left_deviceILi8ELi8ELb1E19rocblas_complex_numIdES1_PKPKS1_PKPS1_Ev13rocblas_fill_18rocblas_operation_17rocblas_diagonal_iiT3_T4_lilT5_lili,"axG",@progbits,_ZL30rocblas_trsm_small_left_deviceILi8ELi8ELb1E19rocblas_complex_numIdES1_PKPKS1_PKPS1_Ev13rocblas_fill_18rocblas_operation_17rocblas_diagonal_iiT3_T4_lilT5_lili,comdat
.Lfunc_end207:
	.size	_ZL30rocblas_trsm_small_left_deviceILi8ELi8ELb1E19rocblas_complex_numIdES1_PKPKS1_PKPS1_Ev13rocblas_fill_18rocblas_operation_17rocblas_diagonal_iiT3_T4_lilT5_lili, .Lfunc_end207-_ZL30rocblas_trsm_small_left_deviceILi8ELi8ELb1E19rocblas_complex_numIdES1_PKPKS1_PKPS1_Ev13rocblas_fill_18rocblas_operation_17rocblas_diagonal_iiT3_T4_lilT5_lili
                                        ; -- End function
	.set _ZL30rocblas_trsm_small_left_deviceILi8ELi8ELb1E19rocblas_complex_numIdES1_PKPKS1_PKPS1_Ev13rocblas_fill_18rocblas_operation_17rocblas_diagonal_iiT3_T4_lilT5_lili.num_vgpr, 32
	.set _ZL30rocblas_trsm_small_left_deviceILi8ELi8ELb1E19rocblas_complex_numIdES1_PKPKS1_PKPS1_Ev13rocblas_fill_18rocblas_operation_17rocblas_diagonal_iiT3_T4_lilT5_lili.num_agpr, 0
	.set _ZL30rocblas_trsm_small_left_deviceILi8ELi8ELb1E19rocblas_complex_numIdES1_PKPKS1_PKPS1_Ev13rocblas_fill_18rocblas_operation_17rocblas_diagonal_iiT3_T4_lilT5_lili.numbered_sgpr, 42
	.set _ZL30rocblas_trsm_small_left_deviceILi8ELi8ELb1E19rocblas_complex_numIdES1_PKPKS1_PKPS1_Ev13rocblas_fill_18rocblas_operation_17rocblas_diagonal_iiT3_T4_lilT5_lili.num_named_barrier, 0
	.set _ZL30rocblas_trsm_small_left_deviceILi8ELi8ELb1E19rocblas_complex_numIdES1_PKPKS1_PKPS1_Ev13rocblas_fill_18rocblas_operation_17rocblas_diagonal_iiT3_T4_lilT5_lili.private_seg_size, 0
	.set _ZL30rocblas_trsm_small_left_deviceILi8ELi8ELb1E19rocblas_complex_numIdES1_PKPKS1_PKPS1_Ev13rocblas_fill_18rocblas_operation_17rocblas_diagonal_iiT3_T4_lilT5_lili.uses_vcc, 1
	.set _ZL30rocblas_trsm_small_left_deviceILi8ELi8ELb1E19rocblas_complex_numIdES1_PKPKS1_PKPS1_Ev13rocblas_fill_18rocblas_operation_17rocblas_diagonal_iiT3_T4_lilT5_lili.uses_flat_scratch, 0
	.set _ZL30rocblas_trsm_small_left_deviceILi8ELi8ELb1E19rocblas_complex_numIdES1_PKPKS1_PKPS1_Ev13rocblas_fill_18rocblas_operation_17rocblas_diagonal_iiT3_T4_lilT5_lili.has_dyn_sized_stack, 0
	.set _ZL30rocblas_trsm_small_left_deviceILi8ELi8ELb1E19rocblas_complex_numIdES1_PKPKS1_PKPS1_Ev13rocblas_fill_18rocblas_operation_17rocblas_diagonal_iiT3_T4_lilT5_lili.has_recursion, 0
	.set _ZL30rocblas_trsm_small_left_deviceILi8ELi8ELb1E19rocblas_complex_numIdES1_PKPKS1_PKPS1_Ev13rocblas_fill_18rocblas_operation_17rocblas_diagonal_iiT3_T4_lilT5_lili.has_indirect_call, 0
	.section	.AMDGPU.csdata,"",@progbits
; Kernel info:
; codeLenInByte = 3080
; TotalNumSgprs: 44
; NumVgprs: 32
; ScratchSize: 0
; MemoryBound: 0
; FloatMode: 240
; IeeeMode: 1
; LDSByteSize: 2048 bytes/workgroup (compile time only)
; SGPRBlocks: 0
; VGPRBlocks: 3
; NumSGPRsForWavesPerEU: 44
; NumVGPRsForWavesPerEU: 32
; Occupancy: 16
; WaveLimiterHint : 1
; COMPUTE_PGM_RSRC2:SCRATCH_EN: 0
; COMPUTE_PGM_RSRC2:USER_SGPR: 4
; COMPUTE_PGM_RSRC2:TRAP_HANDLER: 0
; COMPUTE_PGM_RSRC2:TGID_X_EN: 1
; COMPUTE_PGM_RSRC2:TGID_Y_EN: 0
; COMPUTE_PGM_RSRC2:TGID_Z_EN: 1
; COMPUTE_PGM_RSRC2:TIDIG_COMP_CNT: 2
	.section	.text._ZL31rocblas_trsm_small_right_deviceI19rocblas_complex_numIdES1_PKPKS1_PKPS1_Li8EEv13rocblas_fill_18rocblas_operation_17rocblas_diagonal_iiT0_T1_lilT2_lili,"axG",@progbits,_ZL31rocblas_trsm_small_right_deviceI19rocblas_complex_numIdES1_PKPKS1_PKPS1_Li8EEv13rocblas_fill_18rocblas_operation_17rocblas_diagonal_iiT0_T1_lilT2_lili,comdat
	.globl	_ZL31rocblas_trsm_small_right_deviceI19rocblas_complex_numIdES1_PKPKS1_PKPS1_Li8EEv13rocblas_fill_18rocblas_operation_17rocblas_diagonal_iiT0_T1_lilT2_lili ; -- Begin function _ZL31rocblas_trsm_small_right_deviceI19rocblas_complex_numIdES1_PKPKS1_PKPS1_Li8EEv13rocblas_fill_18rocblas_operation_17rocblas_diagonal_iiT0_T1_lilT2_lili
	.p2align	8
	.type	_ZL31rocblas_trsm_small_right_deviceI19rocblas_complex_numIdES1_PKPKS1_PKPS1_Li8EEv13rocblas_fill_18rocblas_operation_17rocblas_diagonal_iiT0_T1_lilT2_lili,@function
_ZL31rocblas_trsm_small_right_deviceI19rocblas_complex_numIdES1_PKPKS1_PKPS1_Li8EEv13rocblas_fill_18rocblas_operation_17rocblas_diagonal_iiT0_T1_lilT2_lili: ; @_ZL31rocblas_trsm_small_right_deviceI19rocblas_complex_numIdES1_PKPKS1_PKPS1_Li8EEv13rocblas_fill_18rocblas_operation_17rocblas_diagonal_iiT0_T1_lilT2_lili
; %bb.0:
	s_load_b32 s26, s[0:1], 0x68
	s_lshr_b32 s2, ttmp7, 16
	s_wait_kmcnt 0x0
	s_cmp_ge_u32 s2, s26
	s_cbranch_scc1 .LBB208_146
; %bb.1:
	s_clause 0x6
	s_load_b32 s22, s[0:1], 0x38
	s_load_b32 s24, s[0:1], 0x58
	s_load_b128 s[16:19], s[0:1], 0x0
	s_load_b32 s27, s[0:1], 0x10
	s_load_b32 s3, s[0:1], 0x70
	s_load_b128 s[12:15], s[0:1], 0x48
	s_load_b256 s[4:11], s[0:1], 0x18
	s_mov_b32 s20, ttmp9
	v_lshlrev_b32_e32 v29, 4, v0
	v_dual_mov_b32 v1, 0 :: v_dual_lshlrev_b32 v2, 7, v0
	s_delay_alu instid0(VALU_DEP_1)
	v_dual_mov_b32 v2, 0x3ff00000 :: v_dual_add_nc_u32 v37, v29, v2
	v_or_b32_e32 v30, 0x400, v29
	s_wait_kmcnt 0x0
	s_ashr_i32 s23, s22, 31
	s_ashr_i32 s25, s24, 31
	s_cmp_lg_u32 s16, 0x7a
	s_cselect_b32 s31, -1, 0
	s_cmp_eq_u32 s17, 0x71
	s_cselect_b32 s0, -1, 0
	s_min_i32 s28, s27, 8
	s_lshl_b32 s1, ttmp9, 3
	s_add_co_i32 s3, s3, -1
	s_add_co_i32 s29, s28, -1
	s_sub_co_i32 s1, s19, s1
	s_cmp_ge_u32 ttmp9, s3
	s_mov_b32 s3, 0
	s_cselect_b32 s1, s1, 8
	s_ashr_i32 s21, ttmp9, 31
	v_cmp_gt_i32_e32 vcc_lo, s1, v0
	s_lshl_b64 s[20:21], s[20:21], 7
	s_cmp_eq_u32 s18, 0x84
	s_cselect_b32 s30, -1, 0
	s_cmp_gt_i32 s27, 0
	s_cselect_b32 s18, -1, 0
	s_cmp_lg_u32 s17, 0x6f
	s_cselect_b32 s17, -1, 0
	s_cmp_lg_u32 s16, 0x79
	s_cselect_b32 s1, -1, 0
	s_or_b32 s31, s31, s17
	s_wait_alu 0xfffe
	s_or_b32 s33, s1, s17
	s_cmp_gt_i32 s27, 3
	v_cndmask_b32_e64 v31, 0, 1, s1
	s_cselect_b32 s34, -1, 0
	s_lshl_b64 s[16:17], s[10:11], 4
	s_lshl_b64 s[14:15], s[14:15], 4
	v_add_co_u32 v3, s16, s16, v29
	s_lshl_b64 s[10:11], s[22:23], 4
	s_wait_alu 0xf1ff
	v_add_co_ci_u32_e64 v32, null, s17, 0, s16
	s_add_nc_u64 s[16:17], s[20:21], s[14:15]
	s_lshl_b32 s23, s28, 7
	v_or_b32_e32 v33, 8, v3
	s_wait_alu 0xfffe
	v_add_co_u32 v3, s16, s16, v29
	v_or_b32_e32 v4, s23, v29
	v_cmp_gt_i32_e64 s1, s28, v0
	s_wait_alu 0xf1ff
	v_add_co_ci_u32_e64 v34, null, s17, 0, s16
	v_or_b32_e32 v35, 8, v3
	v_add_nc_u32_e32 v36, 0x380, v4
	v_lshlrev_b32_e32 v0, 4, v0
	s_and_b32 s35, vcc_lo, s18
	s_mul_i32 s18, s28, 0x90
	s_lshl_b64 s[16:17], s[24:25], 4
	s_lshl_b32 s25, s28, 4
	s_add_co_i32 s22, s18, 0xffffff40
	s_addk_co_i32 s23, 0xff80
	s_add_co_i32 s24, s18, 0xfffffdf0
	s_add_co_i32 s25, s25, -16
	s_branch .LBB208_3
.LBB208_2:                              ;   in Loop: Header=BB208_3 Depth=1
	s_wait_alu 0xfffe
	s_or_b32 exec_lo, exec_lo, s18
	s_add_co_i32 s2, s2, 0x10000
	s_delay_alu instid0(SALU_CYCLE_1)
	s_cmp_lt_u32 s2, s26
	s_cbranch_scc0 .LBB208_146
.LBB208_3:                              ; =>This Loop Header: Depth=1
                                        ;     Child Loop BB208_5 Depth 2
                                        ;     Child Loop BB208_10 Depth 2
	;; [unrolled: 1-line block ×3, first 2 shown]
                                        ;       Child Loop BB208_17 Depth 3
                                        ;     Child Loop BB208_39 Depth 2
                                        ;       Child Loop BB208_40 Depth 3
                                        ;     Child Loop BB208_48 Depth 2
	;; [unrolled: 2-line block ×8, first 2 shown]
	s_lshl_b64 s[18:19], s[2:3], 3
	s_wait_alu 0xfffe
	s_add_nc_u64 s[36:37], s[12:13], s[18:19]
	global_load_b64 v[27:28], v1, s[36:37]
	s_and_saveexec_b32 s36, s1
	s_cbranch_execz .LBB208_8
; %bb.4:                                ;   in Loop: Header=BB208_3 Depth=1
	s_add_nc_u64 s[18:19], s[8:9], s[18:19]
	v_mov_b32_e32 v5, v29
	global_load_b64 v[3:4], v1, s[18:19]
	s_mov_b32 s18, s28
	s_wait_loadcnt 0x0
	v_add_co_u32 v3, vcc_lo, v3, v33
	s_wait_alu 0xfffd
	v_add_co_ci_u32_e64 v4, null, v4, v32, vcc_lo
.LBB208_5:                              ;   Parent Loop BB208_3 Depth=1
                                        ; =>  This Inner Loop Header: Depth=2
	flat_load_b128 v[6:9], v[3:4] offset:-8
	v_add_co_u32 v3, vcc_lo, v3, s10
	s_wait_alu 0xfffd
	v_add_co_ci_u32_e64 v4, null, s11, v4, vcc_lo
	s_wait_alu 0xfffe
	s_add_co_i32 s18, s18, -1
	s_wait_alu 0xfffe
	s_cmp_eq_u32 s18, 0
	s_wait_loadcnt_dscnt 0x0
	v_xor_b32_e32 v10, 0x80000000, v9
	s_delay_alu instid0(VALU_DEP_1)
	v_cndmask_b32_e64 v9, v9, v10, s0
	ds_store_b128 v5, v[6:9]
	v_add_nc_u32_e32 v5, 0x80, v5
	s_cbranch_scc0 .LBB208_5
; %bb.6:                                ;   in Loop: Header=BB208_3 Depth=1
	s_and_b32 vcc_lo, exec_lo, s30
	s_wait_alu 0xfffe
	s_cbranch_vccz .LBB208_8
; %bb.7:                                ;   in Loop: Header=BB208_3 Depth=1
	v_dual_mov_b32 v3, v1 :: v_dual_mov_b32 v4, v1
	ds_store_b128 v37, v[1:4]
.LBB208_8:                              ;   in Loop: Header=BB208_3 Depth=1
	s_wait_alu 0xfffe
	s_or_b32 exec_lo, exec_lo, s36
	s_and_saveexec_b32 s18, s35
	s_cbranch_execz .LBB208_11
; %bb.9:                                ;   in Loop: Header=BB208_3 Depth=1
	s_wait_loadcnt 0x0
	v_add_co_u32 v3, vcc_lo, v27, v35
	s_wait_alu 0xfffd
	v_add_co_ci_u32_e64 v4, null, v28, v34, vcc_lo
	v_mov_b32_e32 v5, v30
	s_mov_b32 s19, s27
.LBB208_10:                             ;   Parent Loop BB208_3 Depth=1
                                        ; =>  This Inner Loop Header: Depth=2
	flat_load_b128 v[6:9], v[3:4] offset:-8
	s_wait_alu 0xfffe
	v_add_co_u32 v3, vcc_lo, v3, s16
	s_wait_alu 0xfffd
	v_add_co_ci_u32_e64 v4, null, s17, v4, vcc_lo
	s_add_co_i32 s19, s19, -1
	s_wait_alu 0xfffe
	s_cmp_lg_u32 s19, 0
	s_wait_loadcnt_dscnt 0x0
	v_mul_f64_e32 v[10:11], s[6:7], v[8:9]
	v_mul_f64_e32 v[12:13], s[4:5], v[8:9]
	s_delay_alu instid0(VALU_DEP_2) | instskip(NEXT) | instid1(VALU_DEP_2)
	v_fma_f64 v[8:9], s[4:5], v[6:7], -v[10:11]
	v_fma_f64 v[10:11], s[6:7], v[6:7], v[12:13]
	ds_store_b128 v5, v[8:11]
	v_add_nc_u32_e32 v5, 0x80, v5
	s_cbranch_scc1 .LBB208_10
.LBB208_11:                             ;   in Loop: Header=BB208_3 Depth=1
	s_wait_alu 0xfffe
	s_or_b32 exec_lo, exec_lo, s18
	s_delay_alu instid0(SALU_CYCLE_1)
	s_and_b32 vcc_lo, exec_lo, s33
	s_mov_b32 s18, -1
	; wave barrier
	s_wait_loadcnt_dscnt 0x0
	global_inv scope:SCOPE_SE
	s_wait_alu 0xfffe
	s_cbranch_vccz .LBB208_111
; %bb.12:                               ;   in Loop: Header=BB208_3 Depth=1
	s_and_b32 vcc_lo, exec_lo, s31
	s_wait_alu 0xfffe
	s_cbranch_vccz .LBB208_78
; %bb.13:                               ;   in Loop: Header=BB208_3 Depth=1
	v_cmp_ne_u32_e32 vcc_lo, 1, v31
	s_cbranch_vccnz .LBB208_46
; %bb.14:                               ;   in Loop: Header=BB208_3 Depth=1
	s_and_not1_b32 vcc_lo, exec_lo, s34
	s_mov_b32 s36, 0
	s_wait_alu 0xfffe
	s_cbranch_vccnz .LBB208_36
; %bb.15:                               ;   in Loop: Header=BB208_3 Depth=1
	s_mov_b32 s18, 0
	s_mov_b32 s19, 0
.LBB208_16:                             ;   Parent Loop BB208_3 Depth=1
                                        ; =>  This Loop Header: Depth=2
                                        ;       Child Loop BB208_17 Depth 3
	s_wait_alu 0xfffe
	s_lshl_b32 s39, s19, 7
	s_or_b32 s38, s19, 1
	s_wait_alu 0xfffe
	v_add_nc_u32_e32 v41, s39, v30
	s_or_b32 s36, s19, 2
	v_lshl_add_u32 v40, s38, 7, v30
	s_or_b32 s37, s39, 0x180
	s_wait_alu 0xfffe
	v_lshl_add_u32 v39, s36, 7, v30
	v_dual_mov_b32 v11, v30 :: v_dual_add_nc_u32 v38, s37, v30
	ds_load_b128 v[19:22], v41
	ds_load_b128 v[15:18], v40
	;; [unrolled: 1-line block ×4, first 2 shown]
	s_cmp_eq_u32 s19, 0
	s_mov_b32 s37, s18
	s_mov_b32 s40, s19
	s_cbranch_scc1 .LBB208_18
.LBB208_17:                             ;   Parent Loop BB208_3 Depth=1
                                        ;     Parent Loop BB208_16 Depth=2
                                        ; =>    This Inner Loop Header: Depth=3
	s_wait_alu 0xfffe
	v_mov_b32_e32 v12, s37
	s_add_co_i32 s40, s40, -1
	s_addk_co_i32 s37, 0x80
	s_wait_alu 0xfffe
	s_cmp_eq_u32 s40, 0
	ds_load_b128 v[23:26], v11
	ds_load_b128 v[42:45], v12
	ds_load_b128 v[46:49], v12 offset:16
	ds_load_b128 v[50:53], v12 offset:32
	;; [unrolled: 1-line block ×3, first 2 shown]
	v_add_nc_u32_e32 v11, 0x80, v11
	s_wait_dscnt 0x3
	v_mul_f64_e32 v[12:13], v[25:26], v[44:45]
	v_mul_f64_e32 v[44:45], v[23:24], v[44:45]
	s_wait_dscnt 0x2
	v_mul_f64_e32 v[58:59], v[25:26], v[48:49]
	v_mul_f64_e32 v[48:49], v[23:24], v[48:49]
	;; [unrolled: 3-line block ×4, first 2 shown]
	v_fma_f64 v[12:13], v[23:24], v[42:43], -v[12:13]
	v_fma_f64 v[42:43], v[25:26], v[42:43], v[44:45]
	v_fma_f64 v[44:45], v[23:24], v[46:47], -v[58:59]
	v_fma_f64 v[46:47], v[25:26], v[46:47], v[48:49]
	;; [unrolled: 2-line block ×4, first 2 shown]
	v_add_f64_e64 v[19:20], v[19:20], -v[12:13]
	v_add_f64_e64 v[21:22], v[21:22], -v[42:43]
	;; [unrolled: 1-line block ×8, first 2 shown]
	s_cbranch_scc0 .LBB208_17
.LBB208_18:                             ;   in Loop: Header=BB208_16 Depth=2
	s_lshl_b32 s37, s19, 4
	s_wait_alu 0xfffe
	s_add_co_i32 s39, s37, s39
	s_wait_alu 0xfffe
	v_mov_b32_e32 v11, s39
	ds_load_b128 v[23:26], v11
                                        ; implicit-def: $vgpr13_vgpr14
	s_wait_dscnt 0x0
	v_cmp_ngt_f64_e64 s40, |v[23:24]|, |v[25:26]|
	s_and_b32 vcc_lo, exec_lo, s40
	s_mov_b32 s40, -1
	s_wait_alu 0xfffe
	s_cbranch_vccz .LBB208_20
; %bb.19:                               ;   in Loop: Header=BB208_16 Depth=2
	v_div_scale_f64 v[11:12], null, v[25:26], v[25:26], v[23:24]
	v_div_scale_f64 v[44:45], vcc_lo, v[23:24], v[25:26], v[23:24]
	s_mov_b32 s40, 0
	v_rcp_f64_e32 v[13:14], v[11:12]
	s_delay_alu instid0(TRANS32_DEP_1) | instskip(NEXT) | instid1(VALU_DEP_1)
	v_fma_f64 v[42:43], -v[11:12], v[13:14], 1.0
	v_fma_f64 v[13:14], v[13:14], v[42:43], v[13:14]
	s_delay_alu instid0(VALU_DEP_1) | instskip(NEXT) | instid1(VALU_DEP_1)
	v_fma_f64 v[42:43], -v[11:12], v[13:14], 1.0
	v_fma_f64 v[13:14], v[13:14], v[42:43], v[13:14]
	s_delay_alu instid0(VALU_DEP_1) | instskip(NEXT) | instid1(VALU_DEP_1)
	v_mul_f64_e32 v[42:43], v[44:45], v[13:14]
	v_fma_f64 v[11:12], -v[11:12], v[42:43], v[44:45]
	s_wait_alu 0xfffd
	s_delay_alu instid0(VALU_DEP_1) | instskip(NEXT) | instid1(VALU_DEP_1)
	v_div_fmas_f64 v[11:12], v[11:12], v[13:14], v[42:43]
	v_div_fixup_f64 v[11:12], v[11:12], v[25:26], v[23:24]
	s_delay_alu instid0(VALU_DEP_1) | instskip(NEXT) | instid1(VALU_DEP_1)
	v_fma_f64 v[13:14], v[23:24], v[11:12], v[25:26]
	v_div_scale_f64 v[42:43], null, v[13:14], v[13:14], 1.0
	v_div_scale_f64 v[48:49], vcc_lo, 1.0, v[13:14], 1.0
	s_delay_alu instid0(VALU_DEP_2) | instskip(NEXT) | instid1(TRANS32_DEP_1)
	v_rcp_f64_e32 v[44:45], v[42:43]
	v_fma_f64 v[46:47], -v[42:43], v[44:45], 1.0
	s_delay_alu instid0(VALU_DEP_1) | instskip(NEXT) | instid1(VALU_DEP_1)
	v_fma_f64 v[44:45], v[44:45], v[46:47], v[44:45]
	v_fma_f64 v[46:47], -v[42:43], v[44:45], 1.0
	s_delay_alu instid0(VALU_DEP_1) | instskip(NEXT) | instid1(VALU_DEP_1)
	v_fma_f64 v[44:45], v[44:45], v[46:47], v[44:45]
	v_mul_f64_e32 v[46:47], v[48:49], v[44:45]
	s_delay_alu instid0(VALU_DEP_1) | instskip(SKIP_1) | instid1(VALU_DEP_1)
	v_fma_f64 v[42:43], -v[42:43], v[46:47], v[48:49]
	s_wait_alu 0xfffd
	v_div_fmas_f64 v[42:43], v[42:43], v[44:45], v[46:47]
	v_fma_f64 v[44:45], v[19:20], v[11:12], v[21:22]
	s_delay_alu instid0(VALU_DEP_2) | instskip(SKIP_1) | instid1(VALU_DEP_2)
	v_div_fixup_f64 v[13:14], v[42:43], v[13:14], 1.0
	v_fma_f64 v[42:43], v[21:22], v[11:12], -v[19:20]
	v_mul_f64_e32 v[11:12], v[44:45], v[13:14]
	s_delay_alu instid0(VALU_DEP_2)
	v_mul_f64_e32 v[13:14], v[42:43], v[13:14]
.LBB208_20:                             ;   in Loop: Header=BB208_16 Depth=2
	s_wait_alu 0xfffe
	s_and_not1_b32 vcc_lo, exec_lo, s40
	s_wait_alu 0xfffe
	s_cbranch_vccnz .LBB208_22
; %bb.21:                               ;   in Loop: Header=BB208_16 Depth=2
	v_div_scale_f64 v[11:12], null, v[23:24], v[23:24], v[25:26]
	v_div_scale_f64 v[44:45], vcc_lo, v[25:26], v[23:24], v[25:26]
	s_delay_alu instid0(VALU_DEP_2) | instskip(NEXT) | instid1(TRANS32_DEP_1)
	v_rcp_f64_e32 v[13:14], v[11:12]
	v_fma_f64 v[42:43], -v[11:12], v[13:14], 1.0
	s_delay_alu instid0(VALU_DEP_1) | instskip(NEXT) | instid1(VALU_DEP_1)
	v_fma_f64 v[13:14], v[13:14], v[42:43], v[13:14]
	v_fma_f64 v[42:43], -v[11:12], v[13:14], 1.0
	s_delay_alu instid0(VALU_DEP_1) | instskip(NEXT) | instid1(VALU_DEP_1)
	v_fma_f64 v[13:14], v[13:14], v[42:43], v[13:14]
	v_mul_f64_e32 v[42:43], v[44:45], v[13:14]
	s_delay_alu instid0(VALU_DEP_1) | instskip(SKIP_1) | instid1(VALU_DEP_1)
	v_fma_f64 v[11:12], -v[11:12], v[42:43], v[44:45]
	s_wait_alu 0xfffd
	v_div_fmas_f64 v[11:12], v[11:12], v[13:14], v[42:43]
	s_delay_alu instid0(VALU_DEP_1) | instskip(NEXT) | instid1(VALU_DEP_1)
	v_div_fixup_f64 v[11:12], v[11:12], v[23:24], v[25:26]
	v_fma_f64 v[13:14], v[25:26], v[11:12], v[23:24]
	s_delay_alu instid0(VALU_DEP_1) | instskip(SKIP_1) | instid1(VALU_DEP_2)
	v_div_scale_f64 v[23:24], null, v[13:14], v[13:14], 1.0
	v_div_scale_f64 v[44:45], vcc_lo, 1.0, v[13:14], 1.0
	v_rcp_f64_e32 v[25:26], v[23:24]
	s_delay_alu instid0(TRANS32_DEP_1) | instskip(NEXT) | instid1(VALU_DEP_1)
	v_fma_f64 v[42:43], -v[23:24], v[25:26], 1.0
	v_fma_f64 v[25:26], v[25:26], v[42:43], v[25:26]
	s_delay_alu instid0(VALU_DEP_1) | instskip(NEXT) | instid1(VALU_DEP_1)
	v_fma_f64 v[42:43], -v[23:24], v[25:26], 1.0
	v_fma_f64 v[25:26], v[25:26], v[42:43], v[25:26]
	s_delay_alu instid0(VALU_DEP_1) | instskip(NEXT) | instid1(VALU_DEP_1)
	v_mul_f64_e32 v[42:43], v[44:45], v[25:26]
	v_fma_f64 v[23:24], -v[23:24], v[42:43], v[44:45]
	s_wait_alu 0xfffd
	s_delay_alu instid0(VALU_DEP_1) | instskip(SKIP_2) | instid1(VALU_DEP_3)
	v_div_fmas_f64 v[23:24], v[23:24], v[25:26], v[42:43]
	v_fma_f64 v[25:26], v[21:22], v[11:12], v[19:20]
	v_fma_f64 v[19:20], -v[19:20], v[11:12], v[21:22]
	v_div_fixup_f64 v[13:14], v[23:24], v[13:14], 1.0
	s_delay_alu instid0(VALU_DEP_1) | instskip(NEXT) | instid1(VALU_DEP_3)
	v_mul_f64_e32 v[11:12], v[25:26], v[13:14]
	v_mul_f64_e32 v[13:14], v[19:20], v[13:14]
.LBB208_22:                             ;   in Loop: Header=BB208_16 Depth=2
	v_mov_b32_e32 v19, s39
	ds_load_b128 v[23:26], v19 offset:16
	ds_load_b128 v[19:22], v19 offset:144
	ds_store_b128 v41, v[11:14]
	s_wait_dscnt 0x2
	v_mul_f64_e32 v[42:43], v[13:14], v[25:26]
	v_mul_f64_e32 v[25:26], v[11:12], v[25:26]
	s_wait_dscnt 0x1
	v_cmp_ngt_f64_e64 s40, |v[19:20]|, |v[21:22]|
	s_delay_alu instid0(VALU_DEP_3) | instskip(NEXT) | instid1(VALU_DEP_3)
	v_fma_f64 v[42:43], v[11:12], v[23:24], -v[42:43]
	v_fma_f64 v[25:26], v[13:14], v[23:24], v[25:26]
	s_and_b32 vcc_lo, exec_lo, s40
	s_mov_b32 s40, -1
	s_delay_alu instid0(VALU_DEP_2) | instskip(NEXT) | instid1(VALU_DEP_2)
	v_add_f64_e64 v[23:24], v[15:16], -v[42:43]
	v_add_f64_e64 v[25:26], v[17:18], -v[25:26]
                                        ; implicit-def: $vgpr17_vgpr18
	s_wait_alu 0xfffe
	s_cbranch_vccz .LBB208_24
; %bb.23:                               ;   in Loop: Header=BB208_16 Depth=2
	v_div_scale_f64 v[15:16], null, v[21:22], v[21:22], v[19:20]
	v_div_scale_f64 v[43:44], vcc_lo, v[19:20], v[21:22], v[19:20]
	s_mov_b32 s40, 0
	v_rcp_f64_e32 v[17:18], v[15:16]
	s_delay_alu instid0(TRANS32_DEP_1) | instskip(NEXT) | instid1(VALU_DEP_1)
	v_fma_f64 v[41:42], -v[15:16], v[17:18], 1.0
	v_fma_f64 v[17:18], v[17:18], v[41:42], v[17:18]
	s_delay_alu instid0(VALU_DEP_1) | instskip(NEXT) | instid1(VALU_DEP_1)
	v_fma_f64 v[41:42], -v[15:16], v[17:18], 1.0
	v_fma_f64 v[17:18], v[17:18], v[41:42], v[17:18]
	s_delay_alu instid0(VALU_DEP_1) | instskip(NEXT) | instid1(VALU_DEP_1)
	v_mul_f64_e32 v[41:42], v[43:44], v[17:18]
	v_fma_f64 v[15:16], -v[15:16], v[41:42], v[43:44]
	s_wait_alu 0xfffd
	s_delay_alu instid0(VALU_DEP_1) | instskip(NEXT) | instid1(VALU_DEP_1)
	v_div_fmas_f64 v[15:16], v[15:16], v[17:18], v[41:42]
	v_div_fixup_f64 v[15:16], v[15:16], v[21:22], v[19:20]
	s_delay_alu instid0(VALU_DEP_1) | instskip(NEXT) | instid1(VALU_DEP_1)
	v_fma_f64 v[17:18], v[19:20], v[15:16], v[21:22]
	v_div_scale_f64 v[41:42], null, v[17:18], v[17:18], 1.0
	v_div_scale_f64 v[47:48], vcc_lo, 1.0, v[17:18], 1.0
	s_delay_alu instid0(VALU_DEP_2) | instskip(NEXT) | instid1(TRANS32_DEP_1)
	v_rcp_f64_e32 v[43:44], v[41:42]
	v_fma_f64 v[45:46], -v[41:42], v[43:44], 1.0
	s_delay_alu instid0(VALU_DEP_1) | instskip(NEXT) | instid1(VALU_DEP_1)
	v_fma_f64 v[43:44], v[43:44], v[45:46], v[43:44]
	v_fma_f64 v[45:46], -v[41:42], v[43:44], 1.0
	s_delay_alu instid0(VALU_DEP_1) | instskip(NEXT) | instid1(VALU_DEP_1)
	v_fma_f64 v[43:44], v[43:44], v[45:46], v[43:44]
	v_mul_f64_e32 v[45:46], v[47:48], v[43:44]
	s_delay_alu instid0(VALU_DEP_1) | instskip(SKIP_1) | instid1(VALU_DEP_1)
	v_fma_f64 v[41:42], -v[41:42], v[45:46], v[47:48]
	s_wait_alu 0xfffd
	v_div_fmas_f64 v[41:42], v[41:42], v[43:44], v[45:46]
	v_fma_f64 v[43:44], v[15:16], v[23:24], v[25:26]
	s_delay_alu instid0(VALU_DEP_2) | instskip(SKIP_1) | instid1(VALU_DEP_2)
	v_div_fixup_f64 v[17:18], v[41:42], v[17:18], 1.0
	v_fma_f64 v[41:42], v[15:16], v[25:26], -v[23:24]
	v_mul_f64_e32 v[15:16], v[43:44], v[17:18]
	s_delay_alu instid0(VALU_DEP_2)
	v_mul_f64_e32 v[17:18], v[41:42], v[17:18]
.LBB208_24:                             ;   in Loop: Header=BB208_16 Depth=2
	s_wait_alu 0xfffe
	s_and_not1_b32 vcc_lo, exec_lo, s40
	s_wait_alu 0xfffe
	s_cbranch_vccnz .LBB208_26
; %bb.25:                               ;   in Loop: Header=BB208_16 Depth=2
	v_div_scale_f64 v[15:16], null, v[19:20], v[19:20], v[21:22]
	v_div_scale_f64 v[43:44], vcc_lo, v[21:22], v[19:20], v[21:22]
	s_delay_alu instid0(VALU_DEP_2) | instskip(NEXT) | instid1(TRANS32_DEP_1)
	v_rcp_f64_e32 v[17:18], v[15:16]
	v_fma_f64 v[41:42], -v[15:16], v[17:18], 1.0
	s_delay_alu instid0(VALU_DEP_1) | instskip(NEXT) | instid1(VALU_DEP_1)
	v_fma_f64 v[17:18], v[17:18], v[41:42], v[17:18]
	v_fma_f64 v[41:42], -v[15:16], v[17:18], 1.0
	s_delay_alu instid0(VALU_DEP_1) | instskip(NEXT) | instid1(VALU_DEP_1)
	v_fma_f64 v[17:18], v[17:18], v[41:42], v[17:18]
	v_mul_f64_e32 v[41:42], v[43:44], v[17:18]
	s_delay_alu instid0(VALU_DEP_1) | instskip(SKIP_1) | instid1(VALU_DEP_1)
	v_fma_f64 v[15:16], -v[15:16], v[41:42], v[43:44]
	s_wait_alu 0xfffd
	v_div_fmas_f64 v[15:16], v[15:16], v[17:18], v[41:42]
	s_delay_alu instid0(VALU_DEP_1) | instskip(NEXT) | instid1(VALU_DEP_1)
	v_div_fixup_f64 v[15:16], v[15:16], v[19:20], v[21:22]
	v_fma_f64 v[17:18], v[21:22], v[15:16], v[19:20]
	s_delay_alu instid0(VALU_DEP_1) | instskip(SKIP_1) | instid1(VALU_DEP_2)
	v_div_scale_f64 v[19:20], null, v[17:18], v[17:18], 1.0
	v_div_scale_f64 v[43:44], vcc_lo, 1.0, v[17:18], 1.0
	v_rcp_f64_e32 v[21:22], v[19:20]
	s_delay_alu instid0(TRANS32_DEP_1) | instskip(NEXT) | instid1(VALU_DEP_1)
	v_fma_f64 v[41:42], -v[19:20], v[21:22], 1.0
	v_fma_f64 v[21:22], v[21:22], v[41:42], v[21:22]
	s_delay_alu instid0(VALU_DEP_1) | instskip(NEXT) | instid1(VALU_DEP_1)
	v_fma_f64 v[41:42], -v[19:20], v[21:22], 1.0
	v_fma_f64 v[21:22], v[21:22], v[41:42], v[21:22]
	s_delay_alu instid0(VALU_DEP_1) | instskip(NEXT) | instid1(VALU_DEP_1)
	v_mul_f64_e32 v[41:42], v[43:44], v[21:22]
	v_fma_f64 v[19:20], -v[19:20], v[41:42], v[43:44]
	s_wait_alu 0xfffd
	s_delay_alu instid0(VALU_DEP_1) | instskip(SKIP_1) | instid1(VALU_DEP_2)
	v_div_fmas_f64 v[19:20], v[19:20], v[21:22], v[41:42]
	v_fma_f64 v[21:22], v[15:16], v[25:26], v[23:24]
	v_div_fixup_f64 v[17:18], v[19:20], v[17:18], 1.0
	v_fma_f64 v[19:20], -v[15:16], v[23:24], v[25:26]
	s_delay_alu instid0(VALU_DEP_2) | instskip(NEXT) | instid1(VALU_DEP_2)
	v_mul_f64_e32 v[15:16], v[21:22], v[17:18]
	v_mul_f64_e32 v[17:18], v[19:20], v[17:18]
.LBB208_26:                             ;   in Loop: Header=BB208_16 Depth=2
	v_mov_b32_e32 v19, s39
	s_add_co_i32 s40, s39, 0x90
	s_lshl_b32 s38, s38, 4
	ds_load_b128 v[23:26], v19 offset:32
	ds_load_b128 v[19:22], v19 offset:288
	s_wait_alu 0xfffe
	s_sub_co_i32 s38, s40, s38
	ds_store_b128 v40, v[15:18]
	s_wait_alu 0xfffe
	s_add_co_i32 s38, s38, s37
	s_wait_alu 0xfffe
	v_mov_b32_e32 v41, s38
	ds_load_b128 v[41:44], v41 offset:32
	s_wait_dscnt 0x3
	v_mul_f64_e32 v[45:46], v[13:14], v[25:26]
	v_mul_f64_e32 v[25:26], v[11:12], v[25:26]
	s_wait_dscnt 0x2
	v_cmp_ngt_f64_e64 s41, |v[19:20]|, |v[21:22]|
	s_wait_dscnt 0x0
	v_mul_f64_e32 v[47:48], v[17:18], v[43:44]
	v_mul_f64_e32 v[43:44], v[15:16], v[43:44]
	v_fma_f64 v[45:46], v[11:12], v[23:24], -v[45:46]
	v_fma_f64 v[23:24], v[13:14], v[23:24], v[25:26]
	s_and_b32 vcc_lo, exec_lo, s41
	s_mov_b32 s41, -1
	s_delay_alu instid0(VALU_DEP_4) | instskip(NEXT) | instid1(VALU_DEP_4)
	v_fma_f64 v[25:26], v[15:16], v[41:42], -v[47:48]
	v_fma_f64 v[41:42], v[17:18], v[41:42], v[43:44]
	s_delay_alu instid0(VALU_DEP_4) | instskip(NEXT) | instid1(VALU_DEP_4)
	v_add_f64_e64 v[7:8], v[7:8], -v[45:46]
	v_add_f64_e64 v[9:10], v[9:10], -v[23:24]
	s_delay_alu instid0(VALU_DEP_2) | instskip(NEXT) | instid1(VALU_DEP_2)
	v_add_f64_e64 v[23:24], v[7:8], -v[25:26]
	v_add_f64_e64 v[25:26], v[9:10], -v[41:42]
                                        ; implicit-def: $vgpr9_vgpr10
	s_wait_alu 0xfffe
	s_cbranch_vccz .LBB208_28
; %bb.27:                               ;   in Loop: Header=BB208_16 Depth=2
	v_div_scale_f64 v[7:8], null, v[21:22], v[21:22], v[19:20]
	v_div_scale_f64 v[42:43], vcc_lo, v[19:20], v[21:22], v[19:20]
	s_mov_b32 s41, 0
	v_rcp_f64_e32 v[9:10], v[7:8]
	s_delay_alu instid0(TRANS32_DEP_1) | instskip(NEXT) | instid1(VALU_DEP_1)
	v_fma_f64 v[40:41], -v[7:8], v[9:10], 1.0
	v_fma_f64 v[9:10], v[9:10], v[40:41], v[9:10]
	s_delay_alu instid0(VALU_DEP_1) | instskip(NEXT) | instid1(VALU_DEP_1)
	v_fma_f64 v[40:41], -v[7:8], v[9:10], 1.0
	v_fma_f64 v[9:10], v[9:10], v[40:41], v[9:10]
	s_delay_alu instid0(VALU_DEP_1) | instskip(NEXT) | instid1(VALU_DEP_1)
	v_mul_f64_e32 v[40:41], v[42:43], v[9:10]
	v_fma_f64 v[7:8], -v[7:8], v[40:41], v[42:43]
	s_wait_alu 0xfffd
	s_delay_alu instid0(VALU_DEP_1) | instskip(NEXT) | instid1(VALU_DEP_1)
	v_div_fmas_f64 v[7:8], v[7:8], v[9:10], v[40:41]
	v_div_fixup_f64 v[7:8], v[7:8], v[21:22], v[19:20]
	s_delay_alu instid0(VALU_DEP_1) | instskip(NEXT) | instid1(VALU_DEP_1)
	v_fma_f64 v[9:10], v[19:20], v[7:8], v[21:22]
	v_div_scale_f64 v[40:41], null, v[9:10], v[9:10], 1.0
	v_div_scale_f64 v[46:47], vcc_lo, 1.0, v[9:10], 1.0
	s_delay_alu instid0(VALU_DEP_2) | instskip(NEXT) | instid1(TRANS32_DEP_1)
	v_rcp_f64_e32 v[42:43], v[40:41]
	v_fma_f64 v[44:45], -v[40:41], v[42:43], 1.0
	s_delay_alu instid0(VALU_DEP_1) | instskip(NEXT) | instid1(VALU_DEP_1)
	v_fma_f64 v[42:43], v[42:43], v[44:45], v[42:43]
	v_fma_f64 v[44:45], -v[40:41], v[42:43], 1.0
	s_delay_alu instid0(VALU_DEP_1) | instskip(NEXT) | instid1(VALU_DEP_1)
	v_fma_f64 v[42:43], v[42:43], v[44:45], v[42:43]
	v_mul_f64_e32 v[44:45], v[46:47], v[42:43]
	s_delay_alu instid0(VALU_DEP_1) | instskip(SKIP_1) | instid1(VALU_DEP_1)
	v_fma_f64 v[40:41], -v[40:41], v[44:45], v[46:47]
	s_wait_alu 0xfffd
	v_div_fmas_f64 v[40:41], v[40:41], v[42:43], v[44:45]
	v_fma_f64 v[42:43], v[7:8], v[23:24], v[25:26]
	s_delay_alu instid0(VALU_DEP_2) | instskip(SKIP_1) | instid1(VALU_DEP_2)
	v_div_fixup_f64 v[9:10], v[40:41], v[9:10], 1.0
	v_fma_f64 v[40:41], v[7:8], v[25:26], -v[23:24]
	v_mul_f64_e32 v[7:8], v[42:43], v[9:10]
	s_delay_alu instid0(VALU_DEP_2)
	v_mul_f64_e32 v[9:10], v[40:41], v[9:10]
.LBB208_28:                             ;   in Loop: Header=BB208_16 Depth=2
	s_wait_alu 0xfffe
	s_and_not1_b32 vcc_lo, exec_lo, s41
	s_wait_alu 0xfffe
	s_cbranch_vccnz .LBB208_30
; %bb.29:                               ;   in Loop: Header=BB208_16 Depth=2
	v_div_scale_f64 v[7:8], null, v[19:20], v[19:20], v[21:22]
	v_div_scale_f64 v[42:43], vcc_lo, v[21:22], v[19:20], v[21:22]
	s_delay_alu instid0(VALU_DEP_2) | instskip(NEXT) | instid1(TRANS32_DEP_1)
	v_rcp_f64_e32 v[9:10], v[7:8]
	v_fma_f64 v[40:41], -v[7:8], v[9:10], 1.0
	s_delay_alu instid0(VALU_DEP_1) | instskip(NEXT) | instid1(VALU_DEP_1)
	v_fma_f64 v[9:10], v[9:10], v[40:41], v[9:10]
	v_fma_f64 v[40:41], -v[7:8], v[9:10], 1.0
	s_delay_alu instid0(VALU_DEP_1) | instskip(NEXT) | instid1(VALU_DEP_1)
	v_fma_f64 v[9:10], v[9:10], v[40:41], v[9:10]
	v_mul_f64_e32 v[40:41], v[42:43], v[9:10]
	s_delay_alu instid0(VALU_DEP_1) | instskip(SKIP_1) | instid1(VALU_DEP_1)
	v_fma_f64 v[7:8], -v[7:8], v[40:41], v[42:43]
	s_wait_alu 0xfffd
	v_div_fmas_f64 v[7:8], v[7:8], v[9:10], v[40:41]
	s_delay_alu instid0(VALU_DEP_1) | instskip(NEXT) | instid1(VALU_DEP_1)
	v_div_fixup_f64 v[7:8], v[7:8], v[19:20], v[21:22]
	v_fma_f64 v[9:10], v[21:22], v[7:8], v[19:20]
	s_delay_alu instid0(VALU_DEP_1) | instskip(SKIP_1) | instid1(VALU_DEP_2)
	v_div_scale_f64 v[19:20], null, v[9:10], v[9:10], 1.0
	v_div_scale_f64 v[42:43], vcc_lo, 1.0, v[9:10], 1.0
	v_rcp_f64_e32 v[21:22], v[19:20]
	s_delay_alu instid0(TRANS32_DEP_1) | instskip(NEXT) | instid1(VALU_DEP_1)
	v_fma_f64 v[40:41], -v[19:20], v[21:22], 1.0
	v_fma_f64 v[21:22], v[21:22], v[40:41], v[21:22]
	s_delay_alu instid0(VALU_DEP_1) | instskip(NEXT) | instid1(VALU_DEP_1)
	v_fma_f64 v[40:41], -v[19:20], v[21:22], 1.0
	v_fma_f64 v[21:22], v[21:22], v[40:41], v[21:22]
	s_delay_alu instid0(VALU_DEP_1) | instskip(NEXT) | instid1(VALU_DEP_1)
	v_mul_f64_e32 v[40:41], v[42:43], v[21:22]
	v_fma_f64 v[19:20], -v[19:20], v[40:41], v[42:43]
	s_wait_alu 0xfffd
	s_delay_alu instid0(VALU_DEP_1) | instskip(SKIP_1) | instid1(VALU_DEP_2)
	v_div_fmas_f64 v[19:20], v[19:20], v[21:22], v[40:41]
	v_fma_f64 v[21:22], v[7:8], v[25:26], v[23:24]
	v_div_fixup_f64 v[9:10], v[19:20], v[9:10], 1.0
	v_fma_f64 v[19:20], -v[7:8], v[23:24], v[25:26]
	s_delay_alu instid0(VALU_DEP_2) | instskip(NEXT) | instid1(VALU_DEP_2)
	v_mul_f64_e32 v[7:8], v[21:22], v[9:10]
	v_mul_f64_e32 v[9:10], v[19:20], v[9:10]
.LBB208_30:                             ;   in Loop: Header=BB208_16 Depth=2
	v_dual_mov_b32 v19, s39 :: v_dual_mov_b32 v40, s38
	s_lshl_b32 s36, s36, 4
	ds_load_b128 v[23:26], v19 offset:48
	ds_load_b128 v[19:22], v19 offset:432
	;; [unrolled: 1-line block ×3, first 2 shown]
	s_wait_alu 0xfffe
	s_sub_co_i32 s36, s40, s36
	ds_store_b128 v39, v[7:10]
	s_wait_alu 0xfffe
	s_add_co_i32 s36, s36, s37
	s_wait_alu 0xfffe
	v_mov_b32_e32 v44, s36
	ds_load_b128 v[44:47], v44 offset:192
	s_wait_dscnt 0x4
	v_mul_f64_e32 v[48:49], v[13:14], v[25:26]
	v_mul_f64_e32 v[25:26], v[11:12], v[25:26]
	s_wait_dscnt 0x2
	v_mul_f64_e32 v[50:51], v[17:18], v[42:43]
	v_mul_f64_e32 v[42:43], v[15:16], v[42:43]
	v_cmp_ngt_f64_e64 s36, |v[19:20]|, |v[21:22]|
	v_fma_f64 v[11:12], v[11:12], v[23:24], -v[48:49]
	v_fma_f64 v[13:14], v[13:14], v[23:24], v[25:26]
	s_wait_dscnt 0x0
	v_mul_f64_e32 v[23:24], v[9:10], v[46:47]
	v_mul_f64_e32 v[25:26], v[7:8], v[46:47]
	v_fma_f64 v[15:16], v[15:16], v[40:41], -v[50:51]
	v_fma_f64 v[17:18], v[17:18], v[40:41], v[42:43]
	s_and_b32 vcc_lo, exec_lo, s36
	s_mov_b32 s36, -1
	v_add_f64_e64 v[3:4], v[3:4], -v[11:12]
	v_add_f64_e64 v[5:6], v[5:6], -v[13:14]
	v_fma_f64 v[11:12], v[7:8], v[44:45], -v[23:24]
	v_fma_f64 v[13:14], v[9:10], v[44:45], v[25:26]
	s_delay_alu instid0(VALU_DEP_4) | instskip(NEXT) | instid1(VALU_DEP_4)
	v_add_f64_e64 v[3:4], v[3:4], -v[15:16]
	v_add_f64_e64 v[5:6], v[5:6], -v[17:18]
	s_delay_alu instid0(VALU_DEP_2) | instskip(NEXT) | instid1(VALU_DEP_2)
	v_add_f64_e64 v[11:12], v[3:4], -v[11:12]
	v_add_f64_e64 v[13:14], v[5:6], -v[13:14]
                                        ; implicit-def: $vgpr5_vgpr6
	s_wait_alu 0xfffe
	s_cbranch_vccz .LBB208_32
; %bb.31:                               ;   in Loop: Header=BB208_16 Depth=2
	v_div_scale_f64 v[3:4], null, v[21:22], v[21:22], v[19:20]
	v_div_scale_f64 v[9:10], vcc_lo, v[19:20], v[21:22], v[19:20]
	s_mov_b32 s36, 0
	v_rcp_f64_e32 v[5:6], v[3:4]
	s_delay_alu instid0(TRANS32_DEP_1) | instskip(NEXT) | instid1(VALU_DEP_1)
	v_fma_f64 v[7:8], -v[3:4], v[5:6], 1.0
	v_fma_f64 v[5:6], v[5:6], v[7:8], v[5:6]
	s_delay_alu instid0(VALU_DEP_1) | instskip(NEXT) | instid1(VALU_DEP_1)
	v_fma_f64 v[7:8], -v[3:4], v[5:6], 1.0
	v_fma_f64 v[5:6], v[5:6], v[7:8], v[5:6]
	s_delay_alu instid0(VALU_DEP_1) | instskip(NEXT) | instid1(VALU_DEP_1)
	v_mul_f64_e32 v[7:8], v[9:10], v[5:6]
	v_fma_f64 v[3:4], -v[3:4], v[7:8], v[9:10]
	s_wait_alu 0xfffd
	s_delay_alu instid0(VALU_DEP_1) | instskip(NEXT) | instid1(VALU_DEP_1)
	v_div_fmas_f64 v[3:4], v[3:4], v[5:6], v[7:8]
	v_div_fixup_f64 v[3:4], v[3:4], v[21:22], v[19:20]
	s_delay_alu instid0(VALU_DEP_1) | instskip(NEXT) | instid1(VALU_DEP_1)
	v_fma_f64 v[5:6], v[19:20], v[3:4], v[21:22]
	v_div_scale_f64 v[7:8], null, v[5:6], v[5:6], 1.0
	v_div_scale_f64 v[17:18], vcc_lo, 1.0, v[5:6], 1.0
	s_delay_alu instid0(VALU_DEP_2) | instskip(NEXT) | instid1(TRANS32_DEP_1)
	v_rcp_f64_e32 v[9:10], v[7:8]
	v_fma_f64 v[15:16], -v[7:8], v[9:10], 1.0
	s_delay_alu instid0(VALU_DEP_1) | instskip(NEXT) | instid1(VALU_DEP_1)
	v_fma_f64 v[9:10], v[9:10], v[15:16], v[9:10]
	v_fma_f64 v[15:16], -v[7:8], v[9:10], 1.0
	s_delay_alu instid0(VALU_DEP_1) | instskip(NEXT) | instid1(VALU_DEP_1)
	v_fma_f64 v[9:10], v[9:10], v[15:16], v[9:10]
	v_mul_f64_e32 v[15:16], v[17:18], v[9:10]
	s_delay_alu instid0(VALU_DEP_1) | instskip(SKIP_1) | instid1(VALU_DEP_1)
	v_fma_f64 v[7:8], -v[7:8], v[15:16], v[17:18]
	s_wait_alu 0xfffd
	v_div_fmas_f64 v[7:8], v[7:8], v[9:10], v[15:16]
	v_fma_f64 v[9:10], v[3:4], v[11:12], v[13:14]
	s_delay_alu instid0(VALU_DEP_2) | instskip(SKIP_1) | instid1(VALU_DEP_2)
	v_div_fixup_f64 v[5:6], v[7:8], v[5:6], 1.0
	v_fma_f64 v[7:8], v[3:4], v[13:14], -v[11:12]
	v_mul_f64_e32 v[3:4], v[9:10], v[5:6]
	s_delay_alu instid0(VALU_DEP_2)
	v_mul_f64_e32 v[5:6], v[7:8], v[5:6]
.LBB208_32:                             ;   in Loop: Header=BB208_16 Depth=2
	s_wait_alu 0xfffe
	s_and_not1_b32 vcc_lo, exec_lo, s36
	s_wait_alu 0xfffe
	s_cbranch_vccnz .LBB208_34
; %bb.33:                               ;   in Loop: Header=BB208_16 Depth=2
	v_div_scale_f64 v[3:4], null, v[19:20], v[19:20], v[21:22]
	v_div_scale_f64 v[9:10], vcc_lo, v[21:22], v[19:20], v[21:22]
	s_delay_alu instid0(VALU_DEP_2) | instskip(NEXT) | instid1(TRANS32_DEP_1)
	v_rcp_f64_e32 v[5:6], v[3:4]
	v_fma_f64 v[7:8], -v[3:4], v[5:6], 1.0
	s_delay_alu instid0(VALU_DEP_1) | instskip(NEXT) | instid1(VALU_DEP_1)
	v_fma_f64 v[5:6], v[5:6], v[7:8], v[5:6]
	v_fma_f64 v[7:8], -v[3:4], v[5:6], 1.0
	s_delay_alu instid0(VALU_DEP_1) | instskip(NEXT) | instid1(VALU_DEP_1)
	v_fma_f64 v[5:6], v[5:6], v[7:8], v[5:6]
	v_mul_f64_e32 v[7:8], v[9:10], v[5:6]
	s_delay_alu instid0(VALU_DEP_1) | instskip(SKIP_1) | instid1(VALU_DEP_1)
	v_fma_f64 v[3:4], -v[3:4], v[7:8], v[9:10]
	s_wait_alu 0xfffd
	v_div_fmas_f64 v[3:4], v[3:4], v[5:6], v[7:8]
	s_delay_alu instid0(VALU_DEP_1) | instskip(NEXT) | instid1(VALU_DEP_1)
	v_div_fixup_f64 v[3:4], v[3:4], v[19:20], v[21:22]
	v_fma_f64 v[5:6], v[21:22], v[3:4], v[19:20]
	s_delay_alu instid0(VALU_DEP_1) | instskip(SKIP_1) | instid1(VALU_DEP_2)
	v_div_scale_f64 v[7:8], null, v[5:6], v[5:6], 1.0
	v_div_scale_f64 v[17:18], vcc_lo, 1.0, v[5:6], 1.0
	v_rcp_f64_e32 v[9:10], v[7:8]
	s_delay_alu instid0(TRANS32_DEP_1) | instskip(NEXT) | instid1(VALU_DEP_1)
	v_fma_f64 v[15:16], -v[7:8], v[9:10], 1.0
	v_fma_f64 v[9:10], v[9:10], v[15:16], v[9:10]
	s_delay_alu instid0(VALU_DEP_1) | instskip(NEXT) | instid1(VALU_DEP_1)
	v_fma_f64 v[15:16], -v[7:8], v[9:10], 1.0
	v_fma_f64 v[9:10], v[9:10], v[15:16], v[9:10]
	s_delay_alu instid0(VALU_DEP_1) | instskip(NEXT) | instid1(VALU_DEP_1)
	v_mul_f64_e32 v[15:16], v[17:18], v[9:10]
	v_fma_f64 v[7:8], -v[7:8], v[15:16], v[17:18]
	s_wait_alu 0xfffd
	s_delay_alu instid0(VALU_DEP_1) | instskip(SKIP_1) | instid1(VALU_DEP_2)
	v_div_fmas_f64 v[7:8], v[7:8], v[9:10], v[15:16]
	v_fma_f64 v[9:10], v[3:4], v[13:14], v[11:12]
	v_div_fixup_f64 v[5:6], v[7:8], v[5:6], 1.0
	v_fma_f64 v[7:8], -v[3:4], v[11:12], v[13:14]
	s_delay_alu instid0(VALU_DEP_2) | instskip(NEXT) | instid1(VALU_DEP_2)
	v_mul_f64_e32 v[3:4], v[9:10], v[5:6]
	v_mul_f64_e32 v[5:6], v[7:8], v[5:6]
.LBB208_34:                             ;   in Loop: Header=BB208_16 Depth=2
	s_add_co_i32 s36, s19, 4
	s_add_co_i32 s19, s19, 7
	s_add_co_i32 s18, s18, 64
	s_wait_alu 0xfffe
	s_cmp_ge_i32 s19, s28
	ds_store_b128 v38, v[3:6]
	s_cbranch_scc1 .LBB208_36
; %bb.35:                               ;   in Loop: Header=BB208_16 Depth=2
	s_mov_b32 s19, s36
	s_branch .LBB208_16
.LBB208_36:                             ;   in Loop: Header=BB208_3 Depth=1
	s_wait_alu 0xfffe
	s_cmp_ge_i32 s36, s28
	s_cbranch_scc1 .LBB208_45
; %bb.37:                               ;   in Loop: Header=BB208_3 Depth=1
	s_lshl_b32 s18, s36, 4
	s_branch .LBB208_39
.LBB208_38:                             ;   in Loop: Header=BB208_39 Depth=2
	s_add_co_i32 s36, s36, 1
	s_add_co_i32 s18, s18, 16
	s_wait_alu 0xfffe
	s_cmp_ge_i32 s36, s28
	ds_store_b128 v15, v[11:14]
	s_cbranch_scc1 .LBB208_45
.LBB208_39:                             ;   Parent Loop BB208_3 Depth=1
                                        ; =>  This Loop Header: Depth=2
                                        ;       Child Loop BB208_40 Depth 3
	s_lshl_b32 s19, s36, 7
	v_mov_b32_e32 v7, v30
	s_wait_alu 0xfffe
	v_add_nc_u32_e32 v15, s19, v30
	s_cmp_eq_u32 s36, 0
	s_mov_b32 s37, s18
	s_mov_b32 s38, s36
	ds_load_b128 v[3:6], v15
	s_cbranch_scc1 .LBB208_41
.LBB208_40:                             ;   Parent Loop BB208_3 Depth=1
                                        ;     Parent Loop BB208_39 Depth=2
                                        ; =>    This Inner Loop Header: Depth=3
	s_wait_alu 0xfffe
	v_mov_b32_e32 v12, s37
	s_add_co_i32 s38, s38, -1
	s_addk_co_i32 s37, 0x80
	s_wait_alu 0xfffe
	s_cmp_eq_u32 s38, 0
	ds_load_b128 v[8:11], v7
	ds_load_b128 v[16:19], v12
	v_add_nc_u32_e32 v7, 0x80, v7
	s_wait_dscnt 0x0
	v_mul_f64_e32 v[12:13], v[18:19], v[10:11]
	v_mul_f64_e32 v[10:11], v[16:17], v[10:11]
	s_delay_alu instid0(VALU_DEP_2) | instskip(NEXT) | instid1(VALU_DEP_2)
	v_fma_f64 v[12:13], v[16:17], v[8:9], -v[12:13]
	v_fma_f64 v[8:9], v[18:19], v[8:9], v[10:11]
	s_delay_alu instid0(VALU_DEP_2) | instskip(NEXT) | instid1(VALU_DEP_2)
	v_add_f64_e64 v[3:4], v[3:4], -v[12:13]
	v_add_f64_e64 v[5:6], v[5:6], -v[8:9]
	s_cbranch_scc0 .LBB208_40
.LBB208_41:                             ;   in Loop: Header=BB208_39 Depth=2
	s_lshl_b32 s37, s36, 4
                                        ; implicit-def: $vgpr11_vgpr12
	s_wait_alu 0xfffe
	s_add_co_i32 s19, s37, s19
	s_wait_alu 0xfffe
	v_mov_b32_e32 v7, s19
	ds_load_b128 v[7:10], v7
	s_wait_dscnt 0x0
	v_cmp_ngt_f64_e64 s19, |v[7:8]|, |v[9:10]|
	s_and_b32 vcc_lo, exec_lo, s19
	s_mov_b32 s19, -1
	s_wait_alu 0xfffe
	s_cbranch_vccz .LBB208_43
; %bb.42:                               ;   in Loop: Header=BB208_39 Depth=2
	v_div_scale_f64 v[11:12], null, v[9:10], v[9:10], v[7:8]
	v_div_scale_f64 v[18:19], vcc_lo, v[7:8], v[9:10], v[7:8]
	s_mov_b32 s19, 0
	v_rcp_f64_e32 v[13:14], v[11:12]
	s_delay_alu instid0(TRANS32_DEP_1) | instskip(NEXT) | instid1(VALU_DEP_1)
	v_fma_f64 v[16:17], -v[11:12], v[13:14], 1.0
	v_fma_f64 v[13:14], v[13:14], v[16:17], v[13:14]
	s_delay_alu instid0(VALU_DEP_1) | instskip(NEXT) | instid1(VALU_DEP_1)
	v_fma_f64 v[16:17], -v[11:12], v[13:14], 1.0
	v_fma_f64 v[13:14], v[13:14], v[16:17], v[13:14]
	s_delay_alu instid0(VALU_DEP_1) | instskip(NEXT) | instid1(VALU_DEP_1)
	v_mul_f64_e32 v[16:17], v[18:19], v[13:14]
	v_fma_f64 v[11:12], -v[11:12], v[16:17], v[18:19]
	s_wait_alu 0xfffd
	s_delay_alu instid0(VALU_DEP_1) | instskip(NEXT) | instid1(VALU_DEP_1)
	v_div_fmas_f64 v[11:12], v[11:12], v[13:14], v[16:17]
	v_div_fixup_f64 v[11:12], v[11:12], v[9:10], v[7:8]
	s_delay_alu instid0(VALU_DEP_1) | instskip(NEXT) | instid1(VALU_DEP_1)
	v_fma_f64 v[13:14], v[7:8], v[11:12], v[9:10]
	v_div_scale_f64 v[16:17], null, v[13:14], v[13:14], 1.0
	v_div_scale_f64 v[22:23], vcc_lo, 1.0, v[13:14], 1.0
	s_delay_alu instid0(VALU_DEP_2) | instskip(NEXT) | instid1(TRANS32_DEP_1)
	v_rcp_f64_e32 v[18:19], v[16:17]
	v_fma_f64 v[20:21], -v[16:17], v[18:19], 1.0
	s_delay_alu instid0(VALU_DEP_1) | instskip(NEXT) | instid1(VALU_DEP_1)
	v_fma_f64 v[18:19], v[18:19], v[20:21], v[18:19]
	v_fma_f64 v[20:21], -v[16:17], v[18:19], 1.0
	s_delay_alu instid0(VALU_DEP_1) | instskip(NEXT) | instid1(VALU_DEP_1)
	v_fma_f64 v[18:19], v[18:19], v[20:21], v[18:19]
	v_mul_f64_e32 v[20:21], v[22:23], v[18:19]
	s_delay_alu instid0(VALU_DEP_1) | instskip(SKIP_1) | instid1(VALU_DEP_1)
	v_fma_f64 v[16:17], -v[16:17], v[20:21], v[22:23]
	s_wait_alu 0xfffd
	v_div_fmas_f64 v[16:17], v[16:17], v[18:19], v[20:21]
	v_fma_f64 v[18:19], v[3:4], v[11:12], v[5:6]
	s_delay_alu instid0(VALU_DEP_2) | instskip(SKIP_1) | instid1(VALU_DEP_2)
	v_div_fixup_f64 v[13:14], v[16:17], v[13:14], 1.0
	v_fma_f64 v[16:17], v[5:6], v[11:12], -v[3:4]
	v_mul_f64_e32 v[11:12], v[18:19], v[13:14]
	s_delay_alu instid0(VALU_DEP_2)
	v_mul_f64_e32 v[13:14], v[16:17], v[13:14]
.LBB208_43:                             ;   in Loop: Header=BB208_39 Depth=2
	s_wait_alu 0xfffe
	s_and_not1_b32 vcc_lo, exec_lo, s19
	s_wait_alu 0xfffe
	s_cbranch_vccnz .LBB208_38
; %bb.44:                               ;   in Loop: Header=BB208_39 Depth=2
	v_div_scale_f64 v[11:12], null, v[7:8], v[7:8], v[9:10]
	v_div_scale_f64 v[18:19], vcc_lo, v[9:10], v[7:8], v[9:10]
	s_delay_alu instid0(VALU_DEP_2) | instskip(NEXT) | instid1(TRANS32_DEP_1)
	v_rcp_f64_e32 v[13:14], v[11:12]
	v_fma_f64 v[16:17], -v[11:12], v[13:14], 1.0
	s_delay_alu instid0(VALU_DEP_1) | instskip(NEXT) | instid1(VALU_DEP_1)
	v_fma_f64 v[13:14], v[13:14], v[16:17], v[13:14]
	v_fma_f64 v[16:17], -v[11:12], v[13:14], 1.0
	s_delay_alu instid0(VALU_DEP_1) | instskip(NEXT) | instid1(VALU_DEP_1)
	v_fma_f64 v[13:14], v[13:14], v[16:17], v[13:14]
	v_mul_f64_e32 v[16:17], v[18:19], v[13:14]
	s_delay_alu instid0(VALU_DEP_1) | instskip(SKIP_1) | instid1(VALU_DEP_1)
	v_fma_f64 v[11:12], -v[11:12], v[16:17], v[18:19]
	s_wait_alu 0xfffd
	v_div_fmas_f64 v[11:12], v[11:12], v[13:14], v[16:17]
	s_delay_alu instid0(VALU_DEP_1) | instskip(NEXT) | instid1(VALU_DEP_1)
	v_div_fixup_f64 v[11:12], v[11:12], v[7:8], v[9:10]
	v_fma_f64 v[7:8], v[9:10], v[11:12], v[7:8]
	s_delay_alu instid0(VALU_DEP_1) | instskip(SKIP_1) | instid1(VALU_DEP_2)
	v_div_scale_f64 v[9:10], null, v[7:8], v[7:8], 1.0
	v_div_scale_f64 v[18:19], vcc_lo, 1.0, v[7:8], 1.0
	v_rcp_f64_e32 v[13:14], v[9:10]
	s_delay_alu instid0(TRANS32_DEP_1) | instskip(NEXT) | instid1(VALU_DEP_1)
	v_fma_f64 v[16:17], -v[9:10], v[13:14], 1.0
	v_fma_f64 v[13:14], v[13:14], v[16:17], v[13:14]
	s_delay_alu instid0(VALU_DEP_1) | instskip(NEXT) | instid1(VALU_DEP_1)
	v_fma_f64 v[16:17], -v[9:10], v[13:14], 1.0
	v_fma_f64 v[13:14], v[13:14], v[16:17], v[13:14]
	s_delay_alu instid0(VALU_DEP_1) | instskip(NEXT) | instid1(VALU_DEP_1)
	v_mul_f64_e32 v[16:17], v[18:19], v[13:14]
	v_fma_f64 v[9:10], -v[9:10], v[16:17], v[18:19]
	s_wait_alu 0xfffd
	s_delay_alu instid0(VALU_DEP_1) | instskip(SKIP_2) | instid1(VALU_DEP_3)
	v_div_fmas_f64 v[9:10], v[9:10], v[13:14], v[16:17]
	v_fma_f64 v[13:14], v[5:6], v[11:12], v[3:4]
	v_fma_f64 v[3:4], -v[3:4], v[11:12], v[5:6]
	v_div_fixup_f64 v[7:8], v[9:10], v[7:8], 1.0
	s_delay_alu instid0(VALU_DEP_1) | instskip(NEXT) | instid1(VALU_DEP_3)
	v_mul_f64_e32 v[11:12], v[13:14], v[7:8]
	v_mul_f64_e32 v[13:14], v[3:4], v[7:8]
	s_branch .LBB208_38
.LBB208_45:                             ;   in Loop: Header=BB208_3 Depth=1
	s_mov_b32 s18, 0
.LBB208_46:                             ;   in Loop: Header=BB208_3 Depth=1
	s_wait_alu 0xfffe
	s_and_b32 vcc_lo, exec_lo, s18
	s_wait_alu 0xfffe
	s_cbranch_vccz .LBB208_77
; %bb.47:                               ;   in Loop: Header=BB208_3 Depth=1
	s_mov_b32 s36, s29
	s_and_not1_b32 vcc_lo, exec_lo, s34
	s_mov_b32 s18, s22
	s_mov_b32 s19, s29
	s_wait_alu 0xfffe
	s_cbranch_vccnz .LBB208_68
.LBB208_48:                             ;   Parent Loop BB208_3 Depth=1
                                        ; =>  This Loop Header: Depth=2
                                        ;       Child Loop BB208_49 Depth 3
	s_wait_alu 0xfffe
	s_add_co_i32 s38, s19, -1
	s_add_co_i32 s36, s19, -3
	v_lshl_add_u32 v41, s19, 7, v30
	s_add_co_i32 s37, s19, -2
	s_wait_alu 0xfffe
	v_lshl_add_u32 v40, s38, 7, v30
	s_lshl_b32 s39, s36, 7
	v_lshl_add_u32 v39, s37, 7, v30
	s_wait_alu 0xfffe
	v_dual_mov_b32 v11, v36 :: v_dual_add_nc_u32 v38, s39, v30
	ds_load_b128 v[19:22], v41
	ds_load_b128 v[15:18], v40
	;; [unrolled: 1-line block ×4, first 2 shown]
	s_cmp_le_i32 s29, s19
	s_mov_b32 s39, s18
	s_mov_b32 s40, s29
	s_cbranch_scc1 .LBB208_50
.LBB208_49:                             ;   Parent Loop BB208_3 Depth=1
                                        ;     Parent Loop BB208_48 Depth=2
                                        ; =>    This Inner Loop Header: Depth=3
	s_wait_alu 0xfffe
	v_mov_b32_e32 v12, s39
	s_add_co_i32 s40, s40, -1
	s_addk_co_i32 s39, 0xff80
	s_wait_alu 0xfffe
	s_cmp_le_i32 s40, s19
	ds_load_b128 v[23:26], v11
	ds_load_b128 v[42:45], v12 offset:48
	ds_load_b128 v[46:49], v12 offset:32
	;; [unrolled: 1-line block ×3, first 2 shown]
	ds_load_b128 v[54:57], v12
	v_add_nc_u32_e32 v11, 0xffffff80, v11
	s_wait_dscnt 0x3
	v_mul_f64_e32 v[12:13], v[25:26], v[44:45]
	v_mul_f64_e32 v[44:45], v[23:24], v[44:45]
	s_wait_dscnt 0x2
	v_mul_f64_e32 v[58:59], v[25:26], v[48:49]
	v_mul_f64_e32 v[48:49], v[23:24], v[48:49]
	;; [unrolled: 3-line block ×4, first 2 shown]
	v_fma_f64 v[12:13], v[23:24], v[42:43], -v[12:13]
	v_fma_f64 v[42:43], v[25:26], v[42:43], v[44:45]
	v_fma_f64 v[44:45], v[23:24], v[46:47], -v[58:59]
	v_fma_f64 v[46:47], v[25:26], v[46:47], v[48:49]
	;; [unrolled: 2-line block ×4, first 2 shown]
	v_add_f64_e64 v[19:20], v[19:20], -v[12:13]
	v_add_f64_e64 v[21:22], v[21:22], -v[42:43]
	;; [unrolled: 1-line block ×8, first 2 shown]
	s_cbranch_scc0 .LBB208_49
.LBB208_50:                             ;   in Loop: Header=BB208_48 Depth=2
	s_lshl_b32 s40, s19, 4
	s_lshl_b32 s39, s19, 7
	s_wait_alu 0xfffe
	s_add_co_i32 s39, s40, s39
	s_wait_alu 0xfffe
	v_mov_b32_e32 v11, s39
	ds_load_b128 v[23:26], v11
                                        ; implicit-def: $vgpr13_vgpr14
	s_wait_dscnt 0x0
	v_cmp_ngt_f64_e64 s41, |v[23:24]|, |v[25:26]|
	s_and_b32 vcc_lo, exec_lo, s41
	s_mov_b32 s41, -1
	s_wait_alu 0xfffe
	s_cbranch_vccz .LBB208_52
; %bb.51:                               ;   in Loop: Header=BB208_48 Depth=2
	v_div_scale_f64 v[11:12], null, v[25:26], v[25:26], v[23:24]
	v_div_scale_f64 v[44:45], vcc_lo, v[23:24], v[25:26], v[23:24]
	s_mov_b32 s41, 0
	v_rcp_f64_e32 v[13:14], v[11:12]
	s_delay_alu instid0(TRANS32_DEP_1) | instskip(NEXT) | instid1(VALU_DEP_1)
	v_fma_f64 v[42:43], -v[11:12], v[13:14], 1.0
	v_fma_f64 v[13:14], v[13:14], v[42:43], v[13:14]
	s_delay_alu instid0(VALU_DEP_1) | instskip(NEXT) | instid1(VALU_DEP_1)
	v_fma_f64 v[42:43], -v[11:12], v[13:14], 1.0
	v_fma_f64 v[13:14], v[13:14], v[42:43], v[13:14]
	s_delay_alu instid0(VALU_DEP_1) | instskip(NEXT) | instid1(VALU_DEP_1)
	v_mul_f64_e32 v[42:43], v[44:45], v[13:14]
	v_fma_f64 v[11:12], -v[11:12], v[42:43], v[44:45]
	s_wait_alu 0xfffd
	s_delay_alu instid0(VALU_DEP_1) | instskip(NEXT) | instid1(VALU_DEP_1)
	v_div_fmas_f64 v[11:12], v[11:12], v[13:14], v[42:43]
	v_div_fixup_f64 v[11:12], v[11:12], v[25:26], v[23:24]
	s_delay_alu instid0(VALU_DEP_1) | instskip(NEXT) | instid1(VALU_DEP_1)
	v_fma_f64 v[13:14], v[23:24], v[11:12], v[25:26]
	v_div_scale_f64 v[42:43], null, v[13:14], v[13:14], 1.0
	v_div_scale_f64 v[48:49], vcc_lo, 1.0, v[13:14], 1.0
	s_delay_alu instid0(VALU_DEP_2) | instskip(NEXT) | instid1(TRANS32_DEP_1)
	v_rcp_f64_e32 v[44:45], v[42:43]
	v_fma_f64 v[46:47], -v[42:43], v[44:45], 1.0
	s_delay_alu instid0(VALU_DEP_1) | instskip(NEXT) | instid1(VALU_DEP_1)
	v_fma_f64 v[44:45], v[44:45], v[46:47], v[44:45]
	v_fma_f64 v[46:47], -v[42:43], v[44:45], 1.0
	s_delay_alu instid0(VALU_DEP_1) | instskip(NEXT) | instid1(VALU_DEP_1)
	v_fma_f64 v[44:45], v[44:45], v[46:47], v[44:45]
	v_mul_f64_e32 v[46:47], v[48:49], v[44:45]
	s_delay_alu instid0(VALU_DEP_1) | instskip(SKIP_1) | instid1(VALU_DEP_1)
	v_fma_f64 v[42:43], -v[42:43], v[46:47], v[48:49]
	s_wait_alu 0xfffd
	v_div_fmas_f64 v[42:43], v[42:43], v[44:45], v[46:47]
	v_fma_f64 v[44:45], v[19:20], v[11:12], v[21:22]
	s_delay_alu instid0(VALU_DEP_2) | instskip(SKIP_1) | instid1(VALU_DEP_2)
	v_div_fixup_f64 v[13:14], v[42:43], v[13:14], 1.0
	v_fma_f64 v[42:43], v[21:22], v[11:12], -v[19:20]
	v_mul_f64_e32 v[11:12], v[44:45], v[13:14]
	s_delay_alu instid0(VALU_DEP_2)
	v_mul_f64_e32 v[13:14], v[42:43], v[13:14]
.LBB208_52:                             ;   in Loop: Header=BB208_48 Depth=2
	s_wait_alu 0xfffe
	s_and_not1_b32 vcc_lo, exec_lo, s41
	s_wait_alu 0xfffe
	s_cbranch_vccnz .LBB208_54
; %bb.53:                               ;   in Loop: Header=BB208_48 Depth=2
	v_div_scale_f64 v[11:12], null, v[23:24], v[23:24], v[25:26]
	v_div_scale_f64 v[44:45], vcc_lo, v[25:26], v[23:24], v[25:26]
	s_delay_alu instid0(VALU_DEP_2) | instskip(NEXT) | instid1(TRANS32_DEP_1)
	v_rcp_f64_e32 v[13:14], v[11:12]
	v_fma_f64 v[42:43], -v[11:12], v[13:14], 1.0
	s_delay_alu instid0(VALU_DEP_1) | instskip(NEXT) | instid1(VALU_DEP_1)
	v_fma_f64 v[13:14], v[13:14], v[42:43], v[13:14]
	v_fma_f64 v[42:43], -v[11:12], v[13:14], 1.0
	s_delay_alu instid0(VALU_DEP_1) | instskip(NEXT) | instid1(VALU_DEP_1)
	v_fma_f64 v[13:14], v[13:14], v[42:43], v[13:14]
	v_mul_f64_e32 v[42:43], v[44:45], v[13:14]
	s_delay_alu instid0(VALU_DEP_1) | instskip(SKIP_1) | instid1(VALU_DEP_1)
	v_fma_f64 v[11:12], -v[11:12], v[42:43], v[44:45]
	s_wait_alu 0xfffd
	v_div_fmas_f64 v[11:12], v[11:12], v[13:14], v[42:43]
	s_delay_alu instid0(VALU_DEP_1) | instskip(NEXT) | instid1(VALU_DEP_1)
	v_div_fixup_f64 v[11:12], v[11:12], v[23:24], v[25:26]
	v_fma_f64 v[13:14], v[25:26], v[11:12], v[23:24]
	s_delay_alu instid0(VALU_DEP_1) | instskip(SKIP_1) | instid1(VALU_DEP_2)
	v_div_scale_f64 v[23:24], null, v[13:14], v[13:14], 1.0
	v_div_scale_f64 v[44:45], vcc_lo, 1.0, v[13:14], 1.0
	v_rcp_f64_e32 v[25:26], v[23:24]
	s_delay_alu instid0(TRANS32_DEP_1) | instskip(NEXT) | instid1(VALU_DEP_1)
	v_fma_f64 v[42:43], -v[23:24], v[25:26], 1.0
	v_fma_f64 v[25:26], v[25:26], v[42:43], v[25:26]
	s_delay_alu instid0(VALU_DEP_1) | instskip(NEXT) | instid1(VALU_DEP_1)
	v_fma_f64 v[42:43], -v[23:24], v[25:26], 1.0
	v_fma_f64 v[25:26], v[25:26], v[42:43], v[25:26]
	s_delay_alu instid0(VALU_DEP_1) | instskip(NEXT) | instid1(VALU_DEP_1)
	v_mul_f64_e32 v[42:43], v[44:45], v[25:26]
	v_fma_f64 v[23:24], -v[23:24], v[42:43], v[44:45]
	s_wait_alu 0xfffd
	s_delay_alu instid0(VALU_DEP_1) | instskip(SKIP_2) | instid1(VALU_DEP_3)
	v_div_fmas_f64 v[23:24], v[23:24], v[25:26], v[42:43]
	v_fma_f64 v[25:26], v[21:22], v[11:12], v[19:20]
	v_fma_f64 v[19:20], -v[19:20], v[11:12], v[21:22]
	v_div_fixup_f64 v[13:14], v[23:24], v[13:14], 1.0
	s_delay_alu instid0(VALU_DEP_1) | instskip(NEXT) | instid1(VALU_DEP_3)
	v_mul_f64_e32 v[11:12], v[25:26], v[13:14]
	v_mul_f64_e32 v[13:14], v[19:20], v[13:14]
.LBB208_54:                             ;   in Loop: Header=BB208_48 Depth=2
	s_add_co_i32 s41, s39, -16
	ds_store_b128 v41, v[11:14]
	s_wait_alu 0xfffe
	v_mov_b32_e32 v19, s41
	s_lshl_b32 s41, s38, 7
	s_wait_alu 0xfffe
	s_add_co_i32 s41, s40, s41
	s_wait_alu 0xfffe
	s_add_co_i32 s41, s41, -16
	ds_load_b128 v[23:26], v19
	s_wait_alu 0xfffe
	v_mov_b32_e32 v19, s41
	ds_load_b128 v[19:22], v19
	s_wait_dscnt 0x1
	v_mul_f64_e32 v[42:43], v[13:14], v[25:26]
	v_mul_f64_e32 v[25:26], v[11:12], v[25:26]
	s_wait_dscnt 0x0
	v_cmp_ngt_f64_e64 s42, |v[19:20]|, |v[21:22]|
	s_delay_alu instid0(VALU_DEP_3) | instskip(NEXT) | instid1(VALU_DEP_3)
	v_fma_f64 v[42:43], v[11:12], v[23:24], -v[42:43]
	v_fma_f64 v[25:26], v[13:14], v[23:24], v[25:26]
	s_and_b32 vcc_lo, exec_lo, s42
	s_mov_b32 s42, -1
	s_delay_alu instid0(VALU_DEP_2) | instskip(NEXT) | instid1(VALU_DEP_2)
	v_add_f64_e64 v[23:24], v[15:16], -v[42:43]
	v_add_f64_e64 v[25:26], v[17:18], -v[25:26]
                                        ; implicit-def: $vgpr17_vgpr18
	s_wait_alu 0xfffe
	s_cbranch_vccz .LBB208_56
; %bb.55:                               ;   in Loop: Header=BB208_48 Depth=2
	v_div_scale_f64 v[15:16], null, v[21:22], v[21:22], v[19:20]
	v_div_scale_f64 v[43:44], vcc_lo, v[19:20], v[21:22], v[19:20]
	s_mov_b32 s42, 0
	v_rcp_f64_e32 v[17:18], v[15:16]
	s_delay_alu instid0(TRANS32_DEP_1) | instskip(NEXT) | instid1(VALU_DEP_1)
	v_fma_f64 v[41:42], -v[15:16], v[17:18], 1.0
	v_fma_f64 v[17:18], v[17:18], v[41:42], v[17:18]
	s_delay_alu instid0(VALU_DEP_1) | instskip(NEXT) | instid1(VALU_DEP_1)
	v_fma_f64 v[41:42], -v[15:16], v[17:18], 1.0
	v_fma_f64 v[17:18], v[17:18], v[41:42], v[17:18]
	s_delay_alu instid0(VALU_DEP_1) | instskip(NEXT) | instid1(VALU_DEP_1)
	v_mul_f64_e32 v[41:42], v[43:44], v[17:18]
	v_fma_f64 v[15:16], -v[15:16], v[41:42], v[43:44]
	s_wait_alu 0xfffd
	s_delay_alu instid0(VALU_DEP_1) | instskip(NEXT) | instid1(VALU_DEP_1)
	v_div_fmas_f64 v[15:16], v[15:16], v[17:18], v[41:42]
	v_div_fixup_f64 v[15:16], v[15:16], v[21:22], v[19:20]
	s_delay_alu instid0(VALU_DEP_1) | instskip(NEXT) | instid1(VALU_DEP_1)
	v_fma_f64 v[17:18], v[19:20], v[15:16], v[21:22]
	v_div_scale_f64 v[41:42], null, v[17:18], v[17:18], 1.0
	v_div_scale_f64 v[47:48], vcc_lo, 1.0, v[17:18], 1.0
	s_delay_alu instid0(VALU_DEP_2) | instskip(NEXT) | instid1(TRANS32_DEP_1)
	v_rcp_f64_e32 v[43:44], v[41:42]
	v_fma_f64 v[45:46], -v[41:42], v[43:44], 1.0
	s_delay_alu instid0(VALU_DEP_1) | instskip(NEXT) | instid1(VALU_DEP_1)
	v_fma_f64 v[43:44], v[43:44], v[45:46], v[43:44]
	v_fma_f64 v[45:46], -v[41:42], v[43:44], 1.0
	s_delay_alu instid0(VALU_DEP_1) | instskip(NEXT) | instid1(VALU_DEP_1)
	v_fma_f64 v[43:44], v[43:44], v[45:46], v[43:44]
	v_mul_f64_e32 v[45:46], v[47:48], v[43:44]
	s_delay_alu instid0(VALU_DEP_1) | instskip(SKIP_1) | instid1(VALU_DEP_1)
	v_fma_f64 v[41:42], -v[41:42], v[45:46], v[47:48]
	s_wait_alu 0xfffd
	v_div_fmas_f64 v[41:42], v[41:42], v[43:44], v[45:46]
	v_fma_f64 v[43:44], v[15:16], v[23:24], v[25:26]
	s_delay_alu instid0(VALU_DEP_2) | instskip(SKIP_1) | instid1(VALU_DEP_2)
	v_div_fixup_f64 v[17:18], v[41:42], v[17:18], 1.0
	v_fma_f64 v[41:42], v[15:16], v[25:26], -v[23:24]
	v_mul_f64_e32 v[15:16], v[43:44], v[17:18]
	s_delay_alu instid0(VALU_DEP_2)
	v_mul_f64_e32 v[17:18], v[41:42], v[17:18]
.LBB208_56:                             ;   in Loop: Header=BB208_48 Depth=2
	s_wait_alu 0xfffe
	s_and_not1_b32 vcc_lo, exec_lo, s42
	s_wait_alu 0xfffe
	s_cbranch_vccnz .LBB208_58
; %bb.57:                               ;   in Loop: Header=BB208_48 Depth=2
	v_div_scale_f64 v[15:16], null, v[19:20], v[19:20], v[21:22]
	v_div_scale_f64 v[43:44], vcc_lo, v[21:22], v[19:20], v[21:22]
	s_delay_alu instid0(VALU_DEP_2) | instskip(NEXT) | instid1(TRANS32_DEP_1)
	v_rcp_f64_e32 v[17:18], v[15:16]
	v_fma_f64 v[41:42], -v[15:16], v[17:18], 1.0
	s_delay_alu instid0(VALU_DEP_1) | instskip(NEXT) | instid1(VALU_DEP_1)
	v_fma_f64 v[17:18], v[17:18], v[41:42], v[17:18]
	v_fma_f64 v[41:42], -v[15:16], v[17:18], 1.0
	s_delay_alu instid0(VALU_DEP_1) | instskip(NEXT) | instid1(VALU_DEP_1)
	v_fma_f64 v[17:18], v[17:18], v[41:42], v[17:18]
	v_mul_f64_e32 v[41:42], v[43:44], v[17:18]
	s_delay_alu instid0(VALU_DEP_1) | instskip(SKIP_1) | instid1(VALU_DEP_1)
	v_fma_f64 v[15:16], -v[15:16], v[41:42], v[43:44]
	s_wait_alu 0xfffd
	v_div_fmas_f64 v[15:16], v[15:16], v[17:18], v[41:42]
	s_delay_alu instid0(VALU_DEP_1) | instskip(NEXT) | instid1(VALU_DEP_1)
	v_div_fixup_f64 v[15:16], v[15:16], v[19:20], v[21:22]
	v_fma_f64 v[17:18], v[21:22], v[15:16], v[19:20]
	s_delay_alu instid0(VALU_DEP_1) | instskip(SKIP_1) | instid1(VALU_DEP_2)
	v_div_scale_f64 v[19:20], null, v[17:18], v[17:18], 1.0
	v_div_scale_f64 v[43:44], vcc_lo, 1.0, v[17:18], 1.0
	v_rcp_f64_e32 v[21:22], v[19:20]
	s_delay_alu instid0(TRANS32_DEP_1) | instskip(NEXT) | instid1(VALU_DEP_1)
	v_fma_f64 v[41:42], -v[19:20], v[21:22], 1.0
	v_fma_f64 v[21:22], v[21:22], v[41:42], v[21:22]
	s_delay_alu instid0(VALU_DEP_1) | instskip(NEXT) | instid1(VALU_DEP_1)
	v_fma_f64 v[41:42], -v[19:20], v[21:22], 1.0
	v_fma_f64 v[21:22], v[21:22], v[41:42], v[21:22]
	s_delay_alu instid0(VALU_DEP_1) | instskip(NEXT) | instid1(VALU_DEP_1)
	v_mul_f64_e32 v[41:42], v[43:44], v[21:22]
	v_fma_f64 v[19:20], -v[19:20], v[41:42], v[43:44]
	s_wait_alu 0xfffd
	s_delay_alu instid0(VALU_DEP_1) | instskip(SKIP_1) | instid1(VALU_DEP_2)
	v_div_fmas_f64 v[19:20], v[19:20], v[21:22], v[41:42]
	v_fma_f64 v[21:22], v[15:16], v[25:26], v[23:24]
	v_div_fixup_f64 v[17:18], v[19:20], v[17:18], 1.0
	v_fma_f64 v[19:20], -v[15:16], v[23:24], v[25:26]
	s_delay_alu instid0(VALU_DEP_2) | instskip(NEXT) | instid1(VALU_DEP_2)
	v_mul_f64_e32 v[15:16], v[21:22], v[17:18]
	v_mul_f64_e32 v[17:18], v[19:20], v[17:18]
.LBB208_58:                             ;   in Loop: Header=BB208_48 Depth=2
	s_sub_co_i32 s42, s39, 32
	ds_store_b128 v40, v[15:18]
	s_wait_alu 0xfffe
	v_mov_b32_e32 v19, s42
	s_lshl_b32 s42, s38, 4
	s_lshl_b32 s38, s37, 4
	s_wait_alu 0xfffe
	s_sub_co_i32 s41, s41, s42
	s_lshl_b32 s37, s37, 7
	ds_load_b128 v[19:22], v19
	s_wait_alu 0xfffe
	s_add_co_i32 s42, s41, s38
	s_add_co_i32 s40, s40, s37
	s_wait_alu 0xfffe
	v_mov_b32_e32 v23, s42
	s_sub_co_i32 s37, s40, 32
	ds_load_b128 v[23:26], v23
	s_wait_dscnt 0x1
	v_mul_f64_e32 v[41:42], v[13:14], v[21:22]
	v_mul_f64_e32 v[21:22], v[11:12], v[21:22]
	s_wait_dscnt 0x0
	v_mul_f64_e32 v[43:44], v[17:18], v[25:26]
	v_mul_f64_e32 v[25:26], v[15:16], v[25:26]
	s_delay_alu instid0(VALU_DEP_4) | instskip(NEXT) | instid1(VALU_DEP_4)
	v_fma_f64 v[41:42], v[11:12], v[19:20], -v[41:42]
	v_fma_f64 v[19:20], v[13:14], v[19:20], v[21:22]
	s_delay_alu instid0(VALU_DEP_4) | instskip(NEXT) | instid1(VALU_DEP_4)
	v_fma_f64 v[43:44], v[15:16], v[23:24], -v[43:44]
	v_fma_f64 v[25:26], v[17:18], v[23:24], v[25:26]
	s_delay_alu instid0(VALU_DEP_4) | instskip(NEXT) | instid1(VALU_DEP_4)
	v_add_f64_e64 v[7:8], v[7:8], -v[41:42]
	v_add_f64_e64 v[9:10], v[9:10], -v[19:20]
	s_wait_alu 0xfffe
	v_mov_b32_e32 v19, s37
	ds_load_b128 v[19:22], v19
	s_wait_dscnt 0x0
	v_cmp_ngt_f64_e64 s40, |v[19:20]|, |v[21:22]|
	v_add_f64_e64 v[23:24], v[7:8], -v[43:44]
	v_add_f64_e64 v[25:26], v[9:10], -v[25:26]
                                        ; implicit-def: $vgpr9_vgpr10
	s_and_b32 vcc_lo, exec_lo, s40
	s_mov_b32 s40, -1
	s_wait_alu 0xfffe
	s_cbranch_vccz .LBB208_60
; %bb.59:                               ;   in Loop: Header=BB208_48 Depth=2
	v_div_scale_f64 v[7:8], null, v[21:22], v[21:22], v[19:20]
	v_div_scale_f64 v[42:43], vcc_lo, v[19:20], v[21:22], v[19:20]
	s_mov_b32 s40, 0
	v_rcp_f64_e32 v[9:10], v[7:8]
	s_delay_alu instid0(TRANS32_DEP_1) | instskip(NEXT) | instid1(VALU_DEP_1)
	v_fma_f64 v[40:41], -v[7:8], v[9:10], 1.0
	v_fma_f64 v[9:10], v[9:10], v[40:41], v[9:10]
	s_delay_alu instid0(VALU_DEP_1) | instskip(NEXT) | instid1(VALU_DEP_1)
	v_fma_f64 v[40:41], -v[7:8], v[9:10], 1.0
	v_fma_f64 v[9:10], v[9:10], v[40:41], v[9:10]
	s_delay_alu instid0(VALU_DEP_1) | instskip(NEXT) | instid1(VALU_DEP_1)
	v_mul_f64_e32 v[40:41], v[42:43], v[9:10]
	v_fma_f64 v[7:8], -v[7:8], v[40:41], v[42:43]
	s_wait_alu 0xfffd
	s_delay_alu instid0(VALU_DEP_1) | instskip(NEXT) | instid1(VALU_DEP_1)
	v_div_fmas_f64 v[7:8], v[7:8], v[9:10], v[40:41]
	v_div_fixup_f64 v[7:8], v[7:8], v[21:22], v[19:20]
	s_delay_alu instid0(VALU_DEP_1) | instskip(NEXT) | instid1(VALU_DEP_1)
	v_fma_f64 v[9:10], v[19:20], v[7:8], v[21:22]
	v_div_scale_f64 v[40:41], null, v[9:10], v[9:10], 1.0
	v_div_scale_f64 v[46:47], vcc_lo, 1.0, v[9:10], 1.0
	s_delay_alu instid0(VALU_DEP_2) | instskip(NEXT) | instid1(TRANS32_DEP_1)
	v_rcp_f64_e32 v[42:43], v[40:41]
	v_fma_f64 v[44:45], -v[40:41], v[42:43], 1.0
	s_delay_alu instid0(VALU_DEP_1) | instskip(NEXT) | instid1(VALU_DEP_1)
	v_fma_f64 v[42:43], v[42:43], v[44:45], v[42:43]
	v_fma_f64 v[44:45], -v[40:41], v[42:43], 1.0
	s_delay_alu instid0(VALU_DEP_1) | instskip(NEXT) | instid1(VALU_DEP_1)
	v_fma_f64 v[42:43], v[42:43], v[44:45], v[42:43]
	v_mul_f64_e32 v[44:45], v[46:47], v[42:43]
	s_delay_alu instid0(VALU_DEP_1) | instskip(SKIP_1) | instid1(VALU_DEP_1)
	v_fma_f64 v[40:41], -v[40:41], v[44:45], v[46:47]
	s_wait_alu 0xfffd
	v_div_fmas_f64 v[40:41], v[40:41], v[42:43], v[44:45]
	v_fma_f64 v[42:43], v[7:8], v[23:24], v[25:26]
	s_delay_alu instid0(VALU_DEP_2) | instskip(SKIP_1) | instid1(VALU_DEP_2)
	v_div_fixup_f64 v[9:10], v[40:41], v[9:10], 1.0
	v_fma_f64 v[40:41], v[7:8], v[25:26], -v[23:24]
	v_mul_f64_e32 v[7:8], v[42:43], v[9:10]
	s_delay_alu instid0(VALU_DEP_2)
	v_mul_f64_e32 v[9:10], v[40:41], v[9:10]
.LBB208_60:                             ;   in Loop: Header=BB208_48 Depth=2
	s_wait_alu 0xfffe
	s_and_not1_b32 vcc_lo, exec_lo, s40
	s_wait_alu 0xfffe
	s_cbranch_vccnz .LBB208_62
; %bb.61:                               ;   in Loop: Header=BB208_48 Depth=2
	v_div_scale_f64 v[7:8], null, v[19:20], v[19:20], v[21:22]
	v_div_scale_f64 v[42:43], vcc_lo, v[21:22], v[19:20], v[21:22]
	s_delay_alu instid0(VALU_DEP_2) | instskip(NEXT) | instid1(TRANS32_DEP_1)
	v_rcp_f64_e32 v[9:10], v[7:8]
	v_fma_f64 v[40:41], -v[7:8], v[9:10], 1.0
	s_delay_alu instid0(VALU_DEP_1) | instskip(NEXT) | instid1(VALU_DEP_1)
	v_fma_f64 v[9:10], v[9:10], v[40:41], v[9:10]
	v_fma_f64 v[40:41], -v[7:8], v[9:10], 1.0
	s_delay_alu instid0(VALU_DEP_1) | instskip(NEXT) | instid1(VALU_DEP_1)
	v_fma_f64 v[9:10], v[9:10], v[40:41], v[9:10]
	v_mul_f64_e32 v[40:41], v[42:43], v[9:10]
	s_delay_alu instid0(VALU_DEP_1) | instskip(SKIP_1) | instid1(VALU_DEP_1)
	v_fma_f64 v[7:8], -v[7:8], v[40:41], v[42:43]
	s_wait_alu 0xfffd
	v_div_fmas_f64 v[7:8], v[7:8], v[9:10], v[40:41]
	s_delay_alu instid0(VALU_DEP_1) | instskip(NEXT) | instid1(VALU_DEP_1)
	v_div_fixup_f64 v[7:8], v[7:8], v[19:20], v[21:22]
	v_fma_f64 v[9:10], v[21:22], v[7:8], v[19:20]
	s_delay_alu instid0(VALU_DEP_1) | instskip(SKIP_1) | instid1(VALU_DEP_2)
	v_div_scale_f64 v[19:20], null, v[9:10], v[9:10], 1.0
	v_div_scale_f64 v[42:43], vcc_lo, 1.0, v[9:10], 1.0
	v_rcp_f64_e32 v[21:22], v[19:20]
	s_delay_alu instid0(TRANS32_DEP_1) | instskip(NEXT) | instid1(VALU_DEP_1)
	v_fma_f64 v[40:41], -v[19:20], v[21:22], 1.0
	v_fma_f64 v[21:22], v[21:22], v[40:41], v[21:22]
	s_delay_alu instid0(VALU_DEP_1) | instskip(NEXT) | instid1(VALU_DEP_1)
	v_fma_f64 v[40:41], -v[19:20], v[21:22], 1.0
	v_fma_f64 v[21:22], v[21:22], v[40:41], v[21:22]
	s_delay_alu instid0(VALU_DEP_1) | instskip(NEXT) | instid1(VALU_DEP_1)
	v_mul_f64_e32 v[40:41], v[42:43], v[21:22]
	v_fma_f64 v[19:20], -v[19:20], v[40:41], v[42:43]
	s_wait_alu 0xfffd
	s_delay_alu instid0(VALU_DEP_1) | instskip(SKIP_1) | instid1(VALU_DEP_2)
	v_div_fmas_f64 v[19:20], v[19:20], v[21:22], v[40:41]
	v_fma_f64 v[21:22], v[7:8], v[25:26], v[23:24]
	v_div_fixup_f64 v[9:10], v[19:20], v[9:10], 1.0
	v_fma_f64 v[19:20], -v[7:8], v[23:24], v[25:26]
	s_delay_alu instid0(VALU_DEP_2) | instskip(NEXT) | instid1(VALU_DEP_2)
	v_mul_f64_e32 v[7:8], v[21:22], v[9:10]
	v_mul_f64_e32 v[9:10], v[19:20], v[9:10]
.LBB208_62:                             ;   in Loop: Header=BB208_48 Depth=2
	s_sub_co_i32 s39, s39, 48
	s_lshl_b32 s36, s36, 4
	s_wait_alu 0xfffe
	v_mov_b32_e32 v19, s39
	s_add_co_i32 s39, s41, s36
	s_sub_co_i32 s38, s37, s38
	s_wait_alu 0xfffe
	v_mov_b32_e32 v23, s39
	s_add_co_i32 s36, s38, s36
	ds_load_b128 v[19:22], v19
	ds_store_b128 v39, v[7:10]
	ds_load_b128 v[23:26], v23
	s_wait_dscnt 0x2
	v_mul_f64_e32 v[40:41], v[13:14], v[21:22]
	v_mul_f64_e32 v[21:22], v[11:12], v[21:22]
	s_delay_alu instid0(VALU_DEP_2) | instskip(SKIP_2) | instid1(VALU_DEP_3)
	v_fma_f64 v[40:41], v[11:12], v[19:20], -v[40:41]
	s_wait_alu 0xfffe
	v_mov_b32_e32 v11, s36
	v_fma_f64 v[44:45], v[13:14], v[19:20], v[21:22]
	s_add_co_i32 s36, s37, 0xffffff70
	ds_load_b128 v[19:22], v11
	s_wait_dscnt 0x1
	v_mul_f64_e32 v[42:43], v[17:18], v[25:26]
	v_mul_f64_e32 v[25:26], v[15:16], v[25:26]
	s_wait_alu 0xfffe
	v_mov_b32_e32 v11, s36
	ds_load_b128 v[11:14], v11
	s_wait_dscnt 0x1
	v_mul_f64_e32 v[46:47], v[9:10], v[21:22]
	v_mul_f64_e32 v[21:22], v[7:8], v[21:22]
	s_wait_dscnt 0x0
	v_cmp_ngt_f64_e64 s36, |v[11:12]|, |v[13:14]|
	v_add_f64_e64 v[3:4], v[3:4], -v[40:41]
	v_add_f64_e64 v[5:6], v[5:6], -v[44:45]
	v_fma_f64 v[15:16], v[15:16], v[23:24], -v[42:43]
	v_fma_f64 v[17:18], v[17:18], v[23:24], v[25:26]
	v_fma_f64 v[23:24], v[7:8], v[19:20], -v[46:47]
	v_fma_f64 v[19:20], v[9:10], v[19:20], v[21:22]
	s_and_b32 vcc_lo, exec_lo, s36
	s_mov_b32 s36, -1
	s_delay_alu instid0(VALU_DEP_4) | instskip(NEXT) | instid1(VALU_DEP_4)
	v_add_f64_e64 v[3:4], v[3:4], -v[15:16]
	v_add_f64_e64 v[5:6], v[5:6], -v[17:18]
	s_delay_alu instid0(VALU_DEP_2) | instskip(NEXT) | instid1(VALU_DEP_2)
	v_add_f64_e64 v[15:16], v[3:4], -v[23:24]
	v_add_f64_e64 v[17:18], v[5:6], -v[19:20]
                                        ; implicit-def: $vgpr5_vgpr6
	s_wait_alu 0xfffe
	s_cbranch_vccz .LBB208_64
; %bb.63:                               ;   in Loop: Header=BB208_48 Depth=2
	v_div_scale_f64 v[3:4], null, v[13:14], v[13:14], v[11:12]
	v_div_scale_f64 v[9:10], vcc_lo, v[11:12], v[13:14], v[11:12]
	s_mov_b32 s36, 0
	v_rcp_f64_e32 v[5:6], v[3:4]
	s_delay_alu instid0(TRANS32_DEP_1) | instskip(NEXT) | instid1(VALU_DEP_1)
	v_fma_f64 v[7:8], -v[3:4], v[5:6], 1.0
	v_fma_f64 v[5:6], v[5:6], v[7:8], v[5:6]
	s_delay_alu instid0(VALU_DEP_1) | instskip(NEXT) | instid1(VALU_DEP_1)
	v_fma_f64 v[7:8], -v[3:4], v[5:6], 1.0
	v_fma_f64 v[5:6], v[5:6], v[7:8], v[5:6]
	s_delay_alu instid0(VALU_DEP_1) | instskip(NEXT) | instid1(VALU_DEP_1)
	v_mul_f64_e32 v[7:8], v[9:10], v[5:6]
	v_fma_f64 v[3:4], -v[3:4], v[7:8], v[9:10]
	s_wait_alu 0xfffd
	s_delay_alu instid0(VALU_DEP_1) | instskip(NEXT) | instid1(VALU_DEP_1)
	v_div_fmas_f64 v[3:4], v[3:4], v[5:6], v[7:8]
	v_div_fixup_f64 v[3:4], v[3:4], v[13:14], v[11:12]
	s_delay_alu instid0(VALU_DEP_1) | instskip(NEXT) | instid1(VALU_DEP_1)
	v_fma_f64 v[5:6], v[11:12], v[3:4], v[13:14]
	v_div_scale_f64 v[7:8], null, v[5:6], v[5:6], 1.0
	v_div_scale_f64 v[21:22], vcc_lo, 1.0, v[5:6], 1.0
	s_delay_alu instid0(VALU_DEP_2) | instskip(NEXT) | instid1(TRANS32_DEP_1)
	v_rcp_f64_e32 v[9:10], v[7:8]
	v_fma_f64 v[19:20], -v[7:8], v[9:10], 1.0
	s_delay_alu instid0(VALU_DEP_1) | instskip(NEXT) | instid1(VALU_DEP_1)
	v_fma_f64 v[9:10], v[9:10], v[19:20], v[9:10]
	v_fma_f64 v[19:20], -v[7:8], v[9:10], 1.0
	s_delay_alu instid0(VALU_DEP_1) | instskip(NEXT) | instid1(VALU_DEP_1)
	v_fma_f64 v[9:10], v[9:10], v[19:20], v[9:10]
	v_mul_f64_e32 v[19:20], v[21:22], v[9:10]
	s_delay_alu instid0(VALU_DEP_1) | instskip(SKIP_1) | instid1(VALU_DEP_1)
	v_fma_f64 v[7:8], -v[7:8], v[19:20], v[21:22]
	s_wait_alu 0xfffd
	v_div_fmas_f64 v[7:8], v[7:8], v[9:10], v[19:20]
	v_fma_f64 v[9:10], v[3:4], v[15:16], v[17:18]
	s_delay_alu instid0(VALU_DEP_2) | instskip(SKIP_1) | instid1(VALU_DEP_2)
	v_div_fixup_f64 v[5:6], v[7:8], v[5:6], 1.0
	v_fma_f64 v[7:8], v[3:4], v[17:18], -v[15:16]
	v_mul_f64_e32 v[3:4], v[9:10], v[5:6]
	s_delay_alu instid0(VALU_DEP_2)
	v_mul_f64_e32 v[5:6], v[7:8], v[5:6]
.LBB208_64:                             ;   in Loop: Header=BB208_48 Depth=2
	s_wait_alu 0xfffe
	s_and_not1_b32 vcc_lo, exec_lo, s36
	s_wait_alu 0xfffe
	s_cbranch_vccnz .LBB208_66
; %bb.65:                               ;   in Loop: Header=BB208_48 Depth=2
	v_div_scale_f64 v[3:4], null, v[11:12], v[11:12], v[13:14]
	v_div_scale_f64 v[9:10], vcc_lo, v[13:14], v[11:12], v[13:14]
	s_delay_alu instid0(VALU_DEP_2) | instskip(NEXT) | instid1(TRANS32_DEP_1)
	v_rcp_f64_e32 v[5:6], v[3:4]
	v_fma_f64 v[7:8], -v[3:4], v[5:6], 1.0
	s_delay_alu instid0(VALU_DEP_1) | instskip(NEXT) | instid1(VALU_DEP_1)
	v_fma_f64 v[5:6], v[5:6], v[7:8], v[5:6]
	v_fma_f64 v[7:8], -v[3:4], v[5:6], 1.0
	s_delay_alu instid0(VALU_DEP_1) | instskip(NEXT) | instid1(VALU_DEP_1)
	v_fma_f64 v[5:6], v[5:6], v[7:8], v[5:6]
	v_mul_f64_e32 v[7:8], v[9:10], v[5:6]
	s_delay_alu instid0(VALU_DEP_1) | instskip(SKIP_1) | instid1(VALU_DEP_1)
	v_fma_f64 v[3:4], -v[3:4], v[7:8], v[9:10]
	s_wait_alu 0xfffd
	v_div_fmas_f64 v[3:4], v[3:4], v[5:6], v[7:8]
	s_delay_alu instid0(VALU_DEP_1) | instskip(NEXT) | instid1(VALU_DEP_1)
	v_div_fixup_f64 v[3:4], v[3:4], v[11:12], v[13:14]
	v_fma_f64 v[5:6], v[13:14], v[3:4], v[11:12]
	s_delay_alu instid0(VALU_DEP_1) | instskip(SKIP_1) | instid1(VALU_DEP_2)
	v_div_scale_f64 v[7:8], null, v[5:6], v[5:6], 1.0
	v_div_scale_f64 v[13:14], vcc_lo, 1.0, v[5:6], 1.0
	v_rcp_f64_e32 v[9:10], v[7:8]
	s_delay_alu instid0(TRANS32_DEP_1) | instskip(NEXT) | instid1(VALU_DEP_1)
	v_fma_f64 v[11:12], -v[7:8], v[9:10], 1.0
	v_fma_f64 v[9:10], v[9:10], v[11:12], v[9:10]
	s_delay_alu instid0(VALU_DEP_1) | instskip(NEXT) | instid1(VALU_DEP_1)
	v_fma_f64 v[11:12], -v[7:8], v[9:10], 1.0
	v_fma_f64 v[9:10], v[9:10], v[11:12], v[9:10]
	s_delay_alu instid0(VALU_DEP_1) | instskip(NEXT) | instid1(VALU_DEP_1)
	v_mul_f64_e32 v[11:12], v[13:14], v[9:10]
	v_fma_f64 v[7:8], -v[7:8], v[11:12], v[13:14]
	s_wait_alu 0xfffd
	s_delay_alu instid0(VALU_DEP_1) | instskip(SKIP_1) | instid1(VALU_DEP_2)
	v_div_fmas_f64 v[7:8], v[7:8], v[9:10], v[11:12]
	v_fma_f64 v[9:10], v[3:4], v[17:18], v[15:16]
	v_div_fixup_f64 v[5:6], v[7:8], v[5:6], 1.0
	v_fma_f64 v[7:8], -v[3:4], v[15:16], v[17:18]
	s_delay_alu instid0(VALU_DEP_2) | instskip(NEXT) | instid1(VALU_DEP_2)
	v_mul_f64_e32 v[3:4], v[9:10], v[5:6]
	v_mul_f64_e32 v[5:6], v[7:8], v[5:6]
.LBB208_66:                             ;   in Loop: Header=BB208_48 Depth=2
	s_add_co_i32 s36, s19, -4
	s_sub_co_i32 s18, s18, 64
	s_cmp_lt_i32 s19, 7
	ds_store_b128 v38, v[3:6]
	s_cbranch_scc1 .LBB208_68
; %bb.67:                               ;   in Loop: Header=BB208_48 Depth=2
	s_wait_alu 0xfffe
	s_mov_b32 s19, s36
	s_branch .LBB208_48
.LBB208_68:                             ;   in Loop: Header=BB208_3 Depth=1
	s_wait_alu 0xfffe
	s_cmp_lt_i32 s36, 0
	s_cbranch_scc1 .LBB208_77
; %bb.69:                               ;   in Loop: Header=BB208_3 Depth=1
	s_lshl_b32 s18, s36, 4
	s_wait_alu 0xfffe
	s_add_co_i32 s18, s23, s18
	s_branch .LBB208_71
.LBB208_70:                             ;   in Loop: Header=BB208_71 Depth=2
	s_add_co_i32 s19, s36, -1
	s_add_co_i32 s18, s18, -16
	s_cmp_lt_i32 s36, 1
	s_wait_alu 0xfffe
	s_mov_b32 s36, s19
	ds_store_b128 v15, v[11:14]
	s_cbranch_scc1 .LBB208_77
.LBB208_71:                             ;   Parent Loop BB208_3 Depth=1
                                        ; =>  This Loop Header: Depth=2
                                        ;       Child Loop BB208_72 Depth 3
	s_wait_alu 0xfffe
	s_lshl_b32 s19, s36, 7
	v_mov_b32_e32 v7, v36
	s_wait_alu 0xfffe
	v_add_nc_u32_e32 v15, s19, v30
	s_cmp_le_i32 s29, s36
	s_mov_b32 s37, s18
	s_mov_b32 s38, s29
	ds_load_b128 v[3:6], v15
	s_cbranch_scc1 .LBB208_73
.LBB208_72:                             ;   Parent Loop BB208_3 Depth=1
                                        ;     Parent Loop BB208_71 Depth=2
                                        ; =>    This Inner Loop Header: Depth=3
	s_wait_alu 0xfffe
	v_mov_b32_e32 v12, s37
	s_add_co_i32 s38, s38, -1
	s_addk_co_i32 s37, 0xff80
	s_wait_alu 0xfffe
	s_cmp_le_i32 s38, s36
	ds_load_b128 v[8:11], v7
	ds_load_b128 v[16:19], v12
	v_add_nc_u32_e32 v7, 0xffffff80, v7
	s_wait_dscnt 0x0
	v_mul_f64_e32 v[12:13], v[18:19], v[10:11]
	v_mul_f64_e32 v[10:11], v[16:17], v[10:11]
	s_delay_alu instid0(VALU_DEP_2) | instskip(NEXT) | instid1(VALU_DEP_2)
	v_fma_f64 v[12:13], v[16:17], v[8:9], -v[12:13]
	v_fma_f64 v[8:9], v[18:19], v[8:9], v[10:11]
	s_delay_alu instid0(VALU_DEP_2) | instskip(NEXT) | instid1(VALU_DEP_2)
	v_add_f64_e64 v[3:4], v[3:4], -v[12:13]
	v_add_f64_e64 v[5:6], v[5:6], -v[8:9]
	s_cbranch_scc0 .LBB208_72
.LBB208_73:                             ;   in Loop: Header=BB208_71 Depth=2
	s_lshl_b32 s37, s36, 4
                                        ; implicit-def: $vgpr11_vgpr12
	s_wait_alu 0xfffe
	s_add_co_i32 s19, s37, s19
	s_wait_alu 0xfffe
	v_mov_b32_e32 v7, s19
	ds_load_b128 v[7:10], v7
	s_wait_dscnt 0x0
	v_cmp_ngt_f64_e64 s19, |v[7:8]|, |v[9:10]|
	s_and_b32 vcc_lo, exec_lo, s19
	s_mov_b32 s19, -1
	s_wait_alu 0xfffe
	s_cbranch_vccz .LBB208_75
; %bb.74:                               ;   in Loop: Header=BB208_71 Depth=2
	v_div_scale_f64 v[11:12], null, v[9:10], v[9:10], v[7:8]
	v_div_scale_f64 v[18:19], vcc_lo, v[7:8], v[9:10], v[7:8]
	s_mov_b32 s19, 0
	v_rcp_f64_e32 v[13:14], v[11:12]
	s_delay_alu instid0(TRANS32_DEP_1) | instskip(NEXT) | instid1(VALU_DEP_1)
	v_fma_f64 v[16:17], -v[11:12], v[13:14], 1.0
	v_fma_f64 v[13:14], v[13:14], v[16:17], v[13:14]
	s_delay_alu instid0(VALU_DEP_1) | instskip(NEXT) | instid1(VALU_DEP_1)
	v_fma_f64 v[16:17], -v[11:12], v[13:14], 1.0
	v_fma_f64 v[13:14], v[13:14], v[16:17], v[13:14]
	s_delay_alu instid0(VALU_DEP_1) | instskip(NEXT) | instid1(VALU_DEP_1)
	v_mul_f64_e32 v[16:17], v[18:19], v[13:14]
	v_fma_f64 v[11:12], -v[11:12], v[16:17], v[18:19]
	s_wait_alu 0xfffd
	s_delay_alu instid0(VALU_DEP_1) | instskip(NEXT) | instid1(VALU_DEP_1)
	v_div_fmas_f64 v[11:12], v[11:12], v[13:14], v[16:17]
	v_div_fixup_f64 v[11:12], v[11:12], v[9:10], v[7:8]
	s_delay_alu instid0(VALU_DEP_1) | instskip(NEXT) | instid1(VALU_DEP_1)
	v_fma_f64 v[13:14], v[7:8], v[11:12], v[9:10]
	v_div_scale_f64 v[16:17], null, v[13:14], v[13:14], 1.0
	v_div_scale_f64 v[22:23], vcc_lo, 1.0, v[13:14], 1.0
	s_delay_alu instid0(VALU_DEP_2) | instskip(NEXT) | instid1(TRANS32_DEP_1)
	v_rcp_f64_e32 v[18:19], v[16:17]
	v_fma_f64 v[20:21], -v[16:17], v[18:19], 1.0
	s_delay_alu instid0(VALU_DEP_1) | instskip(NEXT) | instid1(VALU_DEP_1)
	v_fma_f64 v[18:19], v[18:19], v[20:21], v[18:19]
	v_fma_f64 v[20:21], -v[16:17], v[18:19], 1.0
	s_delay_alu instid0(VALU_DEP_1) | instskip(NEXT) | instid1(VALU_DEP_1)
	v_fma_f64 v[18:19], v[18:19], v[20:21], v[18:19]
	v_mul_f64_e32 v[20:21], v[22:23], v[18:19]
	s_delay_alu instid0(VALU_DEP_1) | instskip(SKIP_1) | instid1(VALU_DEP_1)
	v_fma_f64 v[16:17], -v[16:17], v[20:21], v[22:23]
	s_wait_alu 0xfffd
	v_div_fmas_f64 v[16:17], v[16:17], v[18:19], v[20:21]
	v_fma_f64 v[18:19], v[3:4], v[11:12], v[5:6]
	s_delay_alu instid0(VALU_DEP_2) | instskip(SKIP_1) | instid1(VALU_DEP_2)
	v_div_fixup_f64 v[13:14], v[16:17], v[13:14], 1.0
	v_fma_f64 v[16:17], v[5:6], v[11:12], -v[3:4]
	v_mul_f64_e32 v[11:12], v[18:19], v[13:14]
	s_delay_alu instid0(VALU_DEP_2)
	v_mul_f64_e32 v[13:14], v[16:17], v[13:14]
.LBB208_75:                             ;   in Loop: Header=BB208_71 Depth=2
	s_wait_alu 0xfffe
	s_and_not1_b32 vcc_lo, exec_lo, s19
	s_wait_alu 0xfffe
	s_cbranch_vccnz .LBB208_70
; %bb.76:                               ;   in Loop: Header=BB208_71 Depth=2
	v_div_scale_f64 v[11:12], null, v[7:8], v[7:8], v[9:10]
	v_div_scale_f64 v[18:19], vcc_lo, v[9:10], v[7:8], v[9:10]
	s_delay_alu instid0(VALU_DEP_2) | instskip(NEXT) | instid1(TRANS32_DEP_1)
	v_rcp_f64_e32 v[13:14], v[11:12]
	v_fma_f64 v[16:17], -v[11:12], v[13:14], 1.0
	s_delay_alu instid0(VALU_DEP_1) | instskip(NEXT) | instid1(VALU_DEP_1)
	v_fma_f64 v[13:14], v[13:14], v[16:17], v[13:14]
	v_fma_f64 v[16:17], -v[11:12], v[13:14], 1.0
	s_delay_alu instid0(VALU_DEP_1) | instskip(NEXT) | instid1(VALU_DEP_1)
	v_fma_f64 v[13:14], v[13:14], v[16:17], v[13:14]
	v_mul_f64_e32 v[16:17], v[18:19], v[13:14]
	s_delay_alu instid0(VALU_DEP_1) | instskip(SKIP_1) | instid1(VALU_DEP_1)
	v_fma_f64 v[11:12], -v[11:12], v[16:17], v[18:19]
	s_wait_alu 0xfffd
	v_div_fmas_f64 v[11:12], v[11:12], v[13:14], v[16:17]
	s_delay_alu instid0(VALU_DEP_1) | instskip(NEXT) | instid1(VALU_DEP_1)
	v_div_fixup_f64 v[11:12], v[11:12], v[7:8], v[9:10]
	v_fma_f64 v[7:8], v[9:10], v[11:12], v[7:8]
	s_delay_alu instid0(VALU_DEP_1) | instskip(SKIP_1) | instid1(VALU_DEP_2)
	v_div_scale_f64 v[9:10], null, v[7:8], v[7:8], 1.0
	v_div_scale_f64 v[18:19], vcc_lo, 1.0, v[7:8], 1.0
	v_rcp_f64_e32 v[13:14], v[9:10]
	s_delay_alu instid0(TRANS32_DEP_1) | instskip(NEXT) | instid1(VALU_DEP_1)
	v_fma_f64 v[16:17], -v[9:10], v[13:14], 1.0
	v_fma_f64 v[13:14], v[13:14], v[16:17], v[13:14]
	s_delay_alu instid0(VALU_DEP_1) | instskip(NEXT) | instid1(VALU_DEP_1)
	v_fma_f64 v[16:17], -v[9:10], v[13:14], 1.0
	v_fma_f64 v[13:14], v[13:14], v[16:17], v[13:14]
	s_delay_alu instid0(VALU_DEP_1) | instskip(NEXT) | instid1(VALU_DEP_1)
	v_mul_f64_e32 v[16:17], v[18:19], v[13:14]
	v_fma_f64 v[9:10], -v[9:10], v[16:17], v[18:19]
	s_wait_alu 0xfffd
	s_delay_alu instid0(VALU_DEP_1) | instskip(SKIP_2) | instid1(VALU_DEP_3)
	v_div_fmas_f64 v[9:10], v[9:10], v[13:14], v[16:17]
	v_fma_f64 v[13:14], v[5:6], v[11:12], v[3:4]
	v_fma_f64 v[3:4], -v[3:4], v[11:12], v[5:6]
	v_div_fixup_f64 v[7:8], v[9:10], v[7:8], 1.0
	s_delay_alu instid0(VALU_DEP_1) | instskip(NEXT) | instid1(VALU_DEP_3)
	v_mul_f64_e32 v[11:12], v[13:14], v[7:8]
	v_mul_f64_e32 v[13:14], v[3:4], v[7:8]
	s_branch .LBB208_70
.LBB208_77:                             ;   in Loop: Header=BB208_3 Depth=1
	s_mov_b32 s18, 0
.LBB208_78:                             ;   in Loop: Header=BB208_3 Depth=1
	s_wait_alu 0xfffe
	s_and_not1_b32 vcc_lo, exec_lo, s18
	s_wait_alu 0xfffe
	s_cbranch_vccnz .LBB208_110
; %bb.79:                               ;   in Loop: Header=BB208_3 Depth=1
	s_mov_b32 s36, s29
	s_and_not1_b32 vcc_lo, exec_lo, s34
	s_mov_b32 s18, s24
	s_mov_b32 s19, s29
	s_wait_alu 0xfffe
	s_cbranch_vccnz .LBB208_101
.LBB208_80:                             ;   Parent Loop BB208_3 Depth=1
                                        ; =>  This Loop Header: Depth=2
                                        ;       Child Loop BB208_81 Depth 3
	s_wait_alu 0xfffe
	s_add_co_i32 s39, s19, -1
	v_lshl_add_u32 v41, s19, 7, v30
	s_add_co_i32 s37, s19, -2
	s_wait_alu 0xfffe
	v_lshl_add_u32 v40, s39, 7, v30
	s_add_co_i32 s36, s19, -3
	v_lshl_add_u32 v39, s37, 7, v30
	s_wait_alu 0xfffe
	v_lshl_add_u32 v38, s36, 7, v30
	ds_load_b128 v[19:22], v41
	ds_load_b128 v[15:18], v40
	;; [unrolled: 1-line block ×4, first 2 shown]
	v_mov_b32_e32 v11, v36
	s_cmp_le_i32 s29, s19
	s_mov_b32 s38, s18
	s_mov_b32 s40, s29
	s_cbranch_scc1 .LBB208_82
.LBB208_81:                             ;   Parent Loop BB208_3 Depth=1
                                        ;     Parent Loop BB208_80 Depth=2
                                        ; =>    This Inner Loop Header: Depth=3
	s_wait_alu 0xfffe
	v_mov_b32_e32 v12, s38
	s_add_co_i32 s40, s40, -1
	s_add_co_i32 s38, s38, -16
	s_wait_alu 0xfffe
	s_cmp_le_i32 s40, s19
	ds_load_b128 v[23:26], v11
	ds_load_b128 v[42:45], v12 offset:384
	ds_load_b128 v[46:49], v12 offset:256
	;; [unrolled: 1-line block ×3, first 2 shown]
	ds_load_b128 v[54:57], v12
	v_add_nc_u32_e32 v11, 0xffffff80, v11
	s_wait_dscnt 0x3
	v_mul_f64_e32 v[12:13], v[25:26], v[44:45]
	v_mul_f64_e32 v[44:45], v[23:24], v[44:45]
	s_wait_dscnt 0x2
	v_mul_f64_e32 v[58:59], v[25:26], v[48:49]
	v_mul_f64_e32 v[48:49], v[23:24], v[48:49]
	;; [unrolled: 3-line block ×4, first 2 shown]
	v_fma_f64 v[12:13], v[23:24], v[42:43], -v[12:13]
	v_fma_f64 v[42:43], v[25:26], v[42:43], v[44:45]
	v_fma_f64 v[44:45], v[23:24], v[46:47], -v[58:59]
	v_fma_f64 v[46:47], v[25:26], v[46:47], v[48:49]
	;; [unrolled: 2-line block ×4, first 2 shown]
	v_add_f64_e64 v[19:20], v[19:20], -v[12:13]
	v_add_f64_e64 v[21:22], v[21:22], -v[42:43]
	;; [unrolled: 1-line block ×8, first 2 shown]
	s_cbranch_scc0 .LBB208_81
.LBB208_82:                             ;   in Loop: Header=BB208_80 Depth=2
	s_lshl_b32 s40, s39, 3
	s_lshl_b32 s41, s37, 3
	;; [unrolled: 1-line block ×3, first 2 shown]
; %bb.83:                               ;   in Loop: Header=BB208_80 Depth=2
	s_mul_i32 s42, s19, 0x90
	s_wait_alu 0xfffe
	v_mov_b32_e32 v11, s42
	ds_load_b128 v[23:26], v11
                                        ; implicit-def: $vgpr13_vgpr14
	s_wait_dscnt 0x0
	v_cmp_ngt_f64_e64 s42, |v[23:24]|, |v[25:26]|
	s_and_b32 vcc_lo, exec_lo, s42
	s_mov_b32 s42, -1
	s_wait_alu 0xfffe
	s_cbranch_vccz .LBB208_85
; %bb.84:                               ;   in Loop: Header=BB208_80 Depth=2
	v_div_scale_f64 v[11:12], null, v[25:26], v[25:26], v[23:24]
	v_div_scale_f64 v[44:45], vcc_lo, v[23:24], v[25:26], v[23:24]
	s_mov_b32 s42, 0
	v_rcp_f64_e32 v[13:14], v[11:12]
	s_delay_alu instid0(TRANS32_DEP_1) | instskip(NEXT) | instid1(VALU_DEP_1)
	v_fma_f64 v[42:43], -v[11:12], v[13:14], 1.0
	v_fma_f64 v[13:14], v[13:14], v[42:43], v[13:14]
	s_delay_alu instid0(VALU_DEP_1) | instskip(NEXT) | instid1(VALU_DEP_1)
	v_fma_f64 v[42:43], -v[11:12], v[13:14], 1.0
	v_fma_f64 v[13:14], v[13:14], v[42:43], v[13:14]
	s_delay_alu instid0(VALU_DEP_1) | instskip(NEXT) | instid1(VALU_DEP_1)
	v_mul_f64_e32 v[42:43], v[44:45], v[13:14]
	v_fma_f64 v[11:12], -v[11:12], v[42:43], v[44:45]
	s_wait_alu 0xfffd
	s_delay_alu instid0(VALU_DEP_1) | instskip(NEXT) | instid1(VALU_DEP_1)
	v_div_fmas_f64 v[11:12], v[11:12], v[13:14], v[42:43]
	v_div_fixup_f64 v[11:12], v[11:12], v[25:26], v[23:24]
	s_delay_alu instid0(VALU_DEP_1) | instskip(NEXT) | instid1(VALU_DEP_1)
	v_fma_f64 v[13:14], v[23:24], v[11:12], v[25:26]
	v_div_scale_f64 v[42:43], null, v[13:14], v[13:14], 1.0
	v_div_scale_f64 v[48:49], vcc_lo, 1.0, v[13:14], 1.0
	s_delay_alu instid0(VALU_DEP_2) | instskip(NEXT) | instid1(TRANS32_DEP_1)
	v_rcp_f64_e32 v[44:45], v[42:43]
	v_fma_f64 v[46:47], -v[42:43], v[44:45], 1.0
	s_delay_alu instid0(VALU_DEP_1) | instskip(NEXT) | instid1(VALU_DEP_1)
	v_fma_f64 v[44:45], v[44:45], v[46:47], v[44:45]
	v_fma_f64 v[46:47], -v[42:43], v[44:45], 1.0
	s_delay_alu instid0(VALU_DEP_1) | instskip(NEXT) | instid1(VALU_DEP_1)
	v_fma_f64 v[44:45], v[44:45], v[46:47], v[44:45]
	v_mul_f64_e32 v[46:47], v[48:49], v[44:45]
	s_delay_alu instid0(VALU_DEP_1) | instskip(SKIP_1) | instid1(VALU_DEP_1)
	v_fma_f64 v[42:43], -v[42:43], v[46:47], v[48:49]
	s_wait_alu 0xfffd
	v_div_fmas_f64 v[42:43], v[42:43], v[44:45], v[46:47]
	v_fma_f64 v[44:45], v[19:20], v[11:12], v[21:22]
	s_delay_alu instid0(VALU_DEP_2) | instskip(SKIP_1) | instid1(VALU_DEP_2)
	v_div_fixup_f64 v[13:14], v[42:43], v[13:14], 1.0
	v_fma_f64 v[42:43], v[21:22], v[11:12], -v[19:20]
	v_mul_f64_e32 v[11:12], v[44:45], v[13:14]
	s_delay_alu instid0(VALU_DEP_2)
	v_mul_f64_e32 v[13:14], v[42:43], v[13:14]
.LBB208_85:                             ;   in Loop: Header=BB208_80 Depth=2
	s_wait_alu 0xfffe
	s_and_not1_b32 vcc_lo, exec_lo, s42
	s_wait_alu 0xfffe
	s_cbranch_vccnz .LBB208_87
; %bb.86:                               ;   in Loop: Header=BB208_80 Depth=2
	v_div_scale_f64 v[11:12], null, v[23:24], v[23:24], v[25:26]
	v_div_scale_f64 v[44:45], vcc_lo, v[25:26], v[23:24], v[25:26]
	s_delay_alu instid0(VALU_DEP_2) | instskip(NEXT) | instid1(TRANS32_DEP_1)
	v_rcp_f64_e32 v[13:14], v[11:12]
	v_fma_f64 v[42:43], -v[11:12], v[13:14], 1.0
	s_delay_alu instid0(VALU_DEP_1) | instskip(NEXT) | instid1(VALU_DEP_1)
	v_fma_f64 v[13:14], v[13:14], v[42:43], v[13:14]
	v_fma_f64 v[42:43], -v[11:12], v[13:14], 1.0
	s_delay_alu instid0(VALU_DEP_1) | instskip(NEXT) | instid1(VALU_DEP_1)
	v_fma_f64 v[13:14], v[13:14], v[42:43], v[13:14]
	v_mul_f64_e32 v[42:43], v[44:45], v[13:14]
	s_delay_alu instid0(VALU_DEP_1) | instskip(SKIP_1) | instid1(VALU_DEP_1)
	v_fma_f64 v[11:12], -v[11:12], v[42:43], v[44:45]
	s_wait_alu 0xfffd
	v_div_fmas_f64 v[11:12], v[11:12], v[13:14], v[42:43]
	s_delay_alu instid0(VALU_DEP_1) | instskip(NEXT) | instid1(VALU_DEP_1)
	v_div_fixup_f64 v[11:12], v[11:12], v[23:24], v[25:26]
	v_fma_f64 v[13:14], v[25:26], v[11:12], v[23:24]
	s_delay_alu instid0(VALU_DEP_1) | instskip(SKIP_1) | instid1(VALU_DEP_2)
	v_div_scale_f64 v[23:24], null, v[13:14], v[13:14], 1.0
	v_div_scale_f64 v[44:45], vcc_lo, 1.0, v[13:14], 1.0
	v_rcp_f64_e32 v[25:26], v[23:24]
	s_delay_alu instid0(TRANS32_DEP_1) | instskip(NEXT) | instid1(VALU_DEP_1)
	v_fma_f64 v[42:43], -v[23:24], v[25:26], 1.0
	v_fma_f64 v[25:26], v[25:26], v[42:43], v[25:26]
	s_delay_alu instid0(VALU_DEP_1) | instskip(NEXT) | instid1(VALU_DEP_1)
	v_fma_f64 v[42:43], -v[23:24], v[25:26], 1.0
	v_fma_f64 v[25:26], v[25:26], v[42:43], v[25:26]
	s_delay_alu instid0(VALU_DEP_1) | instskip(NEXT) | instid1(VALU_DEP_1)
	v_mul_f64_e32 v[42:43], v[44:45], v[25:26]
	v_fma_f64 v[23:24], -v[23:24], v[42:43], v[44:45]
	s_wait_alu 0xfffd
	s_delay_alu instid0(VALU_DEP_1) | instskip(SKIP_2) | instid1(VALU_DEP_3)
	v_div_fmas_f64 v[23:24], v[23:24], v[25:26], v[42:43]
	v_fma_f64 v[25:26], v[21:22], v[11:12], v[19:20]
	v_fma_f64 v[19:20], -v[19:20], v[11:12], v[21:22]
	v_div_fixup_f64 v[13:14], v[23:24], v[13:14], 1.0
	s_delay_alu instid0(VALU_DEP_1) | instskip(NEXT) | instid1(VALU_DEP_3)
	v_mul_f64_e32 v[11:12], v[25:26], v[13:14]
	v_mul_f64_e32 v[13:14], v[19:20], v[13:14]
.LBB208_87:                             ;   in Loop: Header=BB208_80 Depth=2
	s_lshl_b32 s42, s40, 4
	s_lshl_b32 s40, s19, 4
	;; [unrolled: 1-line block ×3, first 2 shown]
	s_wait_alu 0xfffe
	s_add_co_i32 s43, s42, s40
	s_add_co_i32 s39, s42, s39
	s_wait_alu 0xfffe
	v_mov_b32_e32 v19, s43
	ds_store_b128 v41, v[11:14]
	ds_load_b128 v[23:26], v19
	v_mov_b32_e32 v19, s39
	ds_load_b128 v[19:22], v19
	s_wait_dscnt 0x1
	v_mul_f64_e32 v[42:43], v[13:14], v[25:26]
	v_mul_f64_e32 v[25:26], v[11:12], v[25:26]
	s_wait_dscnt 0x0
	v_cmp_ngt_f64_e64 s39, |v[19:20]|, |v[21:22]|
	s_delay_alu instid0(VALU_DEP_3) | instskip(NEXT) | instid1(VALU_DEP_3)
	v_fma_f64 v[42:43], v[11:12], v[23:24], -v[42:43]
	v_fma_f64 v[25:26], v[13:14], v[23:24], v[25:26]
	s_and_b32 vcc_lo, exec_lo, s39
	s_mov_b32 s39, -1
	s_delay_alu instid0(VALU_DEP_2) | instskip(NEXT) | instid1(VALU_DEP_2)
	v_add_f64_e64 v[23:24], v[15:16], -v[42:43]
	v_add_f64_e64 v[25:26], v[17:18], -v[25:26]
                                        ; implicit-def: $vgpr17_vgpr18
	s_wait_alu 0xfffe
	s_cbranch_vccz .LBB208_89
; %bb.88:                               ;   in Loop: Header=BB208_80 Depth=2
	v_div_scale_f64 v[15:16], null, v[21:22], v[21:22], v[19:20]
	v_div_scale_f64 v[43:44], vcc_lo, v[19:20], v[21:22], v[19:20]
	s_mov_b32 s39, 0
	v_rcp_f64_e32 v[17:18], v[15:16]
	s_delay_alu instid0(TRANS32_DEP_1) | instskip(NEXT) | instid1(VALU_DEP_1)
	v_fma_f64 v[41:42], -v[15:16], v[17:18], 1.0
	v_fma_f64 v[17:18], v[17:18], v[41:42], v[17:18]
	s_delay_alu instid0(VALU_DEP_1) | instskip(NEXT) | instid1(VALU_DEP_1)
	v_fma_f64 v[41:42], -v[15:16], v[17:18], 1.0
	v_fma_f64 v[17:18], v[17:18], v[41:42], v[17:18]
	s_delay_alu instid0(VALU_DEP_1) | instskip(NEXT) | instid1(VALU_DEP_1)
	v_mul_f64_e32 v[41:42], v[43:44], v[17:18]
	v_fma_f64 v[15:16], -v[15:16], v[41:42], v[43:44]
	s_wait_alu 0xfffd
	s_delay_alu instid0(VALU_DEP_1) | instskip(NEXT) | instid1(VALU_DEP_1)
	v_div_fmas_f64 v[15:16], v[15:16], v[17:18], v[41:42]
	v_div_fixup_f64 v[15:16], v[15:16], v[21:22], v[19:20]
	s_delay_alu instid0(VALU_DEP_1) | instskip(NEXT) | instid1(VALU_DEP_1)
	v_fma_f64 v[17:18], v[19:20], v[15:16], v[21:22]
	v_div_scale_f64 v[41:42], null, v[17:18], v[17:18], 1.0
	v_div_scale_f64 v[47:48], vcc_lo, 1.0, v[17:18], 1.0
	s_delay_alu instid0(VALU_DEP_2) | instskip(NEXT) | instid1(TRANS32_DEP_1)
	v_rcp_f64_e32 v[43:44], v[41:42]
	v_fma_f64 v[45:46], -v[41:42], v[43:44], 1.0
	s_delay_alu instid0(VALU_DEP_1) | instskip(NEXT) | instid1(VALU_DEP_1)
	v_fma_f64 v[43:44], v[43:44], v[45:46], v[43:44]
	v_fma_f64 v[45:46], -v[41:42], v[43:44], 1.0
	s_delay_alu instid0(VALU_DEP_1) | instskip(NEXT) | instid1(VALU_DEP_1)
	v_fma_f64 v[43:44], v[43:44], v[45:46], v[43:44]
	v_mul_f64_e32 v[45:46], v[47:48], v[43:44]
	s_delay_alu instid0(VALU_DEP_1) | instskip(SKIP_1) | instid1(VALU_DEP_1)
	v_fma_f64 v[41:42], -v[41:42], v[45:46], v[47:48]
	s_wait_alu 0xfffd
	v_div_fmas_f64 v[41:42], v[41:42], v[43:44], v[45:46]
	v_fma_f64 v[43:44], v[15:16], v[23:24], v[25:26]
	s_delay_alu instid0(VALU_DEP_2) | instskip(SKIP_1) | instid1(VALU_DEP_2)
	v_div_fixup_f64 v[17:18], v[41:42], v[17:18], 1.0
	v_fma_f64 v[41:42], v[15:16], v[25:26], -v[23:24]
	v_mul_f64_e32 v[15:16], v[43:44], v[17:18]
	s_delay_alu instid0(VALU_DEP_2)
	v_mul_f64_e32 v[17:18], v[41:42], v[17:18]
.LBB208_89:                             ;   in Loop: Header=BB208_80 Depth=2
	s_wait_alu 0xfffe
	s_and_not1_b32 vcc_lo, exec_lo, s39
	s_wait_alu 0xfffe
	s_cbranch_vccnz .LBB208_91
; %bb.90:                               ;   in Loop: Header=BB208_80 Depth=2
	v_div_scale_f64 v[15:16], null, v[19:20], v[19:20], v[21:22]
	v_div_scale_f64 v[43:44], vcc_lo, v[21:22], v[19:20], v[21:22]
	s_delay_alu instid0(VALU_DEP_2) | instskip(NEXT) | instid1(TRANS32_DEP_1)
	v_rcp_f64_e32 v[17:18], v[15:16]
	v_fma_f64 v[41:42], -v[15:16], v[17:18], 1.0
	s_delay_alu instid0(VALU_DEP_1) | instskip(NEXT) | instid1(VALU_DEP_1)
	v_fma_f64 v[17:18], v[17:18], v[41:42], v[17:18]
	v_fma_f64 v[41:42], -v[15:16], v[17:18], 1.0
	s_delay_alu instid0(VALU_DEP_1) | instskip(NEXT) | instid1(VALU_DEP_1)
	v_fma_f64 v[17:18], v[17:18], v[41:42], v[17:18]
	v_mul_f64_e32 v[41:42], v[43:44], v[17:18]
	s_delay_alu instid0(VALU_DEP_1) | instskip(SKIP_1) | instid1(VALU_DEP_1)
	v_fma_f64 v[15:16], -v[15:16], v[41:42], v[43:44]
	s_wait_alu 0xfffd
	v_div_fmas_f64 v[15:16], v[15:16], v[17:18], v[41:42]
	s_delay_alu instid0(VALU_DEP_1) | instskip(NEXT) | instid1(VALU_DEP_1)
	v_div_fixup_f64 v[15:16], v[15:16], v[19:20], v[21:22]
	v_fma_f64 v[17:18], v[21:22], v[15:16], v[19:20]
	s_delay_alu instid0(VALU_DEP_1) | instskip(SKIP_1) | instid1(VALU_DEP_2)
	v_div_scale_f64 v[19:20], null, v[17:18], v[17:18], 1.0
	v_div_scale_f64 v[43:44], vcc_lo, 1.0, v[17:18], 1.0
	v_rcp_f64_e32 v[21:22], v[19:20]
	s_delay_alu instid0(TRANS32_DEP_1) | instskip(NEXT) | instid1(VALU_DEP_1)
	v_fma_f64 v[41:42], -v[19:20], v[21:22], 1.0
	v_fma_f64 v[21:22], v[21:22], v[41:42], v[21:22]
	s_delay_alu instid0(VALU_DEP_1) | instskip(NEXT) | instid1(VALU_DEP_1)
	v_fma_f64 v[41:42], -v[19:20], v[21:22], 1.0
	v_fma_f64 v[21:22], v[21:22], v[41:42], v[21:22]
	s_delay_alu instid0(VALU_DEP_1) | instskip(NEXT) | instid1(VALU_DEP_1)
	v_mul_f64_e32 v[41:42], v[43:44], v[21:22]
	v_fma_f64 v[19:20], -v[19:20], v[41:42], v[43:44]
	s_wait_alu 0xfffd
	s_delay_alu instid0(VALU_DEP_1) | instskip(SKIP_1) | instid1(VALU_DEP_2)
	v_div_fmas_f64 v[19:20], v[19:20], v[21:22], v[41:42]
	v_fma_f64 v[21:22], v[15:16], v[25:26], v[23:24]
	v_div_fixup_f64 v[17:18], v[19:20], v[17:18], 1.0
	v_fma_f64 v[19:20], -v[15:16], v[23:24], v[25:26]
	s_delay_alu instid0(VALU_DEP_2) | instskip(NEXT) | instid1(VALU_DEP_2)
	v_mul_f64_e32 v[15:16], v[21:22], v[17:18]
	v_mul_f64_e32 v[17:18], v[19:20], v[17:18]
.LBB208_91:                             ;   in Loop: Header=BB208_80 Depth=2
	s_lshl_b32 s39, s41, 4
	s_lshl_b32 s37, s37, 4
	s_wait_alu 0xfffe
	s_add_co_i32 s41, s39, s40
	s_add_co_i32 s37, s39, s37
	s_wait_alu 0xfffe
	v_mov_b32_e32 v19, s41
	s_add_co_i32 s41, s41, -16
	ds_store_b128 v40, v[15:18]
	s_wait_alu 0xfffe
	v_mov_b32_e32 v23, s41
	ds_load_b128 v[19:22], v19
	ds_load_b128 v[23:26], v23
	s_wait_dscnt 0x1
	v_mul_f64_e32 v[41:42], v[13:14], v[21:22]
	v_mul_f64_e32 v[21:22], v[11:12], v[21:22]
	s_wait_dscnt 0x0
	v_mul_f64_e32 v[43:44], v[17:18], v[25:26]
	v_mul_f64_e32 v[25:26], v[15:16], v[25:26]
	s_delay_alu instid0(VALU_DEP_4) | instskip(NEXT) | instid1(VALU_DEP_4)
	v_fma_f64 v[41:42], v[11:12], v[19:20], -v[41:42]
	v_fma_f64 v[19:20], v[13:14], v[19:20], v[21:22]
	s_delay_alu instid0(VALU_DEP_4) | instskip(NEXT) | instid1(VALU_DEP_4)
	v_fma_f64 v[43:44], v[15:16], v[23:24], -v[43:44]
	v_fma_f64 v[25:26], v[17:18], v[23:24], v[25:26]
	s_delay_alu instid0(VALU_DEP_4) | instskip(NEXT) | instid1(VALU_DEP_4)
	v_add_f64_e64 v[7:8], v[7:8], -v[41:42]
	v_add_f64_e64 v[9:10], v[9:10], -v[19:20]
	v_mov_b32_e32 v19, s37
	ds_load_b128 v[19:22], v19
	s_wait_dscnt 0x0
	v_cmp_ngt_f64_e64 s37, |v[19:20]|, |v[21:22]|
	v_add_f64_e64 v[23:24], v[7:8], -v[43:44]
	v_add_f64_e64 v[25:26], v[9:10], -v[25:26]
                                        ; implicit-def: $vgpr9_vgpr10
	s_and_b32 vcc_lo, exec_lo, s37
	s_mov_b32 s37, -1
	s_wait_alu 0xfffe
	s_cbranch_vccz .LBB208_93
; %bb.92:                               ;   in Loop: Header=BB208_80 Depth=2
	v_div_scale_f64 v[7:8], null, v[21:22], v[21:22], v[19:20]
	v_div_scale_f64 v[42:43], vcc_lo, v[19:20], v[21:22], v[19:20]
	s_mov_b32 s37, 0
	v_rcp_f64_e32 v[9:10], v[7:8]
	s_delay_alu instid0(TRANS32_DEP_1) | instskip(NEXT) | instid1(VALU_DEP_1)
	v_fma_f64 v[40:41], -v[7:8], v[9:10], 1.0
	v_fma_f64 v[9:10], v[9:10], v[40:41], v[9:10]
	s_delay_alu instid0(VALU_DEP_1) | instskip(NEXT) | instid1(VALU_DEP_1)
	v_fma_f64 v[40:41], -v[7:8], v[9:10], 1.0
	v_fma_f64 v[9:10], v[9:10], v[40:41], v[9:10]
	s_delay_alu instid0(VALU_DEP_1) | instskip(NEXT) | instid1(VALU_DEP_1)
	v_mul_f64_e32 v[40:41], v[42:43], v[9:10]
	v_fma_f64 v[7:8], -v[7:8], v[40:41], v[42:43]
	s_wait_alu 0xfffd
	s_delay_alu instid0(VALU_DEP_1) | instskip(NEXT) | instid1(VALU_DEP_1)
	v_div_fmas_f64 v[7:8], v[7:8], v[9:10], v[40:41]
	v_div_fixup_f64 v[7:8], v[7:8], v[21:22], v[19:20]
	s_delay_alu instid0(VALU_DEP_1) | instskip(NEXT) | instid1(VALU_DEP_1)
	v_fma_f64 v[9:10], v[19:20], v[7:8], v[21:22]
	v_div_scale_f64 v[40:41], null, v[9:10], v[9:10], 1.0
	v_div_scale_f64 v[46:47], vcc_lo, 1.0, v[9:10], 1.0
	s_delay_alu instid0(VALU_DEP_2) | instskip(NEXT) | instid1(TRANS32_DEP_1)
	v_rcp_f64_e32 v[42:43], v[40:41]
	v_fma_f64 v[44:45], -v[40:41], v[42:43], 1.0
	s_delay_alu instid0(VALU_DEP_1) | instskip(NEXT) | instid1(VALU_DEP_1)
	v_fma_f64 v[42:43], v[42:43], v[44:45], v[42:43]
	v_fma_f64 v[44:45], -v[40:41], v[42:43], 1.0
	s_delay_alu instid0(VALU_DEP_1) | instskip(NEXT) | instid1(VALU_DEP_1)
	v_fma_f64 v[42:43], v[42:43], v[44:45], v[42:43]
	v_mul_f64_e32 v[44:45], v[46:47], v[42:43]
	s_delay_alu instid0(VALU_DEP_1) | instskip(SKIP_1) | instid1(VALU_DEP_1)
	v_fma_f64 v[40:41], -v[40:41], v[44:45], v[46:47]
	s_wait_alu 0xfffd
	v_div_fmas_f64 v[40:41], v[40:41], v[42:43], v[44:45]
	v_fma_f64 v[42:43], v[7:8], v[23:24], v[25:26]
	s_delay_alu instid0(VALU_DEP_2) | instskip(SKIP_1) | instid1(VALU_DEP_2)
	v_div_fixup_f64 v[9:10], v[40:41], v[9:10], 1.0
	v_fma_f64 v[40:41], v[7:8], v[25:26], -v[23:24]
	v_mul_f64_e32 v[7:8], v[42:43], v[9:10]
	s_delay_alu instid0(VALU_DEP_2)
	v_mul_f64_e32 v[9:10], v[40:41], v[9:10]
.LBB208_93:                             ;   in Loop: Header=BB208_80 Depth=2
	s_wait_alu 0xfffe
	s_and_not1_b32 vcc_lo, exec_lo, s37
	s_wait_alu 0xfffe
	s_cbranch_vccnz .LBB208_95
; %bb.94:                               ;   in Loop: Header=BB208_80 Depth=2
	v_div_scale_f64 v[7:8], null, v[19:20], v[19:20], v[21:22]
	v_div_scale_f64 v[42:43], vcc_lo, v[21:22], v[19:20], v[21:22]
	s_delay_alu instid0(VALU_DEP_2) | instskip(NEXT) | instid1(TRANS32_DEP_1)
	v_rcp_f64_e32 v[9:10], v[7:8]
	v_fma_f64 v[40:41], -v[7:8], v[9:10], 1.0
	s_delay_alu instid0(VALU_DEP_1) | instskip(NEXT) | instid1(VALU_DEP_1)
	v_fma_f64 v[9:10], v[9:10], v[40:41], v[9:10]
	v_fma_f64 v[40:41], -v[7:8], v[9:10], 1.0
	s_delay_alu instid0(VALU_DEP_1) | instskip(NEXT) | instid1(VALU_DEP_1)
	v_fma_f64 v[9:10], v[9:10], v[40:41], v[9:10]
	v_mul_f64_e32 v[40:41], v[42:43], v[9:10]
	s_delay_alu instid0(VALU_DEP_1) | instskip(SKIP_1) | instid1(VALU_DEP_1)
	v_fma_f64 v[7:8], -v[7:8], v[40:41], v[42:43]
	s_wait_alu 0xfffd
	v_div_fmas_f64 v[7:8], v[7:8], v[9:10], v[40:41]
	s_delay_alu instid0(VALU_DEP_1) | instskip(NEXT) | instid1(VALU_DEP_1)
	v_div_fixup_f64 v[7:8], v[7:8], v[19:20], v[21:22]
	v_fma_f64 v[9:10], v[21:22], v[7:8], v[19:20]
	s_delay_alu instid0(VALU_DEP_1) | instskip(SKIP_1) | instid1(VALU_DEP_2)
	v_div_scale_f64 v[19:20], null, v[9:10], v[9:10], 1.0
	v_div_scale_f64 v[42:43], vcc_lo, 1.0, v[9:10], 1.0
	v_rcp_f64_e32 v[21:22], v[19:20]
	s_delay_alu instid0(TRANS32_DEP_1) | instskip(NEXT) | instid1(VALU_DEP_1)
	v_fma_f64 v[40:41], -v[19:20], v[21:22], 1.0
	v_fma_f64 v[21:22], v[21:22], v[40:41], v[21:22]
	s_delay_alu instid0(VALU_DEP_1) | instskip(NEXT) | instid1(VALU_DEP_1)
	v_fma_f64 v[40:41], -v[19:20], v[21:22], 1.0
	v_fma_f64 v[21:22], v[21:22], v[40:41], v[21:22]
	s_delay_alu instid0(VALU_DEP_1) | instskip(NEXT) | instid1(VALU_DEP_1)
	v_mul_f64_e32 v[40:41], v[42:43], v[21:22]
	v_fma_f64 v[19:20], -v[19:20], v[40:41], v[42:43]
	s_wait_alu 0xfffd
	s_delay_alu instid0(VALU_DEP_1) | instskip(SKIP_1) | instid1(VALU_DEP_2)
	v_div_fmas_f64 v[19:20], v[19:20], v[21:22], v[40:41]
	v_fma_f64 v[21:22], v[7:8], v[25:26], v[23:24]
	v_div_fixup_f64 v[9:10], v[19:20], v[9:10], 1.0
	v_fma_f64 v[19:20], -v[7:8], v[23:24], v[25:26]
	s_delay_alu instid0(VALU_DEP_2) | instskip(NEXT) | instid1(VALU_DEP_2)
	v_mul_f64_e32 v[7:8], v[21:22], v[9:10]
	v_mul_f64_e32 v[9:10], v[19:20], v[9:10]
.LBB208_95:                             ;   in Loop: Header=BB208_80 Depth=2
	s_lshl_b32 s37, s38, 4
	s_lshl_b32 s36, s36, 4
	s_wait_alu 0xfffe
	s_add_co_i32 s38, s37, s40
	s_add_co_i32 s36, s37, s36
	s_wait_alu 0xfffe
	v_mov_b32_e32 v19, s38
	s_add_co_i32 s39, s38, -16
	s_sub_co_i32 s38, s38, 32
	s_wait_alu 0xfffe
	v_mov_b32_e32 v23, s39
	ds_store_b128 v39, v[7:10]
	ds_load_b128 v[19:22], v19
	ds_load_b128 v[23:26], v23
	s_wait_dscnt 0x1
	v_mul_f64_e32 v[40:41], v[13:14], v[21:22]
	v_mul_f64_e32 v[21:22], v[11:12], v[21:22]
	s_delay_alu instid0(VALU_DEP_2) | instskip(SKIP_1) | instid1(VALU_DEP_3)
	v_fma_f64 v[40:41], v[11:12], v[19:20], -v[40:41]
	v_mov_b32_e32 v11, s38
	v_fma_f64 v[44:45], v[13:14], v[19:20], v[21:22]
	ds_load_b128 v[19:22], v11
	s_wait_dscnt 0x1
	v_mul_f64_e32 v[42:43], v[17:18], v[25:26]
	v_mul_f64_e32 v[25:26], v[15:16], v[25:26]
	v_mov_b32_e32 v11, s36
	ds_load_b128 v[11:14], v11
	s_wait_dscnt 0x1
	v_mul_f64_e32 v[46:47], v[9:10], v[21:22]
	v_mul_f64_e32 v[21:22], v[7:8], v[21:22]
	s_wait_dscnt 0x0
	v_cmp_ngt_f64_e64 s36, |v[11:12]|, |v[13:14]|
	v_add_f64_e64 v[3:4], v[3:4], -v[40:41]
	v_add_f64_e64 v[5:6], v[5:6], -v[44:45]
	v_fma_f64 v[15:16], v[15:16], v[23:24], -v[42:43]
	v_fma_f64 v[17:18], v[17:18], v[23:24], v[25:26]
	v_fma_f64 v[23:24], v[7:8], v[19:20], -v[46:47]
	v_fma_f64 v[19:20], v[9:10], v[19:20], v[21:22]
	s_and_b32 vcc_lo, exec_lo, s36
	s_mov_b32 s36, -1
	s_delay_alu instid0(VALU_DEP_4) | instskip(NEXT) | instid1(VALU_DEP_4)
	v_add_f64_e64 v[3:4], v[3:4], -v[15:16]
	v_add_f64_e64 v[5:6], v[5:6], -v[17:18]
	s_delay_alu instid0(VALU_DEP_2) | instskip(NEXT) | instid1(VALU_DEP_2)
	v_add_f64_e64 v[15:16], v[3:4], -v[23:24]
	v_add_f64_e64 v[17:18], v[5:6], -v[19:20]
                                        ; implicit-def: $vgpr5_vgpr6
	s_wait_alu 0xfffe
	s_cbranch_vccz .LBB208_97
; %bb.96:                               ;   in Loop: Header=BB208_80 Depth=2
	v_div_scale_f64 v[3:4], null, v[13:14], v[13:14], v[11:12]
	v_div_scale_f64 v[9:10], vcc_lo, v[11:12], v[13:14], v[11:12]
	s_mov_b32 s36, 0
	v_rcp_f64_e32 v[5:6], v[3:4]
	s_delay_alu instid0(TRANS32_DEP_1) | instskip(NEXT) | instid1(VALU_DEP_1)
	v_fma_f64 v[7:8], -v[3:4], v[5:6], 1.0
	v_fma_f64 v[5:6], v[5:6], v[7:8], v[5:6]
	s_delay_alu instid0(VALU_DEP_1) | instskip(NEXT) | instid1(VALU_DEP_1)
	v_fma_f64 v[7:8], -v[3:4], v[5:6], 1.0
	v_fma_f64 v[5:6], v[5:6], v[7:8], v[5:6]
	s_delay_alu instid0(VALU_DEP_1) | instskip(NEXT) | instid1(VALU_DEP_1)
	v_mul_f64_e32 v[7:8], v[9:10], v[5:6]
	v_fma_f64 v[3:4], -v[3:4], v[7:8], v[9:10]
	s_wait_alu 0xfffd
	s_delay_alu instid0(VALU_DEP_1) | instskip(NEXT) | instid1(VALU_DEP_1)
	v_div_fmas_f64 v[3:4], v[3:4], v[5:6], v[7:8]
	v_div_fixup_f64 v[3:4], v[3:4], v[13:14], v[11:12]
	s_delay_alu instid0(VALU_DEP_1) | instskip(NEXT) | instid1(VALU_DEP_1)
	v_fma_f64 v[5:6], v[11:12], v[3:4], v[13:14]
	v_div_scale_f64 v[7:8], null, v[5:6], v[5:6], 1.0
	v_div_scale_f64 v[21:22], vcc_lo, 1.0, v[5:6], 1.0
	s_delay_alu instid0(VALU_DEP_2) | instskip(NEXT) | instid1(TRANS32_DEP_1)
	v_rcp_f64_e32 v[9:10], v[7:8]
	v_fma_f64 v[19:20], -v[7:8], v[9:10], 1.0
	s_delay_alu instid0(VALU_DEP_1) | instskip(NEXT) | instid1(VALU_DEP_1)
	v_fma_f64 v[9:10], v[9:10], v[19:20], v[9:10]
	v_fma_f64 v[19:20], -v[7:8], v[9:10], 1.0
	s_delay_alu instid0(VALU_DEP_1) | instskip(NEXT) | instid1(VALU_DEP_1)
	v_fma_f64 v[9:10], v[9:10], v[19:20], v[9:10]
	v_mul_f64_e32 v[19:20], v[21:22], v[9:10]
	s_delay_alu instid0(VALU_DEP_1) | instskip(SKIP_1) | instid1(VALU_DEP_1)
	v_fma_f64 v[7:8], -v[7:8], v[19:20], v[21:22]
	s_wait_alu 0xfffd
	v_div_fmas_f64 v[7:8], v[7:8], v[9:10], v[19:20]
	v_fma_f64 v[9:10], v[3:4], v[15:16], v[17:18]
	s_delay_alu instid0(VALU_DEP_2) | instskip(SKIP_1) | instid1(VALU_DEP_2)
	v_div_fixup_f64 v[5:6], v[7:8], v[5:6], 1.0
	v_fma_f64 v[7:8], v[3:4], v[17:18], -v[15:16]
	v_mul_f64_e32 v[3:4], v[9:10], v[5:6]
	s_delay_alu instid0(VALU_DEP_2)
	v_mul_f64_e32 v[5:6], v[7:8], v[5:6]
.LBB208_97:                             ;   in Loop: Header=BB208_80 Depth=2
	s_wait_alu 0xfffe
	s_and_not1_b32 vcc_lo, exec_lo, s36
	s_wait_alu 0xfffe
	s_cbranch_vccnz .LBB208_99
; %bb.98:                               ;   in Loop: Header=BB208_80 Depth=2
	v_div_scale_f64 v[3:4], null, v[11:12], v[11:12], v[13:14]
	v_div_scale_f64 v[9:10], vcc_lo, v[13:14], v[11:12], v[13:14]
	s_delay_alu instid0(VALU_DEP_2) | instskip(NEXT) | instid1(TRANS32_DEP_1)
	v_rcp_f64_e32 v[5:6], v[3:4]
	v_fma_f64 v[7:8], -v[3:4], v[5:6], 1.0
	s_delay_alu instid0(VALU_DEP_1) | instskip(NEXT) | instid1(VALU_DEP_1)
	v_fma_f64 v[5:6], v[5:6], v[7:8], v[5:6]
	v_fma_f64 v[7:8], -v[3:4], v[5:6], 1.0
	s_delay_alu instid0(VALU_DEP_1) | instskip(NEXT) | instid1(VALU_DEP_1)
	v_fma_f64 v[5:6], v[5:6], v[7:8], v[5:6]
	v_mul_f64_e32 v[7:8], v[9:10], v[5:6]
	s_delay_alu instid0(VALU_DEP_1) | instskip(SKIP_1) | instid1(VALU_DEP_1)
	v_fma_f64 v[3:4], -v[3:4], v[7:8], v[9:10]
	s_wait_alu 0xfffd
	v_div_fmas_f64 v[3:4], v[3:4], v[5:6], v[7:8]
	s_delay_alu instid0(VALU_DEP_1) | instskip(NEXT) | instid1(VALU_DEP_1)
	v_div_fixup_f64 v[3:4], v[3:4], v[11:12], v[13:14]
	v_fma_f64 v[5:6], v[13:14], v[3:4], v[11:12]
	s_delay_alu instid0(VALU_DEP_1) | instskip(SKIP_1) | instid1(VALU_DEP_2)
	v_div_scale_f64 v[7:8], null, v[5:6], v[5:6], 1.0
	v_div_scale_f64 v[13:14], vcc_lo, 1.0, v[5:6], 1.0
	v_rcp_f64_e32 v[9:10], v[7:8]
	s_delay_alu instid0(TRANS32_DEP_1) | instskip(NEXT) | instid1(VALU_DEP_1)
	v_fma_f64 v[11:12], -v[7:8], v[9:10], 1.0
	v_fma_f64 v[9:10], v[9:10], v[11:12], v[9:10]
	s_delay_alu instid0(VALU_DEP_1) | instskip(NEXT) | instid1(VALU_DEP_1)
	v_fma_f64 v[11:12], -v[7:8], v[9:10], 1.0
	v_fma_f64 v[9:10], v[9:10], v[11:12], v[9:10]
	s_delay_alu instid0(VALU_DEP_1) | instskip(NEXT) | instid1(VALU_DEP_1)
	v_mul_f64_e32 v[11:12], v[13:14], v[9:10]
	v_fma_f64 v[7:8], -v[7:8], v[11:12], v[13:14]
	s_wait_alu 0xfffd
	s_delay_alu instid0(VALU_DEP_1) | instskip(SKIP_1) | instid1(VALU_DEP_2)
	v_div_fmas_f64 v[7:8], v[7:8], v[9:10], v[11:12]
	v_fma_f64 v[9:10], v[3:4], v[17:18], v[15:16]
	v_div_fixup_f64 v[5:6], v[7:8], v[5:6], 1.0
	v_fma_f64 v[7:8], -v[3:4], v[15:16], v[17:18]
	s_delay_alu instid0(VALU_DEP_2) | instskip(NEXT) | instid1(VALU_DEP_2)
	v_mul_f64_e32 v[3:4], v[9:10], v[5:6]
	v_mul_f64_e32 v[5:6], v[7:8], v[5:6]
.LBB208_99:                             ;   in Loop: Header=BB208_80 Depth=2
	s_add_co_i32 s36, s19, -4
	s_addk_co_i32 s18, 0xfe00
	s_cmp_lt_i32 s19, 7
	ds_store_b128 v38, v[3:6]
	s_cbranch_scc1 .LBB208_101
; %bb.100:                              ;   in Loop: Header=BB208_80 Depth=2
	s_wait_alu 0xfffe
	s_mov_b32 s19, s36
	s_branch .LBB208_80
.LBB208_101:                            ;   in Loop: Header=BB208_3 Depth=1
	s_wait_alu 0xfffe
	s_cmp_lt_i32 s36, 0
	s_cbranch_scc1 .LBB208_110
; %bb.102:                              ;   in Loop: Header=BB208_3 Depth=1
	s_lshl_b32 s18, s36, 7
	s_wait_alu 0xfffe
	s_add_co_i32 s18, s25, s18
	s_branch .LBB208_104
.LBB208_103:                            ;   in Loop: Header=BB208_104 Depth=2
	v_sub_co_u32 v3, s19, s36, 1
	s_and_b32 vcc_lo, exec_lo, s19
	s_addk_co_i32 s18, 0xff80
	ds_store_b128 v15, v[11:14]
	v_readfirstlane_b32 s36, v3
	s_wait_alu 0xfffe
	s_cbranch_vccnz .LBB208_110
.LBB208_104:                            ;   Parent Loop BB208_3 Depth=1
                                        ; =>  This Loop Header: Depth=2
                                        ;       Child Loop BB208_105 Depth 3
	s_wait_alu 0xf1ff
	v_lshl_add_u32 v15, s36, 7, v30
	v_mov_b32_e32 v7, v36
	s_cmp_le_i32 s29, s36
	s_wait_alu 0xfffe
	s_mov_b32 s19, s18
	s_mov_b32 s37, s29
	ds_load_b128 v[3:6], v15
	s_cbranch_scc1 .LBB208_106
.LBB208_105:                            ;   Parent Loop BB208_3 Depth=1
                                        ;     Parent Loop BB208_104 Depth=2
                                        ; =>    This Inner Loop Header: Depth=3
	s_wait_alu 0xfffe
	v_mov_b32_e32 v12, s19
	s_add_co_i32 s37, s37, -1
	s_add_co_i32 s19, s19, -16
	s_wait_alu 0xfffe
	s_cmp_le_u32 s37, s36
	ds_load_b128 v[8:11], v7
	ds_load_b128 v[16:19], v12
	v_add_nc_u32_e32 v7, 0xffffff80, v7
	s_wait_dscnt 0x0
	v_mul_f64_e32 v[12:13], v[18:19], v[10:11]
	v_mul_f64_e32 v[10:11], v[16:17], v[10:11]
	s_delay_alu instid0(VALU_DEP_2) | instskip(NEXT) | instid1(VALU_DEP_2)
	v_fma_f64 v[12:13], v[16:17], v[8:9], -v[12:13]
	v_fma_f64 v[8:9], v[18:19], v[8:9], v[10:11]
	s_delay_alu instid0(VALU_DEP_2) | instskip(NEXT) | instid1(VALU_DEP_2)
	v_add_f64_e64 v[3:4], v[3:4], -v[12:13]
	v_add_f64_e64 v[5:6], v[5:6], -v[8:9]
	s_cbranch_scc0 .LBB208_105
.LBB208_106:                            ;   in Loop: Header=BB208_104 Depth=2
	s_mul_i32 s19, s36, 0x90
                                        ; implicit-def: $vgpr11_vgpr12
	s_wait_alu 0xfffe
	v_mov_b32_e32 v7, s19
	ds_load_b128 v[7:10], v7
	s_wait_dscnt 0x0
	v_cmp_ngt_f64_e64 s19, |v[7:8]|, |v[9:10]|
	s_and_b32 vcc_lo, exec_lo, s19
	s_mov_b32 s19, -1
	s_wait_alu 0xfffe
	s_cbranch_vccz .LBB208_108
; %bb.107:                              ;   in Loop: Header=BB208_104 Depth=2
	v_div_scale_f64 v[11:12], null, v[9:10], v[9:10], v[7:8]
	v_div_scale_f64 v[18:19], vcc_lo, v[7:8], v[9:10], v[7:8]
	s_mov_b32 s19, 0
	v_rcp_f64_e32 v[13:14], v[11:12]
	s_delay_alu instid0(TRANS32_DEP_1) | instskip(NEXT) | instid1(VALU_DEP_1)
	v_fma_f64 v[16:17], -v[11:12], v[13:14], 1.0
	v_fma_f64 v[13:14], v[13:14], v[16:17], v[13:14]
	s_delay_alu instid0(VALU_DEP_1) | instskip(NEXT) | instid1(VALU_DEP_1)
	v_fma_f64 v[16:17], -v[11:12], v[13:14], 1.0
	v_fma_f64 v[13:14], v[13:14], v[16:17], v[13:14]
	s_delay_alu instid0(VALU_DEP_1) | instskip(NEXT) | instid1(VALU_DEP_1)
	v_mul_f64_e32 v[16:17], v[18:19], v[13:14]
	v_fma_f64 v[11:12], -v[11:12], v[16:17], v[18:19]
	s_wait_alu 0xfffd
	s_delay_alu instid0(VALU_DEP_1) | instskip(NEXT) | instid1(VALU_DEP_1)
	v_div_fmas_f64 v[11:12], v[11:12], v[13:14], v[16:17]
	v_div_fixup_f64 v[11:12], v[11:12], v[9:10], v[7:8]
	s_delay_alu instid0(VALU_DEP_1) | instskip(NEXT) | instid1(VALU_DEP_1)
	v_fma_f64 v[13:14], v[7:8], v[11:12], v[9:10]
	v_div_scale_f64 v[16:17], null, v[13:14], v[13:14], 1.0
	v_div_scale_f64 v[22:23], vcc_lo, 1.0, v[13:14], 1.0
	s_delay_alu instid0(VALU_DEP_2) | instskip(NEXT) | instid1(TRANS32_DEP_1)
	v_rcp_f64_e32 v[18:19], v[16:17]
	v_fma_f64 v[20:21], -v[16:17], v[18:19], 1.0
	s_delay_alu instid0(VALU_DEP_1) | instskip(NEXT) | instid1(VALU_DEP_1)
	v_fma_f64 v[18:19], v[18:19], v[20:21], v[18:19]
	v_fma_f64 v[20:21], -v[16:17], v[18:19], 1.0
	s_delay_alu instid0(VALU_DEP_1) | instskip(NEXT) | instid1(VALU_DEP_1)
	v_fma_f64 v[18:19], v[18:19], v[20:21], v[18:19]
	v_mul_f64_e32 v[20:21], v[22:23], v[18:19]
	s_delay_alu instid0(VALU_DEP_1) | instskip(SKIP_1) | instid1(VALU_DEP_1)
	v_fma_f64 v[16:17], -v[16:17], v[20:21], v[22:23]
	s_wait_alu 0xfffd
	v_div_fmas_f64 v[16:17], v[16:17], v[18:19], v[20:21]
	v_fma_f64 v[18:19], v[3:4], v[11:12], v[5:6]
	s_delay_alu instid0(VALU_DEP_2) | instskip(SKIP_1) | instid1(VALU_DEP_2)
	v_div_fixup_f64 v[13:14], v[16:17], v[13:14], 1.0
	v_fma_f64 v[16:17], v[5:6], v[11:12], -v[3:4]
	v_mul_f64_e32 v[11:12], v[18:19], v[13:14]
	s_delay_alu instid0(VALU_DEP_2)
	v_mul_f64_e32 v[13:14], v[16:17], v[13:14]
.LBB208_108:                            ;   in Loop: Header=BB208_104 Depth=2
	s_wait_alu 0xfffe
	s_and_not1_b32 vcc_lo, exec_lo, s19
	s_wait_alu 0xfffe
	s_cbranch_vccnz .LBB208_103
; %bb.109:                              ;   in Loop: Header=BB208_104 Depth=2
	v_div_scale_f64 v[11:12], null, v[7:8], v[7:8], v[9:10]
	v_div_scale_f64 v[18:19], vcc_lo, v[9:10], v[7:8], v[9:10]
	s_delay_alu instid0(VALU_DEP_2) | instskip(NEXT) | instid1(TRANS32_DEP_1)
	v_rcp_f64_e32 v[13:14], v[11:12]
	v_fma_f64 v[16:17], -v[11:12], v[13:14], 1.0
	s_delay_alu instid0(VALU_DEP_1) | instskip(NEXT) | instid1(VALU_DEP_1)
	v_fma_f64 v[13:14], v[13:14], v[16:17], v[13:14]
	v_fma_f64 v[16:17], -v[11:12], v[13:14], 1.0
	s_delay_alu instid0(VALU_DEP_1) | instskip(NEXT) | instid1(VALU_DEP_1)
	v_fma_f64 v[13:14], v[13:14], v[16:17], v[13:14]
	v_mul_f64_e32 v[16:17], v[18:19], v[13:14]
	s_delay_alu instid0(VALU_DEP_1) | instskip(SKIP_1) | instid1(VALU_DEP_1)
	v_fma_f64 v[11:12], -v[11:12], v[16:17], v[18:19]
	s_wait_alu 0xfffd
	v_div_fmas_f64 v[11:12], v[11:12], v[13:14], v[16:17]
	s_delay_alu instid0(VALU_DEP_1) | instskip(NEXT) | instid1(VALU_DEP_1)
	v_div_fixup_f64 v[11:12], v[11:12], v[7:8], v[9:10]
	v_fma_f64 v[7:8], v[9:10], v[11:12], v[7:8]
	s_delay_alu instid0(VALU_DEP_1) | instskip(SKIP_1) | instid1(VALU_DEP_2)
	v_div_scale_f64 v[9:10], null, v[7:8], v[7:8], 1.0
	v_div_scale_f64 v[18:19], vcc_lo, 1.0, v[7:8], 1.0
	v_rcp_f64_e32 v[13:14], v[9:10]
	s_delay_alu instid0(TRANS32_DEP_1) | instskip(NEXT) | instid1(VALU_DEP_1)
	v_fma_f64 v[16:17], -v[9:10], v[13:14], 1.0
	v_fma_f64 v[13:14], v[13:14], v[16:17], v[13:14]
	s_delay_alu instid0(VALU_DEP_1) | instskip(NEXT) | instid1(VALU_DEP_1)
	v_fma_f64 v[16:17], -v[9:10], v[13:14], 1.0
	v_fma_f64 v[13:14], v[13:14], v[16:17], v[13:14]
	s_delay_alu instid0(VALU_DEP_1) | instskip(NEXT) | instid1(VALU_DEP_1)
	v_mul_f64_e32 v[16:17], v[18:19], v[13:14]
	v_fma_f64 v[9:10], -v[9:10], v[16:17], v[18:19]
	s_wait_alu 0xfffd
	s_delay_alu instid0(VALU_DEP_1) | instskip(SKIP_2) | instid1(VALU_DEP_3)
	v_div_fmas_f64 v[9:10], v[9:10], v[13:14], v[16:17]
	v_fma_f64 v[13:14], v[5:6], v[11:12], v[3:4]
	v_fma_f64 v[3:4], -v[3:4], v[11:12], v[5:6]
	v_div_fixup_f64 v[7:8], v[9:10], v[7:8], 1.0
	s_delay_alu instid0(VALU_DEP_1) | instskip(NEXT) | instid1(VALU_DEP_3)
	v_mul_f64_e32 v[11:12], v[13:14], v[7:8]
	v_mul_f64_e32 v[13:14], v[3:4], v[7:8]
	s_branch .LBB208_103
.LBB208_110:                            ;   in Loop: Header=BB208_3 Depth=1
	s_mov_b32 s18, 0
.LBB208_111:                            ;   in Loop: Header=BB208_3 Depth=1
	s_wait_alu 0xfffe
	s_and_not1_b32 vcc_lo, exec_lo, s18
	s_wait_alu 0xfffe
	s_cbranch_vccnz .LBB208_143
; %bb.112:                              ;   in Loop: Header=BB208_3 Depth=1
	s_and_not1_b32 vcc_lo, exec_lo, s34
	s_mov_b32 s36, 0
	s_wait_alu 0xfffe
	s_cbranch_vccnz .LBB208_134
; %bb.113:                              ;   in Loop: Header=BB208_3 Depth=1
	s_mov_b32 s18, 0
	s_mov_b32 s19, 0
.LBB208_114:                            ;   Parent Loop BB208_3 Depth=1
                                        ; =>  This Loop Header: Depth=2
                                        ;       Child Loop BB208_115 Depth 3
	s_wait_alu 0xfffe
	s_or_b32 s39, s19, 1
	v_lshl_add_u32 v41, s19, 7, v30
	s_or_b32 s37, s19, 2
	s_or_b32 s36, s19, 3
	s_wait_alu 0xfffe
	v_lshl_add_u32 v40, s39, 7, v30
	v_lshl_add_u32 v39, s37, 7, v30
	;; [unrolled: 1-line block ×3, first 2 shown]
	ds_load_b128 v[19:22], v41
	ds_load_b128 v[15:18], v40
	;; [unrolled: 1-line block ×4, first 2 shown]
	v_mov_b32_e32 v11, v30
	s_cmp_eq_u32 s19, 0
	s_mov_b32 s38, s18
	s_mov_b32 s40, s19
	s_cbranch_scc1 .LBB208_116
.LBB208_115:                            ;   Parent Loop BB208_3 Depth=1
                                        ;     Parent Loop BB208_114 Depth=2
                                        ; =>    This Inner Loop Header: Depth=3
	s_wait_alu 0xfffe
	v_mov_b32_e32 v12, s38
	s_add_co_i32 s40, s40, -1
	s_add_co_i32 s38, s38, 16
	s_wait_alu 0xfffe
	s_cmp_eq_u32 s40, 0
	ds_load_b128 v[23:26], v11
	ds_load_b128 v[42:45], v12
	ds_load_b128 v[46:49], v12 offset:128
	ds_load_b128 v[50:53], v12 offset:256
	;; [unrolled: 1-line block ×3, first 2 shown]
	v_add_nc_u32_e32 v11, 0x80, v11
	s_wait_dscnt 0x3
	v_mul_f64_e32 v[12:13], v[25:26], v[44:45]
	v_mul_f64_e32 v[44:45], v[23:24], v[44:45]
	s_wait_dscnt 0x2
	v_mul_f64_e32 v[58:59], v[25:26], v[48:49]
	v_mul_f64_e32 v[48:49], v[23:24], v[48:49]
	;; [unrolled: 3-line block ×4, first 2 shown]
	v_fma_f64 v[12:13], v[23:24], v[42:43], -v[12:13]
	v_fma_f64 v[42:43], v[25:26], v[42:43], v[44:45]
	v_fma_f64 v[44:45], v[23:24], v[46:47], -v[58:59]
	v_fma_f64 v[46:47], v[25:26], v[46:47], v[48:49]
	;; [unrolled: 2-line block ×4, first 2 shown]
	v_add_f64_e64 v[19:20], v[19:20], -v[12:13]
	v_add_f64_e64 v[21:22], v[21:22], -v[42:43]
	;; [unrolled: 1-line block ×8, first 2 shown]
	s_cbranch_scc0 .LBB208_115
.LBB208_116:                            ;   in Loop: Header=BB208_114 Depth=2
	s_mul_i32 s42, s19, 0x90
	s_lshl_b32 s40, s39, 3
	s_wait_alu 0xfffe
	v_mov_b32_e32 v11, s42
	s_lshl_b32 s41, s37, 3
	s_lshl_b32 s38, s36, 3
	ds_load_b128 v[23:26], v11
                                        ; implicit-def: $vgpr13_vgpr14
	s_wait_dscnt 0x0
	v_cmp_ngt_f64_e64 s42, |v[23:24]|, |v[25:26]|
	s_and_b32 vcc_lo, exec_lo, s42
	s_mov_b32 s42, -1
	s_wait_alu 0xfffe
	s_cbranch_vccz .LBB208_118
; %bb.117:                              ;   in Loop: Header=BB208_114 Depth=2
	v_div_scale_f64 v[11:12], null, v[25:26], v[25:26], v[23:24]
	v_div_scale_f64 v[44:45], vcc_lo, v[23:24], v[25:26], v[23:24]
	s_mov_b32 s42, 0
	v_rcp_f64_e32 v[13:14], v[11:12]
	s_delay_alu instid0(TRANS32_DEP_1) | instskip(NEXT) | instid1(VALU_DEP_1)
	v_fma_f64 v[42:43], -v[11:12], v[13:14], 1.0
	v_fma_f64 v[13:14], v[13:14], v[42:43], v[13:14]
	s_delay_alu instid0(VALU_DEP_1) | instskip(NEXT) | instid1(VALU_DEP_1)
	v_fma_f64 v[42:43], -v[11:12], v[13:14], 1.0
	v_fma_f64 v[13:14], v[13:14], v[42:43], v[13:14]
	s_delay_alu instid0(VALU_DEP_1) | instskip(NEXT) | instid1(VALU_DEP_1)
	v_mul_f64_e32 v[42:43], v[44:45], v[13:14]
	v_fma_f64 v[11:12], -v[11:12], v[42:43], v[44:45]
	s_wait_alu 0xfffd
	s_delay_alu instid0(VALU_DEP_1) | instskip(NEXT) | instid1(VALU_DEP_1)
	v_div_fmas_f64 v[11:12], v[11:12], v[13:14], v[42:43]
	v_div_fixup_f64 v[11:12], v[11:12], v[25:26], v[23:24]
	s_delay_alu instid0(VALU_DEP_1) | instskip(NEXT) | instid1(VALU_DEP_1)
	v_fma_f64 v[13:14], v[23:24], v[11:12], v[25:26]
	v_div_scale_f64 v[42:43], null, v[13:14], v[13:14], 1.0
	v_div_scale_f64 v[48:49], vcc_lo, 1.0, v[13:14], 1.0
	s_delay_alu instid0(VALU_DEP_2) | instskip(NEXT) | instid1(TRANS32_DEP_1)
	v_rcp_f64_e32 v[44:45], v[42:43]
	v_fma_f64 v[46:47], -v[42:43], v[44:45], 1.0
	s_delay_alu instid0(VALU_DEP_1) | instskip(NEXT) | instid1(VALU_DEP_1)
	v_fma_f64 v[44:45], v[44:45], v[46:47], v[44:45]
	v_fma_f64 v[46:47], -v[42:43], v[44:45], 1.0
	s_delay_alu instid0(VALU_DEP_1) | instskip(NEXT) | instid1(VALU_DEP_1)
	v_fma_f64 v[44:45], v[44:45], v[46:47], v[44:45]
	v_mul_f64_e32 v[46:47], v[48:49], v[44:45]
	s_delay_alu instid0(VALU_DEP_1) | instskip(SKIP_1) | instid1(VALU_DEP_1)
	v_fma_f64 v[42:43], -v[42:43], v[46:47], v[48:49]
	s_wait_alu 0xfffd
	v_div_fmas_f64 v[42:43], v[42:43], v[44:45], v[46:47]
	v_fma_f64 v[44:45], v[19:20], v[11:12], v[21:22]
	s_delay_alu instid0(VALU_DEP_2) | instskip(SKIP_1) | instid1(VALU_DEP_2)
	v_div_fixup_f64 v[13:14], v[42:43], v[13:14], 1.0
	v_fma_f64 v[42:43], v[21:22], v[11:12], -v[19:20]
	v_mul_f64_e32 v[11:12], v[44:45], v[13:14]
	s_delay_alu instid0(VALU_DEP_2)
	v_mul_f64_e32 v[13:14], v[42:43], v[13:14]
.LBB208_118:                            ;   in Loop: Header=BB208_114 Depth=2
	s_wait_alu 0xfffe
	s_and_not1_b32 vcc_lo, exec_lo, s42
	s_wait_alu 0xfffe
	s_cbranch_vccnz .LBB208_120
; %bb.119:                              ;   in Loop: Header=BB208_114 Depth=2
	v_div_scale_f64 v[11:12], null, v[23:24], v[23:24], v[25:26]
	v_div_scale_f64 v[44:45], vcc_lo, v[25:26], v[23:24], v[25:26]
	s_delay_alu instid0(VALU_DEP_2) | instskip(NEXT) | instid1(TRANS32_DEP_1)
	v_rcp_f64_e32 v[13:14], v[11:12]
	v_fma_f64 v[42:43], -v[11:12], v[13:14], 1.0
	s_delay_alu instid0(VALU_DEP_1) | instskip(NEXT) | instid1(VALU_DEP_1)
	v_fma_f64 v[13:14], v[13:14], v[42:43], v[13:14]
	v_fma_f64 v[42:43], -v[11:12], v[13:14], 1.0
	s_delay_alu instid0(VALU_DEP_1) | instskip(NEXT) | instid1(VALU_DEP_1)
	v_fma_f64 v[13:14], v[13:14], v[42:43], v[13:14]
	v_mul_f64_e32 v[42:43], v[44:45], v[13:14]
	s_delay_alu instid0(VALU_DEP_1) | instskip(SKIP_1) | instid1(VALU_DEP_1)
	v_fma_f64 v[11:12], -v[11:12], v[42:43], v[44:45]
	s_wait_alu 0xfffd
	v_div_fmas_f64 v[11:12], v[11:12], v[13:14], v[42:43]
	s_delay_alu instid0(VALU_DEP_1) | instskip(NEXT) | instid1(VALU_DEP_1)
	v_div_fixup_f64 v[11:12], v[11:12], v[23:24], v[25:26]
	v_fma_f64 v[13:14], v[25:26], v[11:12], v[23:24]
	s_delay_alu instid0(VALU_DEP_1) | instskip(SKIP_1) | instid1(VALU_DEP_2)
	v_div_scale_f64 v[23:24], null, v[13:14], v[13:14], 1.0
	v_div_scale_f64 v[44:45], vcc_lo, 1.0, v[13:14], 1.0
	v_rcp_f64_e32 v[25:26], v[23:24]
	s_delay_alu instid0(TRANS32_DEP_1) | instskip(NEXT) | instid1(VALU_DEP_1)
	v_fma_f64 v[42:43], -v[23:24], v[25:26], 1.0
	v_fma_f64 v[25:26], v[25:26], v[42:43], v[25:26]
	s_delay_alu instid0(VALU_DEP_1) | instskip(NEXT) | instid1(VALU_DEP_1)
	v_fma_f64 v[42:43], -v[23:24], v[25:26], 1.0
	v_fma_f64 v[25:26], v[25:26], v[42:43], v[25:26]
	s_delay_alu instid0(VALU_DEP_1) | instskip(NEXT) | instid1(VALU_DEP_1)
	v_mul_f64_e32 v[42:43], v[44:45], v[25:26]
	v_fma_f64 v[23:24], -v[23:24], v[42:43], v[44:45]
	s_wait_alu 0xfffd
	s_delay_alu instid0(VALU_DEP_1) | instskip(SKIP_2) | instid1(VALU_DEP_3)
	v_div_fmas_f64 v[23:24], v[23:24], v[25:26], v[42:43]
	v_fma_f64 v[25:26], v[21:22], v[11:12], v[19:20]
	v_fma_f64 v[19:20], -v[19:20], v[11:12], v[21:22]
	v_div_fixup_f64 v[13:14], v[23:24], v[13:14], 1.0
	s_delay_alu instid0(VALU_DEP_1) | instskip(NEXT) | instid1(VALU_DEP_3)
	v_mul_f64_e32 v[11:12], v[25:26], v[13:14]
	v_mul_f64_e32 v[13:14], v[19:20], v[13:14]
.LBB208_120:                            ;   in Loop: Header=BB208_114 Depth=2
	s_lshl_b32 s42, s40, 4
	s_lshl_b32 s40, s19, 4
	s_lshl_b32 s39, s39, 4
	s_wait_alu 0xfffe
	s_add_co_i32 s43, s42, s40
	s_add_co_i32 s39, s42, s39
	s_wait_alu 0xfffe
	v_mov_b32_e32 v19, s43
	ds_store_b128 v41, v[11:14]
	ds_load_b128 v[23:26], v19
	v_mov_b32_e32 v19, s39
	ds_load_b128 v[19:22], v19
	s_wait_dscnt 0x1
	v_mul_f64_e32 v[42:43], v[13:14], v[25:26]
	v_mul_f64_e32 v[25:26], v[11:12], v[25:26]
	s_wait_dscnt 0x0
	v_cmp_ngt_f64_e64 s39, |v[19:20]|, |v[21:22]|
	s_delay_alu instid0(VALU_DEP_3) | instskip(NEXT) | instid1(VALU_DEP_3)
	v_fma_f64 v[42:43], v[11:12], v[23:24], -v[42:43]
	v_fma_f64 v[25:26], v[13:14], v[23:24], v[25:26]
	s_and_b32 vcc_lo, exec_lo, s39
	s_mov_b32 s39, -1
	s_delay_alu instid0(VALU_DEP_2) | instskip(NEXT) | instid1(VALU_DEP_2)
	v_add_f64_e64 v[23:24], v[15:16], -v[42:43]
	v_add_f64_e64 v[25:26], v[17:18], -v[25:26]
                                        ; implicit-def: $vgpr17_vgpr18
	s_wait_alu 0xfffe
	s_cbranch_vccz .LBB208_122
; %bb.121:                              ;   in Loop: Header=BB208_114 Depth=2
	v_div_scale_f64 v[15:16], null, v[21:22], v[21:22], v[19:20]
	v_div_scale_f64 v[43:44], vcc_lo, v[19:20], v[21:22], v[19:20]
	s_mov_b32 s39, 0
	v_rcp_f64_e32 v[17:18], v[15:16]
	s_delay_alu instid0(TRANS32_DEP_1) | instskip(NEXT) | instid1(VALU_DEP_1)
	v_fma_f64 v[41:42], -v[15:16], v[17:18], 1.0
	v_fma_f64 v[17:18], v[17:18], v[41:42], v[17:18]
	s_delay_alu instid0(VALU_DEP_1) | instskip(NEXT) | instid1(VALU_DEP_1)
	v_fma_f64 v[41:42], -v[15:16], v[17:18], 1.0
	v_fma_f64 v[17:18], v[17:18], v[41:42], v[17:18]
	s_delay_alu instid0(VALU_DEP_1) | instskip(NEXT) | instid1(VALU_DEP_1)
	v_mul_f64_e32 v[41:42], v[43:44], v[17:18]
	v_fma_f64 v[15:16], -v[15:16], v[41:42], v[43:44]
	s_wait_alu 0xfffd
	s_delay_alu instid0(VALU_DEP_1) | instskip(NEXT) | instid1(VALU_DEP_1)
	v_div_fmas_f64 v[15:16], v[15:16], v[17:18], v[41:42]
	v_div_fixup_f64 v[15:16], v[15:16], v[21:22], v[19:20]
	s_delay_alu instid0(VALU_DEP_1) | instskip(NEXT) | instid1(VALU_DEP_1)
	v_fma_f64 v[17:18], v[19:20], v[15:16], v[21:22]
	v_div_scale_f64 v[41:42], null, v[17:18], v[17:18], 1.0
	v_div_scale_f64 v[47:48], vcc_lo, 1.0, v[17:18], 1.0
	s_delay_alu instid0(VALU_DEP_2) | instskip(NEXT) | instid1(TRANS32_DEP_1)
	v_rcp_f64_e32 v[43:44], v[41:42]
	v_fma_f64 v[45:46], -v[41:42], v[43:44], 1.0
	s_delay_alu instid0(VALU_DEP_1) | instskip(NEXT) | instid1(VALU_DEP_1)
	v_fma_f64 v[43:44], v[43:44], v[45:46], v[43:44]
	v_fma_f64 v[45:46], -v[41:42], v[43:44], 1.0
	s_delay_alu instid0(VALU_DEP_1) | instskip(NEXT) | instid1(VALU_DEP_1)
	v_fma_f64 v[43:44], v[43:44], v[45:46], v[43:44]
	v_mul_f64_e32 v[45:46], v[47:48], v[43:44]
	s_delay_alu instid0(VALU_DEP_1) | instskip(SKIP_1) | instid1(VALU_DEP_1)
	v_fma_f64 v[41:42], -v[41:42], v[45:46], v[47:48]
	s_wait_alu 0xfffd
	v_div_fmas_f64 v[41:42], v[41:42], v[43:44], v[45:46]
	v_fma_f64 v[43:44], v[15:16], v[23:24], v[25:26]
	s_delay_alu instid0(VALU_DEP_2) | instskip(SKIP_1) | instid1(VALU_DEP_2)
	v_div_fixup_f64 v[17:18], v[41:42], v[17:18], 1.0
	v_fma_f64 v[41:42], v[15:16], v[25:26], -v[23:24]
	v_mul_f64_e32 v[15:16], v[43:44], v[17:18]
	s_delay_alu instid0(VALU_DEP_2)
	v_mul_f64_e32 v[17:18], v[41:42], v[17:18]
.LBB208_122:                            ;   in Loop: Header=BB208_114 Depth=2
	s_wait_alu 0xfffe
	s_and_not1_b32 vcc_lo, exec_lo, s39
	s_wait_alu 0xfffe
	s_cbranch_vccnz .LBB208_124
; %bb.123:                              ;   in Loop: Header=BB208_114 Depth=2
	v_div_scale_f64 v[15:16], null, v[19:20], v[19:20], v[21:22]
	v_div_scale_f64 v[43:44], vcc_lo, v[21:22], v[19:20], v[21:22]
	s_delay_alu instid0(VALU_DEP_2) | instskip(NEXT) | instid1(TRANS32_DEP_1)
	v_rcp_f64_e32 v[17:18], v[15:16]
	v_fma_f64 v[41:42], -v[15:16], v[17:18], 1.0
	s_delay_alu instid0(VALU_DEP_1) | instskip(NEXT) | instid1(VALU_DEP_1)
	v_fma_f64 v[17:18], v[17:18], v[41:42], v[17:18]
	v_fma_f64 v[41:42], -v[15:16], v[17:18], 1.0
	s_delay_alu instid0(VALU_DEP_1) | instskip(NEXT) | instid1(VALU_DEP_1)
	v_fma_f64 v[17:18], v[17:18], v[41:42], v[17:18]
	v_mul_f64_e32 v[41:42], v[43:44], v[17:18]
	s_delay_alu instid0(VALU_DEP_1) | instskip(SKIP_1) | instid1(VALU_DEP_1)
	v_fma_f64 v[15:16], -v[15:16], v[41:42], v[43:44]
	s_wait_alu 0xfffd
	v_div_fmas_f64 v[15:16], v[15:16], v[17:18], v[41:42]
	s_delay_alu instid0(VALU_DEP_1) | instskip(NEXT) | instid1(VALU_DEP_1)
	v_div_fixup_f64 v[15:16], v[15:16], v[19:20], v[21:22]
	v_fma_f64 v[17:18], v[21:22], v[15:16], v[19:20]
	s_delay_alu instid0(VALU_DEP_1) | instskip(SKIP_1) | instid1(VALU_DEP_2)
	v_div_scale_f64 v[19:20], null, v[17:18], v[17:18], 1.0
	v_div_scale_f64 v[43:44], vcc_lo, 1.0, v[17:18], 1.0
	v_rcp_f64_e32 v[21:22], v[19:20]
	s_delay_alu instid0(TRANS32_DEP_1) | instskip(NEXT) | instid1(VALU_DEP_1)
	v_fma_f64 v[41:42], -v[19:20], v[21:22], 1.0
	v_fma_f64 v[21:22], v[21:22], v[41:42], v[21:22]
	s_delay_alu instid0(VALU_DEP_1) | instskip(NEXT) | instid1(VALU_DEP_1)
	v_fma_f64 v[41:42], -v[19:20], v[21:22], 1.0
	v_fma_f64 v[21:22], v[21:22], v[41:42], v[21:22]
	s_delay_alu instid0(VALU_DEP_1) | instskip(NEXT) | instid1(VALU_DEP_1)
	v_mul_f64_e32 v[41:42], v[43:44], v[21:22]
	v_fma_f64 v[19:20], -v[19:20], v[41:42], v[43:44]
	s_wait_alu 0xfffd
	s_delay_alu instid0(VALU_DEP_1) | instskip(SKIP_1) | instid1(VALU_DEP_2)
	v_div_fmas_f64 v[19:20], v[19:20], v[21:22], v[41:42]
	v_fma_f64 v[21:22], v[15:16], v[25:26], v[23:24]
	v_div_fixup_f64 v[17:18], v[19:20], v[17:18], 1.0
	v_fma_f64 v[19:20], -v[15:16], v[23:24], v[25:26]
	s_delay_alu instid0(VALU_DEP_2) | instskip(NEXT) | instid1(VALU_DEP_2)
	v_mul_f64_e32 v[15:16], v[21:22], v[17:18]
	v_mul_f64_e32 v[17:18], v[19:20], v[17:18]
.LBB208_124:                            ;   in Loop: Header=BB208_114 Depth=2
	s_lshl_b32 s39, s41, 4
	s_lshl_b32 s37, s37, 4
	s_wait_alu 0xfffe
	s_add_co_i32 s41, s39, s40
	s_add_co_i32 s37, s39, s37
	s_wait_alu 0xfffe
	v_mov_b32_e32 v23, s41
	ds_load_b128 v[19:22], v23
	ds_load_b128 v[23:26], v23 offset:16
	ds_store_b128 v40, v[15:18]
	s_wait_dscnt 0x2
	v_mul_f64_e32 v[41:42], v[13:14], v[21:22]
	v_mul_f64_e32 v[21:22], v[11:12], v[21:22]
	s_wait_dscnt 0x1
	v_mul_f64_e32 v[43:44], v[17:18], v[25:26]
	v_mul_f64_e32 v[25:26], v[15:16], v[25:26]
	s_delay_alu instid0(VALU_DEP_4) | instskip(NEXT) | instid1(VALU_DEP_4)
	v_fma_f64 v[41:42], v[11:12], v[19:20], -v[41:42]
	v_fma_f64 v[19:20], v[13:14], v[19:20], v[21:22]
	s_delay_alu instid0(VALU_DEP_4) | instskip(NEXT) | instid1(VALU_DEP_4)
	v_fma_f64 v[43:44], v[15:16], v[23:24], -v[43:44]
	v_fma_f64 v[25:26], v[17:18], v[23:24], v[25:26]
	s_delay_alu instid0(VALU_DEP_4) | instskip(NEXT) | instid1(VALU_DEP_4)
	v_add_f64_e64 v[7:8], v[7:8], -v[41:42]
	v_add_f64_e64 v[9:10], v[9:10], -v[19:20]
	v_mov_b32_e32 v19, s37
	ds_load_b128 v[19:22], v19
	s_wait_dscnt 0x0
	v_cmp_ngt_f64_e64 s37, |v[19:20]|, |v[21:22]|
	v_add_f64_e64 v[23:24], v[7:8], -v[43:44]
	v_add_f64_e64 v[25:26], v[9:10], -v[25:26]
                                        ; implicit-def: $vgpr9_vgpr10
	s_and_b32 vcc_lo, exec_lo, s37
	s_mov_b32 s37, -1
	s_wait_alu 0xfffe
	s_cbranch_vccz .LBB208_126
; %bb.125:                              ;   in Loop: Header=BB208_114 Depth=2
	v_div_scale_f64 v[7:8], null, v[21:22], v[21:22], v[19:20]
	v_div_scale_f64 v[42:43], vcc_lo, v[19:20], v[21:22], v[19:20]
	s_mov_b32 s37, 0
	v_rcp_f64_e32 v[9:10], v[7:8]
	s_delay_alu instid0(TRANS32_DEP_1) | instskip(NEXT) | instid1(VALU_DEP_1)
	v_fma_f64 v[40:41], -v[7:8], v[9:10], 1.0
	v_fma_f64 v[9:10], v[9:10], v[40:41], v[9:10]
	s_delay_alu instid0(VALU_DEP_1) | instskip(NEXT) | instid1(VALU_DEP_1)
	v_fma_f64 v[40:41], -v[7:8], v[9:10], 1.0
	v_fma_f64 v[9:10], v[9:10], v[40:41], v[9:10]
	s_delay_alu instid0(VALU_DEP_1) | instskip(NEXT) | instid1(VALU_DEP_1)
	v_mul_f64_e32 v[40:41], v[42:43], v[9:10]
	v_fma_f64 v[7:8], -v[7:8], v[40:41], v[42:43]
	s_wait_alu 0xfffd
	s_delay_alu instid0(VALU_DEP_1) | instskip(NEXT) | instid1(VALU_DEP_1)
	v_div_fmas_f64 v[7:8], v[7:8], v[9:10], v[40:41]
	v_div_fixup_f64 v[7:8], v[7:8], v[21:22], v[19:20]
	s_delay_alu instid0(VALU_DEP_1) | instskip(NEXT) | instid1(VALU_DEP_1)
	v_fma_f64 v[9:10], v[19:20], v[7:8], v[21:22]
	v_div_scale_f64 v[40:41], null, v[9:10], v[9:10], 1.0
	v_div_scale_f64 v[46:47], vcc_lo, 1.0, v[9:10], 1.0
	s_delay_alu instid0(VALU_DEP_2) | instskip(NEXT) | instid1(TRANS32_DEP_1)
	v_rcp_f64_e32 v[42:43], v[40:41]
	v_fma_f64 v[44:45], -v[40:41], v[42:43], 1.0
	s_delay_alu instid0(VALU_DEP_1) | instskip(NEXT) | instid1(VALU_DEP_1)
	v_fma_f64 v[42:43], v[42:43], v[44:45], v[42:43]
	v_fma_f64 v[44:45], -v[40:41], v[42:43], 1.0
	s_delay_alu instid0(VALU_DEP_1) | instskip(NEXT) | instid1(VALU_DEP_1)
	v_fma_f64 v[42:43], v[42:43], v[44:45], v[42:43]
	v_mul_f64_e32 v[44:45], v[46:47], v[42:43]
	s_delay_alu instid0(VALU_DEP_1) | instskip(SKIP_1) | instid1(VALU_DEP_1)
	v_fma_f64 v[40:41], -v[40:41], v[44:45], v[46:47]
	s_wait_alu 0xfffd
	v_div_fmas_f64 v[40:41], v[40:41], v[42:43], v[44:45]
	v_fma_f64 v[42:43], v[7:8], v[23:24], v[25:26]
	s_delay_alu instid0(VALU_DEP_2) | instskip(SKIP_1) | instid1(VALU_DEP_2)
	v_div_fixup_f64 v[9:10], v[40:41], v[9:10], 1.0
	v_fma_f64 v[40:41], v[7:8], v[25:26], -v[23:24]
	v_mul_f64_e32 v[7:8], v[42:43], v[9:10]
	s_delay_alu instid0(VALU_DEP_2)
	v_mul_f64_e32 v[9:10], v[40:41], v[9:10]
.LBB208_126:                            ;   in Loop: Header=BB208_114 Depth=2
	s_wait_alu 0xfffe
	s_and_not1_b32 vcc_lo, exec_lo, s37
	s_wait_alu 0xfffe
	s_cbranch_vccnz .LBB208_128
; %bb.127:                              ;   in Loop: Header=BB208_114 Depth=2
	v_div_scale_f64 v[7:8], null, v[19:20], v[19:20], v[21:22]
	v_div_scale_f64 v[42:43], vcc_lo, v[21:22], v[19:20], v[21:22]
	s_delay_alu instid0(VALU_DEP_2) | instskip(NEXT) | instid1(TRANS32_DEP_1)
	v_rcp_f64_e32 v[9:10], v[7:8]
	v_fma_f64 v[40:41], -v[7:8], v[9:10], 1.0
	s_delay_alu instid0(VALU_DEP_1) | instskip(NEXT) | instid1(VALU_DEP_1)
	v_fma_f64 v[9:10], v[9:10], v[40:41], v[9:10]
	v_fma_f64 v[40:41], -v[7:8], v[9:10], 1.0
	s_delay_alu instid0(VALU_DEP_1) | instskip(NEXT) | instid1(VALU_DEP_1)
	v_fma_f64 v[9:10], v[9:10], v[40:41], v[9:10]
	v_mul_f64_e32 v[40:41], v[42:43], v[9:10]
	s_delay_alu instid0(VALU_DEP_1) | instskip(SKIP_1) | instid1(VALU_DEP_1)
	v_fma_f64 v[7:8], -v[7:8], v[40:41], v[42:43]
	s_wait_alu 0xfffd
	v_div_fmas_f64 v[7:8], v[7:8], v[9:10], v[40:41]
	s_delay_alu instid0(VALU_DEP_1) | instskip(NEXT) | instid1(VALU_DEP_1)
	v_div_fixup_f64 v[7:8], v[7:8], v[19:20], v[21:22]
	v_fma_f64 v[9:10], v[21:22], v[7:8], v[19:20]
	s_delay_alu instid0(VALU_DEP_1) | instskip(SKIP_1) | instid1(VALU_DEP_2)
	v_div_scale_f64 v[19:20], null, v[9:10], v[9:10], 1.0
	v_div_scale_f64 v[42:43], vcc_lo, 1.0, v[9:10], 1.0
	v_rcp_f64_e32 v[21:22], v[19:20]
	s_delay_alu instid0(TRANS32_DEP_1) | instskip(NEXT) | instid1(VALU_DEP_1)
	v_fma_f64 v[40:41], -v[19:20], v[21:22], 1.0
	v_fma_f64 v[21:22], v[21:22], v[40:41], v[21:22]
	s_delay_alu instid0(VALU_DEP_1) | instskip(NEXT) | instid1(VALU_DEP_1)
	v_fma_f64 v[40:41], -v[19:20], v[21:22], 1.0
	v_fma_f64 v[21:22], v[21:22], v[40:41], v[21:22]
	s_delay_alu instid0(VALU_DEP_1) | instskip(NEXT) | instid1(VALU_DEP_1)
	v_mul_f64_e32 v[40:41], v[42:43], v[21:22]
	v_fma_f64 v[19:20], -v[19:20], v[40:41], v[42:43]
	s_wait_alu 0xfffd
	s_delay_alu instid0(VALU_DEP_1) | instskip(SKIP_1) | instid1(VALU_DEP_2)
	v_div_fmas_f64 v[19:20], v[19:20], v[21:22], v[40:41]
	v_fma_f64 v[21:22], v[7:8], v[25:26], v[23:24]
	v_div_fixup_f64 v[9:10], v[19:20], v[9:10], 1.0
	v_fma_f64 v[19:20], -v[7:8], v[23:24], v[25:26]
	s_delay_alu instid0(VALU_DEP_2) | instskip(NEXT) | instid1(VALU_DEP_2)
	v_mul_f64_e32 v[7:8], v[21:22], v[9:10]
	v_mul_f64_e32 v[9:10], v[19:20], v[9:10]
.LBB208_128:                            ;   in Loop: Header=BB208_114 Depth=2
	s_lshl_b32 s37, s38, 4
	s_lshl_b32 s36, s36, 4
	s_wait_alu 0xfffe
	s_add_co_i32 s38, s37, s40
	s_add_co_i32 s36, s37, s36
	s_wait_alu 0xfffe
	v_mov_b32_e32 v46, s38
	ds_load_b128 v[19:22], v46
	ds_load_b128 v[23:26], v46 offset:16
	ds_store_b128 v39, v[7:10]
	s_wait_dscnt 0x2
	v_mul_f64_e32 v[40:41], v[13:14], v[21:22]
	v_mul_f64_e32 v[21:22], v[11:12], v[21:22]
	s_wait_dscnt 0x1
	v_mul_f64_e32 v[42:43], v[17:18], v[25:26]
	v_mul_f64_e32 v[25:26], v[15:16], v[25:26]
	s_delay_alu instid0(VALU_DEP_4) | instskip(NEXT) | instid1(VALU_DEP_4)
	v_fma_f64 v[40:41], v[11:12], v[19:20], -v[40:41]
	v_fma_f64 v[44:45], v[13:14], v[19:20], v[21:22]
	v_mov_b32_e32 v11, s36
	ds_load_b128 v[19:22], v46 offset:32
	v_fma_f64 v[15:16], v[15:16], v[23:24], -v[42:43]
	v_fma_f64 v[17:18], v[17:18], v[23:24], v[25:26]
	ds_load_b128 v[11:14], v11
	s_wait_dscnt 0x1
	v_mul_f64_e32 v[46:47], v[9:10], v[21:22]
	v_mul_f64_e32 v[21:22], v[7:8], v[21:22]
	s_wait_dscnt 0x0
	v_cmp_ngt_f64_e64 s36, |v[11:12]|, |v[13:14]|
	v_add_f64_e64 v[3:4], v[3:4], -v[40:41]
	v_add_f64_e64 v[5:6], v[5:6], -v[44:45]
	v_fma_f64 v[23:24], v[7:8], v[19:20], -v[46:47]
	v_fma_f64 v[19:20], v[9:10], v[19:20], v[21:22]
	s_and_b32 vcc_lo, exec_lo, s36
	s_mov_b32 s36, -1
	s_delay_alu instid0(VALU_DEP_4) | instskip(NEXT) | instid1(VALU_DEP_4)
	v_add_f64_e64 v[3:4], v[3:4], -v[15:16]
	v_add_f64_e64 v[5:6], v[5:6], -v[17:18]
	s_delay_alu instid0(VALU_DEP_2) | instskip(NEXT) | instid1(VALU_DEP_2)
	v_add_f64_e64 v[15:16], v[3:4], -v[23:24]
	v_add_f64_e64 v[17:18], v[5:6], -v[19:20]
                                        ; implicit-def: $vgpr5_vgpr6
	s_wait_alu 0xfffe
	s_cbranch_vccz .LBB208_130
; %bb.129:                              ;   in Loop: Header=BB208_114 Depth=2
	v_div_scale_f64 v[3:4], null, v[13:14], v[13:14], v[11:12]
	v_div_scale_f64 v[9:10], vcc_lo, v[11:12], v[13:14], v[11:12]
	s_mov_b32 s36, 0
	v_rcp_f64_e32 v[5:6], v[3:4]
	s_delay_alu instid0(TRANS32_DEP_1) | instskip(NEXT) | instid1(VALU_DEP_1)
	v_fma_f64 v[7:8], -v[3:4], v[5:6], 1.0
	v_fma_f64 v[5:6], v[5:6], v[7:8], v[5:6]
	s_delay_alu instid0(VALU_DEP_1) | instskip(NEXT) | instid1(VALU_DEP_1)
	v_fma_f64 v[7:8], -v[3:4], v[5:6], 1.0
	v_fma_f64 v[5:6], v[5:6], v[7:8], v[5:6]
	s_delay_alu instid0(VALU_DEP_1) | instskip(NEXT) | instid1(VALU_DEP_1)
	v_mul_f64_e32 v[7:8], v[9:10], v[5:6]
	v_fma_f64 v[3:4], -v[3:4], v[7:8], v[9:10]
	s_wait_alu 0xfffd
	s_delay_alu instid0(VALU_DEP_1) | instskip(NEXT) | instid1(VALU_DEP_1)
	v_div_fmas_f64 v[3:4], v[3:4], v[5:6], v[7:8]
	v_div_fixup_f64 v[3:4], v[3:4], v[13:14], v[11:12]
	s_delay_alu instid0(VALU_DEP_1) | instskip(NEXT) | instid1(VALU_DEP_1)
	v_fma_f64 v[5:6], v[11:12], v[3:4], v[13:14]
	v_div_scale_f64 v[7:8], null, v[5:6], v[5:6], 1.0
	v_div_scale_f64 v[21:22], vcc_lo, 1.0, v[5:6], 1.0
	s_delay_alu instid0(VALU_DEP_2) | instskip(NEXT) | instid1(TRANS32_DEP_1)
	v_rcp_f64_e32 v[9:10], v[7:8]
	v_fma_f64 v[19:20], -v[7:8], v[9:10], 1.0
	s_delay_alu instid0(VALU_DEP_1) | instskip(NEXT) | instid1(VALU_DEP_1)
	v_fma_f64 v[9:10], v[9:10], v[19:20], v[9:10]
	v_fma_f64 v[19:20], -v[7:8], v[9:10], 1.0
	s_delay_alu instid0(VALU_DEP_1) | instskip(NEXT) | instid1(VALU_DEP_1)
	v_fma_f64 v[9:10], v[9:10], v[19:20], v[9:10]
	v_mul_f64_e32 v[19:20], v[21:22], v[9:10]
	s_delay_alu instid0(VALU_DEP_1) | instskip(SKIP_1) | instid1(VALU_DEP_1)
	v_fma_f64 v[7:8], -v[7:8], v[19:20], v[21:22]
	s_wait_alu 0xfffd
	v_div_fmas_f64 v[7:8], v[7:8], v[9:10], v[19:20]
	v_fma_f64 v[9:10], v[3:4], v[15:16], v[17:18]
	s_delay_alu instid0(VALU_DEP_2) | instskip(SKIP_1) | instid1(VALU_DEP_2)
	v_div_fixup_f64 v[5:6], v[7:8], v[5:6], 1.0
	v_fma_f64 v[7:8], v[3:4], v[17:18], -v[15:16]
	v_mul_f64_e32 v[3:4], v[9:10], v[5:6]
	s_delay_alu instid0(VALU_DEP_2)
	v_mul_f64_e32 v[5:6], v[7:8], v[5:6]
.LBB208_130:                            ;   in Loop: Header=BB208_114 Depth=2
	s_wait_alu 0xfffe
	s_and_not1_b32 vcc_lo, exec_lo, s36
	s_wait_alu 0xfffe
	s_cbranch_vccnz .LBB208_132
; %bb.131:                              ;   in Loop: Header=BB208_114 Depth=2
	v_div_scale_f64 v[3:4], null, v[11:12], v[11:12], v[13:14]
	v_div_scale_f64 v[9:10], vcc_lo, v[13:14], v[11:12], v[13:14]
	s_delay_alu instid0(VALU_DEP_2) | instskip(NEXT) | instid1(TRANS32_DEP_1)
	v_rcp_f64_e32 v[5:6], v[3:4]
	v_fma_f64 v[7:8], -v[3:4], v[5:6], 1.0
	s_delay_alu instid0(VALU_DEP_1) | instskip(NEXT) | instid1(VALU_DEP_1)
	v_fma_f64 v[5:6], v[5:6], v[7:8], v[5:6]
	v_fma_f64 v[7:8], -v[3:4], v[5:6], 1.0
	s_delay_alu instid0(VALU_DEP_1) | instskip(NEXT) | instid1(VALU_DEP_1)
	v_fma_f64 v[5:6], v[5:6], v[7:8], v[5:6]
	v_mul_f64_e32 v[7:8], v[9:10], v[5:6]
	s_delay_alu instid0(VALU_DEP_1) | instskip(SKIP_1) | instid1(VALU_DEP_1)
	v_fma_f64 v[3:4], -v[3:4], v[7:8], v[9:10]
	s_wait_alu 0xfffd
	v_div_fmas_f64 v[3:4], v[3:4], v[5:6], v[7:8]
	s_delay_alu instid0(VALU_DEP_1) | instskip(NEXT) | instid1(VALU_DEP_1)
	v_div_fixup_f64 v[3:4], v[3:4], v[11:12], v[13:14]
	v_fma_f64 v[5:6], v[13:14], v[3:4], v[11:12]
	s_delay_alu instid0(VALU_DEP_1) | instskip(SKIP_1) | instid1(VALU_DEP_2)
	v_div_scale_f64 v[7:8], null, v[5:6], v[5:6], 1.0
	v_div_scale_f64 v[13:14], vcc_lo, 1.0, v[5:6], 1.0
	v_rcp_f64_e32 v[9:10], v[7:8]
	s_delay_alu instid0(TRANS32_DEP_1) | instskip(NEXT) | instid1(VALU_DEP_1)
	v_fma_f64 v[11:12], -v[7:8], v[9:10], 1.0
	v_fma_f64 v[9:10], v[9:10], v[11:12], v[9:10]
	s_delay_alu instid0(VALU_DEP_1) | instskip(NEXT) | instid1(VALU_DEP_1)
	v_fma_f64 v[11:12], -v[7:8], v[9:10], 1.0
	v_fma_f64 v[9:10], v[9:10], v[11:12], v[9:10]
	s_delay_alu instid0(VALU_DEP_1) | instskip(NEXT) | instid1(VALU_DEP_1)
	v_mul_f64_e32 v[11:12], v[13:14], v[9:10]
	v_fma_f64 v[7:8], -v[7:8], v[11:12], v[13:14]
	s_wait_alu 0xfffd
	s_delay_alu instid0(VALU_DEP_1) | instskip(SKIP_1) | instid1(VALU_DEP_2)
	v_div_fmas_f64 v[7:8], v[7:8], v[9:10], v[11:12]
	v_fma_f64 v[9:10], v[3:4], v[17:18], v[15:16]
	v_div_fixup_f64 v[5:6], v[7:8], v[5:6], 1.0
	v_fma_f64 v[7:8], -v[3:4], v[15:16], v[17:18]
	s_delay_alu instid0(VALU_DEP_2) | instskip(NEXT) | instid1(VALU_DEP_2)
	v_mul_f64_e32 v[3:4], v[9:10], v[5:6]
	v_mul_f64_e32 v[5:6], v[7:8], v[5:6]
.LBB208_132:                            ;   in Loop: Header=BB208_114 Depth=2
	s_add_co_i32 s36, s19, 4
	s_add_co_i32 s19, s19, 7
	s_addk_co_i32 s18, 0x200
	s_wait_alu 0xfffe
	s_cmp_ge_i32 s19, s28
	ds_store_b128 v38, v[3:6]
	s_cbranch_scc1 .LBB208_134
; %bb.133:                              ;   in Loop: Header=BB208_114 Depth=2
	s_mov_b32 s19, s36
	s_branch .LBB208_114
.LBB208_134:                            ;   in Loop: Header=BB208_3 Depth=1
	s_cmp_ge_i32 s36, s28
	s_cbranch_scc1 .LBB208_143
; %bb.135:                              ;   in Loop: Header=BB208_3 Depth=1
	s_lshl_b32 s18, s36, 7
	s_branch .LBB208_137
.LBB208_136:                            ;   in Loop: Header=BB208_137 Depth=2
	s_add_co_i32 s36, s36, 1
	s_addk_co_i32 s18, 0x80
	s_wait_alu 0xfffe
	s_cmp_ge_i32 s36, s28
	ds_store_b128 v15, v[11:14]
	s_cbranch_scc1 .LBB208_143
.LBB208_137:                            ;   Parent Loop BB208_3 Depth=1
                                        ; =>  This Loop Header: Depth=2
                                        ;       Child Loop BB208_138 Depth 3
	v_lshl_add_u32 v15, s36, 7, v30
	v_mov_b32_e32 v7, v30
	s_cmp_eq_u32 s36, 0
	s_wait_alu 0xfffe
	s_mov_b32 s19, s18
	s_mov_b32 s37, s36
	ds_load_b128 v[3:6], v15
	s_cbranch_scc1 .LBB208_139
.LBB208_138:                            ;   Parent Loop BB208_3 Depth=1
                                        ;     Parent Loop BB208_137 Depth=2
                                        ; =>    This Inner Loop Header: Depth=3
	s_wait_alu 0xfffe
	v_mov_b32_e32 v12, s19
	s_add_co_i32 s37, s37, -1
	s_add_co_i32 s19, s19, 16
	s_wait_alu 0xfffe
	s_cmp_eq_u32 s37, 0
	ds_load_b128 v[8:11], v7
	ds_load_b128 v[16:19], v12
	v_add_nc_u32_e32 v7, 0x80, v7
	s_wait_dscnt 0x0
	v_mul_f64_e32 v[12:13], v[18:19], v[10:11]
	v_mul_f64_e32 v[10:11], v[16:17], v[10:11]
	s_delay_alu instid0(VALU_DEP_2) | instskip(NEXT) | instid1(VALU_DEP_2)
	v_fma_f64 v[12:13], v[16:17], v[8:9], -v[12:13]
	v_fma_f64 v[8:9], v[18:19], v[8:9], v[10:11]
	s_delay_alu instid0(VALU_DEP_2) | instskip(NEXT) | instid1(VALU_DEP_2)
	v_add_f64_e64 v[3:4], v[3:4], -v[12:13]
	v_add_f64_e64 v[5:6], v[5:6], -v[8:9]
	s_cbranch_scc0 .LBB208_138
.LBB208_139:                            ;   in Loop: Header=BB208_137 Depth=2
	s_mul_i32 s19, s36, 0x90
                                        ; implicit-def: $vgpr11_vgpr12
	s_wait_alu 0xfffe
	v_mov_b32_e32 v7, s19
	ds_load_b128 v[7:10], v7
	s_wait_dscnt 0x0
	v_cmp_ngt_f64_e64 s19, |v[7:8]|, |v[9:10]|
	s_and_b32 vcc_lo, exec_lo, s19
	s_mov_b32 s19, -1
	s_wait_alu 0xfffe
	s_cbranch_vccz .LBB208_141
; %bb.140:                              ;   in Loop: Header=BB208_137 Depth=2
	v_div_scale_f64 v[11:12], null, v[9:10], v[9:10], v[7:8]
	v_div_scale_f64 v[18:19], vcc_lo, v[7:8], v[9:10], v[7:8]
	s_mov_b32 s19, 0
	v_rcp_f64_e32 v[13:14], v[11:12]
	s_delay_alu instid0(TRANS32_DEP_1) | instskip(NEXT) | instid1(VALU_DEP_1)
	v_fma_f64 v[16:17], -v[11:12], v[13:14], 1.0
	v_fma_f64 v[13:14], v[13:14], v[16:17], v[13:14]
	s_delay_alu instid0(VALU_DEP_1) | instskip(NEXT) | instid1(VALU_DEP_1)
	v_fma_f64 v[16:17], -v[11:12], v[13:14], 1.0
	v_fma_f64 v[13:14], v[13:14], v[16:17], v[13:14]
	s_delay_alu instid0(VALU_DEP_1) | instskip(NEXT) | instid1(VALU_DEP_1)
	v_mul_f64_e32 v[16:17], v[18:19], v[13:14]
	v_fma_f64 v[11:12], -v[11:12], v[16:17], v[18:19]
	s_wait_alu 0xfffd
	s_delay_alu instid0(VALU_DEP_1) | instskip(NEXT) | instid1(VALU_DEP_1)
	v_div_fmas_f64 v[11:12], v[11:12], v[13:14], v[16:17]
	v_div_fixup_f64 v[11:12], v[11:12], v[9:10], v[7:8]
	s_delay_alu instid0(VALU_DEP_1) | instskip(NEXT) | instid1(VALU_DEP_1)
	v_fma_f64 v[13:14], v[7:8], v[11:12], v[9:10]
	v_div_scale_f64 v[16:17], null, v[13:14], v[13:14], 1.0
	v_div_scale_f64 v[22:23], vcc_lo, 1.0, v[13:14], 1.0
	s_delay_alu instid0(VALU_DEP_2) | instskip(NEXT) | instid1(TRANS32_DEP_1)
	v_rcp_f64_e32 v[18:19], v[16:17]
	v_fma_f64 v[20:21], -v[16:17], v[18:19], 1.0
	s_delay_alu instid0(VALU_DEP_1) | instskip(NEXT) | instid1(VALU_DEP_1)
	v_fma_f64 v[18:19], v[18:19], v[20:21], v[18:19]
	v_fma_f64 v[20:21], -v[16:17], v[18:19], 1.0
	s_delay_alu instid0(VALU_DEP_1) | instskip(NEXT) | instid1(VALU_DEP_1)
	v_fma_f64 v[18:19], v[18:19], v[20:21], v[18:19]
	v_mul_f64_e32 v[20:21], v[22:23], v[18:19]
	s_delay_alu instid0(VALU_DEP_1) | instskip(SKIP_1) | instid1(VALU_DEP_1)
	v_fma_f64 v[16:17], -v[16:17], v[20:21], v[22:23]
	s_wait_alu 0xfffd
	v_div_fmas_f64 v[16:17], v[16:17], v[18:19], v[20:21]
	v_fma_f64 v[18:19], v[3:4], v[11:12], v[5:6]
	s_delay_alu instid0(VALU_DEP_2) | instskip(SKIP_1) | instid1(VALU_DEP_2)
	v_div_fixup_f64 v[13:14], v[16:17], v[13:14], 1.0
	v_fma_f64 v[16:17], v[5:6], v[11:12], -v[3:4]
	v_mul_f64_e32 v[11:12], v[18:19], v[13:14]
	s_delay_alu instid0(VALU_DEP_2)
	v_mul_f64_e32 v[13:14], v[16:17], v[13:14]
.LBB208_141:                            ;   in Loop: Header=BB208_137 Depth=2
	s_wait_alu 0xfffe
	s_and_not1_b32 vcc_lo, exec_lo, s19
	s_wait_alu 0xfffe
	s_cbranch_vccnz .LBB208_136
; %bb.142:                              ;   in Loop: Header=BB208_137 Depth=2
	v_div_scale_f64 v[11:12], null, v[7:8], v[7:8], v[9:10]
	v_div_scale_f64 v[18:19], vcc_lo, v[9:10], v[7:8], v[9:10]
	s_delay_alu instid0(VALU_DEP_2) | instskip(NEXT) | instid1(TRANS32_DEP_1)
	v_rcp_f64_e32 v[13:14], v[11:12]
	v_fma_f64 v[16:17], -v[11:12], v[13:14], 1.0
	s_delay_alu instid0(VALU_DEP_1) | instskip(NEXT) | instid1(VALU_DEP_1)
	v_fma_f64 v[13:14], v[13:14], v[16:17], v[13:14]
	v_fma_f64 v[16:17], -v[11:12], v[13:14], 1.0
	s_delay_alu instid0(VALU_DEP_1) | instskip(NEXT) | instid1(VALU_DEP_1)
	v_fma_f64 v[13:14], v[13:14], v[16:17], v[13:14]
	v_mul_f64_e32 v[16:17], v[18:19], v[13:14]
	s_delay_alu instid0(VALU_DEP_1) | instskip(SKIP_1) | instid1(VALU_DEP_1)
	v_fma_f64 v[11:12], -v[11:12], v[16:17], v[18:19]
	s_wait_alu 0xfffd
	v_div_fmas_f64 v[11:12], v[11:12], v[13:14], v[16:17]
	s_delay_alu instid0(VALU_DEP_1) | instskip(NEXT) | instid1(VALU_DEP_1)
	v_div_fixup_f64 v[11:12], v[11:12], v[7:8], v[9:10]
	v_fma_f64 v[7:8], v[9:10], v[11:12], v[7:8]
	s_delay_alu instid0(VALU_DEP_1) | instskip(SKIP_1) | instid1(VALU_DEP_2)
	v_div_scale_f64 v[9:10], null, v[7:8], v[7:8], 1.0
	v_div_scale_f64 v[18:19], vcc_lo, 1.0, v[7:8], 1.0
	v_rcp_f64_e32 v[13:14], v[9:10]
	s_delay_alu instid0(TRANS32_DEP_1) | instskip(NEXT) | instid1(VALU_DEP_1)
	v_fma_f64 v[16:17], -v[9:10], v[13:14], 1.0
	v_fma_f64 v[13:14], v[13:14], v[16:17], v[13:14]
	s_delay_alu instid0(VALU_DEP_1) | instskip(NEXT) | instid1(VALU_DEP_1)
	v_fma_f64 v[16:17], -v[9:10], v[13:14], 1.0
	v_fma_f64 v[13:14], v[13:14], v[16:17], v[13:14]
	s_delay_alu instid0(VALU_DEP_1) | instskip(NEXT) | instid1(VALU_DEP_1)
	v_mul_f64_e32 v[16:17], v[18:19], v[13:14]
	v_fma_f64 v[9:10], -v[9:10], v[16:17], v[18:19]
	s_wait_alu 0xfffd
	s_delay_alu instid0(VALU_DEP_1) | instskip(SKIP_2) | instid1(VALU_DEP_3)
	v_div_fmas_f64 v[9:10], v[9:10], v[13:14], v[16:17]
	v_fma_f64 v[13:14], v[5:6], v[11:12], v[3:4]
	v_fma_f64 v[3:4], -v[3:4], v[11:12], v[5:6]
	v_div_fixup_f64 v[7:8], v[9:10], v[7:8], 1.0
	s_delay_alu instid0(VALU_DEP_1) | instskip(NEXT) | instid1(VALU_DEP_3)
	v_mul_f64_e32 v[11:12], v[13:14], v[7:8]
	v_mul_f64_e32 v[13:14], v[3:4], v[7:8]
	s_branch .LBB208_136
.LBB208_143:                            ;   in Loop: Header=BB208_3 Depth=1
	s_and_saveexec_b32 s18, s35
	s_cbranch_execz .LBB208_2
; %bb.144:                              ;   in Loop: Header=BB208_3 Depth=1
	v_add_co_u32 v3, vcc_lo, v27, s14
	s_wait_alu 0xfffd
	v_add_co_ci_u32_e64 v4, null, s15, v28, vcc_lo
	v_mov_b32_e32 v5, v30
	s_delay_alu instid0(VALU_DEP_3) | instskip(SKIP_1) | instid1(VALU_DEP_3)
	v_add_co_u32 v3, vcc_lo, v3, s20
	s_wait_alu 0xfffd
	v_add_co_ci_u32_e64 v4, null, s21, v4, vcc_lo
	s_mov_b32 s19, s27
	v_add_co_u32 v3, vcc_lo, v3, v0
	s_wait_alu 0xfffd
	v_add_co_ci_u32_e64 v4, null, 0, v4, vcc_lo
.LBB208_145:                            ;   Parent Loop BB208_3 Depth=1
                                        ; =>  This Inner Loop Header: Depth=2
	ds_load_2addr_b64 v[6:9], v5 offset1:1
	v_add_nc_u32_e32 v5, 0x80, v5
	s_wait_alu 0xfffe
	s_add_co_i32 s19, s19, -1
	s_wait_alu 0xfffe
	s_cmp_lg_u32 s19, 0
	s_wait_dscnt 0x0
	flat_store_b128 v[3:4], v[6:9]
	v_add_co_u32 v3, vcc_lo, v3, s16
	s_wait_alu 0xfffd
	v_add_co_ci_u32_e64 v4, null, s17, v4, vcc_lo
	s_cbranch_scc1 .LBB208_145
	s_branch .LBB208_2
.LBB208_146:
	s_endpgm
	.section	.rodata,"a",@progbits
	.p2align	6, 0x0
	.amdhsa_kernel _ZL31rocblas_trsm_small_right_deviceI19rocblas_complex_numIdES1_PKPKS1_PKPS1_Li8EEv13rocblas_fill_18rocblas_operation_17rocblas_diagonal_iiT0_T1_lilT2_lili
		.amdhsa_group_segment_fixed_size 2048
		.amdhsa_private_segment_fixed_size 0
		.amdhsa_kernarg_size 368
		.amdhsa_user_sgpr_count 2
		.amdhsa_user_sgpr_dispatch_ptr 0
		.amdhsa_user_sgpr_queue_ptr 0
		.amdhsa_user_sgpr_kernarg_segment_ptr 1
		.amdhsa_user_sgpr_dispatch_id 0
		.amdhsa_user_sgpr_private_segment_size 0
		.amdhsa_wavefront_size32 1
		.amdhsa_uses_dynamic_stack 0
		.amdhsa_enable_private_segment 0
		.amdhsa_system_sgpr_workgroup_id_x 1
		.amdhsa_system_sgpr_workgroup_id_y 0
		.amdhsa_system_sgpr_workgroup_id_z 1
		.amdhsa_system_sgpr_workgroup_info 0
		.amdhsa_system_vgpr_workitem_id 0
		.amdhsa_next_free_vgpr 64
		.amdhsa_next_free_sgpr 44
		.amdhsa_reserve_vcc 1
		.amdhsa_float_round_mode_32 0
		.amdhsa_float_round_mode_16_64 0
		.amdhsa_float_denorm_mode_32 3
		.amdhsa_float_denorm_mode_16_64 3
		.amdhsa_fp16_overflow 0
		.amdhsa_workgroup_processor_mode 1
		.amdhsa_memory_ordered 1
		.amdhsa_forward_progress 1
		.amdhsa_inst_pref_size 130
		.amdhsa_round_robin_scheduling 0
		.amdhsa_exception_fp_ieee_invalid_op 0
		.amdhsa_exception_fp_denorm_src 0
		.amdhsa_exception_fp_ieee_div_zero 0
		.amdhsa_exception_fp_ieee_overflow 0
		.amdhsa_exception_fp_ieee_underflow 0
		.amdhsa_exception_fp_ieee_inexact 0
		.amdhsa_exception_int_div_zero 0
	.end_amdhsa_kernel
	.section	.text._ZL31rocblas_trsm_small_right_deviceI19rocblas_complex_numIdES1_PKPKS1_PKPS1_Li8EEv13rocblas_fill_18rocblas_operation_17rocblas_diagonal_iiT0_T1_lilT2_lili,"axG",@progbits,_ZL31rocblas_trsm_small_right_deviceI19rocblas_complex_numIdES1_PKPKS1_PKPS1_Li8EEv13rocblas_fill_18rocblas_operation_17rocblas_diagonal_iiT0_T1_lilT2_lili,comdat
.Lfunc_end208:
	.size	_ZL31rocblas_trsm_small_right_deviceI19rocblas_complex_numIdES1_PKPKS1_PKPS1_Li8EEv13rocblas_fill_18rocblas_operation_17rocblas_diagonal_iiT0_T1_lilT2_lili, .Lfunc_end208-_ZL31rocblas_trsm_small_right_deviceI19rocblas_complex_numIdES1_PKPKS1_PKPS1_Li8EEv13rocblas_fill_18rocblas_operation_17rocblas_diagonal_iiT0_T1_lilT2_lili
                                        ; -- End function
	.set _ZL31rocblas_trsm_small_right_deviceI19rocblas_complex_numIdES1_PKPKS1_PKPS1_Li8EEv13rocblas_fill_18rocblas_operation_17rocblas_diagonal_iiT0_T1_lilT2_lili.num_vgpr, 64
	.set _ZL31rocblas_trsm_small_right_deviceI19rocblas_complex_numIdES1_PKPKS1_PKPS1_Li8EEv13rocblas_fill_18rocblas_operation_17rocblas_diagonal_iiT0_T1_lilT2_lili.num_agpr, 0
	.set _ZL31rocblas_trsm_small_right_deviceI19rocblas_complex_numIdES1_PKPKS1_PKPS1_Li8EEv13rocblas_fill_18rocblas_operation_17rocblas_diagonal_iiT0_T1_lilT2_lili.numbered_sgpr, 44
	.set _ZL31rocblas_trsm_small_right_deviceI19rocblas_complex_numIdES1_PKPKS1_PKPS1_Li8EEv13rocblas_fill_18rocblas_operation_17rocblas_diagonal_iiT0_T1_lilT2_lili.num_named_barrier, 0
	.set _ZL31rocblas_trsm_small_right_deviceI19rocblas_complex_numIdES1_PKPKS1_PKPS1_Li8EEv13rocblas_fill_18rocblas_operation_17rocblas_diagonal_iiT0_T1_lilT2_lili.private_seg_size, 0
	.set _ZL31rocblas_trsm_small_right_deviceI19rocblas_complex_numIdES1_PKPKS1_PKPS1_Li8EEv13rocblas_fill_18rocblas_operation_17rocblas_diagonal_iiT0_T1_lilT2_lili.uses_vcc, 1
	.set _ZL31rocblas_trsm_small_right_deviceI19rocblas_complex_numIdES1_PKPKS1_PKPS1_Li8EEv13rocblas_fill_18rocblas_operation_17rocblas_diagonal_iiT0_T1_lilT2_lili.uses_flat_scratch, 0
	.set _ZL31rocblas_trsm_small_right_deviceI19rocblas_complex_numIdES1_PKPKS1_PKPS1_Li8EEv13rocblas_fill_18rocblas_operation_17rocblas_diagonal_iiT0_T1_lilT2_lili.has_dyn_sized_stack, 0
	.set _ZL31rocblas_trsm_small_right_deviceI19rocblas_complex_numIdES1_PKPKS1_PKPS1_Li8EEv13rocblas_fill_18rocblas_operation_17rocblas_diagonal_iiT0_T1_lilT2_lili.has_recursion, 0
	.set _ZL31rocblas_trsm_small_right_deviceI19rocblas_complex_numIdES1_PKPKS1_PKPS1_Li8EEv13rocblas_fill_18rocblas_operation_17rocblas_diagonal_iiT0_T1_lilT2_lili.has_indirect_call, 0
	.section	.AMDGPU.csdata,"",@progbits
; Kernel info:
; codeLenInByte = 16572
; TotalNumSgprs: 46
; NumVgprs: 64
; ScratchSize: 0
; MemoryBound: 0
; FloatMode: 240
; IeeeMode: 1
; LDSByteSize: 2048 bytes/workgroup (compile time only)
; SGPRBlocks: 0
; VGPRBlocks: 7
; NumSGPRsForWavesPerEU: 46
; NumVGPRsForWavesPerEU: 64
; Occupancy: 16
; WaveLimiterHint : 0
; COMPUTE_PGM_RSRC2:SCRATCH_EN: 0
; COMPUTE_PGM_RSRC2:USER_SGPR: 2
; COMPUTE_PGM_RSRC2:TRAP_HANDLER: 0
; COMPUTE_PGM_RSRC2:TGID_X_EN: 1
; COMPUTE_PGM_RSRC2:TGID_Y_EN: 0
; COMPUTE_PGM_RSRC2:TGID_Z_EN: 1
; COMPUTE_PGM_RSRC2:TIDIG_COMP_CNT: 0
	.section	.text._ZL38rocblas_trsm_small_left_device_sharedBILi12ELi12ELb0E19rocblas_complex_numIdES1_PKPKS1_PKPS1_Ev13rocblas_fill_18rocblas_operation_17rocblas_diagonal_iiT3_T4_lilT5_lili,"axG",@progbits,_ZL38rocblas_trsm_small_left_device_sharedBILi12ELi12ELb0E19rocblas_complex_numIdES1_PKPKS1_PKPS1_Ev13rocblas_fill_18rocblas_operation_17rocblas_diagonal_iiT3_T4_lilT5_lili,comdat
	.globl	_ZL38rocblas_trsm_small_left_device_sharedBILi12ELi12ELb0E19rocblas_complex_numIdES1_PKPKS1_PKPS1_Ev13rocblas_fill_18rocblas_operation_17rocblas_diagonal_iiT3_T4_lilT5_lili ; -- Begin function _ZL38rocblas_trsm_small_left_device_sharedBILi12ELi12ELb0E19rocblas_complex_numIdES1_PKPKS1_PKPS1_Ev13rocblas_fill_18rocblas_operation_17rocblas_diagonal_iiT3_T4_lilT5_lili
	.p2align	8
	.type	_ZL38rocblas_trsm_small_left_device_sharedBILi12ELi12ELb0E19rocblas_complex_numIdES1_PKPKS1_PKPS1_Ev13rocblas_fill_18rocblas_operation_17rocblas_diagonal_iiT3_T4_lilT5_lili,@function
_ZL38rocblas_trsm_small_left_device_sharedBILi12ELi12ELb0E19rocblas_complex_numIdES1_PKPKS1_PKPS1_Ev13rocblas_fill_18rocblas_operation_17rocblas_diagonal_iiT3_T4_lilT5_lili: ; @_ZL38rocblas_trsm_small_left_device_sharedBILi12ELi12ELb0E19rocblas_complex_numIdES1_PKPKS1_PKPS1_Ev13rocblas_fill_18rocblas_operation_17rocblas_diagonal_iiT3_T4_lilT5_lili
; %bb.0:
	s_load_b32 s24, s[0:1], 0x68
	s_lshr_b32 s2, ttmp7, 16
	s_wait_kmcnt 0x0
	s_cmp_ge_u32 s2, s24
	s_cbranch_scc1 .LBB209_62
; %bb.1:
	s_clause 0x5
	s_load_b32 s22, s[0:1], 0x38
	s_load_b32 s30, s[0:1], 0x58
	s_load_b128 s[16:19], s[0:1], 0x4
	s_load_b32 s3, s[0:1], 0x70
	s_load_b128 s[12:15], s[0:1], 0x48
	s_load_b256 s[4:11], s[0:1], 0x18
	s_mul_i32 s1, ttmp9, -12
	s_mul_i32 s34, ttmp9, 12
	v_dual_mov_b32 v14, 0 :: v_dual_lshlrev_b32 v13, 4, v0
	v_mul_u32_u24_e32 v5, 0xc0, v0
	s_mov_b32 s21, 0
	s_delay_alu instid0(VALU_DEP_2) | instskip(NEXT) | instid1(VALU_DEP_2)
	v_or_b32_e32 v8, 0x900, v13
	v_add_nc_u32_e32 v19, v13, v5
	s_wait_kmcnt 0x0
	s_ashr_i32 s23, s22, 31
	s_ashr_i32 s31, s30, 31
	s_cmp_eq_u32 s16, 0x71
	v_mad_co_i64_i32 v[1:2], null, s30, v0, 0
	s_cselect_b32 s0, -1, 0
	s_min_i32 s25, s18, 12
	s_add_co_i32 s3, s3, -1
	s_add_co_i32 s1, s19, s1
	s_add_co_i32 s26, s25, -1
	s_cmp_ge_u32 ttmp9, s3
	v_lshlrev_b64_e32 v[9:10], 4, v[1:2]
	s_cselect_b32 s3, s1, 12
	s_ashr_i32 s35, s34, 31
	s_cmp_lg_u32 s17, 0x84
	v_cmp_gt_i32_e64 s1, s25, v0
	s_cselect_b32 s27, -1, 0
	s_cmp_gt_i32 s18, 0
	v_cmp_gt_i32_e32 vcc_lo, s3, v0
	s_cselect_b32 s20, -1, 0
	s_cmp_lg_u32 s16, 0x6f
	s_mul_u64 s[18:19], s[30:31], s[34:35]
	s_cselect_b32 s28, -1, 0
	s_lshl_b64 s[16:17], s[34:35], 4
	s_and_b32 s29, vcc_lo, s20
	v_add_co_u32 v0, s3, s16, v13
	s_wait_alu 0xf1ff
	v_add_co_ci_u32_e64 v3, null, s17, 0, s3
	s_lshl_b64 s[16:17], s[10:11], 4
	s_lshl_b64 s[10:11], s[14:15], 4
	v_mul_lo_u32 v6, v0, s31
	v_mul_lo_u32 v7, v3, s30
	v_mad_co_u64_u32 v[3:4], null, v0, s30, s[10:11]
	s_wait_alu 0xfffe
	v_add_co_u32 v0, s3, s16, v13
	s_wait_alu 0xf1ff
	v_add_co_ci_u32_e64 v15, null, s17, 0, s3
	s_mul_i32 s3, s25, 0xc0
	v_or_b32_e32 v16, 8, v0
	v_add3_u32 v17, v7, v4, v6
	v_or_b32_e32 v18, 8, v3
	s_or_b32 s30, 0, 8
	s_lshl_b64 s[14:15], s[22:23], 4
	s_wait_alu 0xfffe
	s_add_co_i32 s22, s3, 0xffffff40
	s_lshl_b64 s[16:17], s[18:19], 4
	s_branch .LBB209_3
.LBB209_2:                              ;   in Loop: Header=BB209_3 Depth=1
	s_wait_alu 0xfffe
	s_or_b32 exec_lo, exec_lo, s3
	s_add_co_i32 s2, s2, 0x10000
	s_wait_alu 0xfffe
	s_cmp_lt_u32 s2, s24
	s_cbranch_scc0 .LBB209_62
.LBB209_3:                              ; =>This Loop Header: Depth=1
                                        ;     Child Loop BB209_5 Depth 2
                                        ;     Child Loop BB209_16 Depth 2
	;; [unrolled: 1-line block ×3, first 2 shown]
                                        ;       Child Loop BB209_23 Depth 3
                                        ;         Child Loop BB209_24 Depth 4
                                        ;         Child Loop BB209_27 Depth 4
                                        ;           Child Loop BB209_28 Depth 5
                                        ;         Child Loop BB209_32 Depth 4
                                        ;           Child Loop BB209_34 Depth 5
                                        ;     Child Loop BB209_42 Depth 2
                                        ;       Child Loop BB209_45 Depth 3
                                        ;         Child Loop BB209_46 Depth 4
                                        ;         Child Loop BB209_48 Depth 4
                                        ;           Child Loop BB209_49 Depth 5
                                        ;         Child Loop BB209_53 Depth 4
                                        ;           Child Loop BB209_55 Depth 5
                                        ;     Child Loop BB209_61 Depth 2
	s_mov_b32 s3, s21
	s_wait_alu 0xfffe
	s_lshl_b64 s[18:19], s[2:3], 3
	s_delay_alu instid0(SALU_CYCLE_1)
	s_add_nc_u64 s[34:35], s[12:13], s[18:19]
	global_load_b64 v[11:12], v14, s[34:35]
	s_and_saveexec_b32 s3, s1
	s_cbranch_execz .LBB209_14
; %bb.4:                                ;   in Loop: Header=BB209_3 Depth=1
	s_add_nc_u64 s[18:19], s[8:9], s[18:19]
	v_mov_b32_e32 v2, v13
	global_load_b64 v[0:1], v14, s[18:19]
	s_mov_b32 s18, s25
	s_wait_loadcnt 0x0
	v_add_co_u32 v0, vcc_lo, v0, v16
	s_wait_alu 0xfffd
	v_add_co_ci_u32_e64 v1, null, v1, v15, vcc_lo
.LBB209_5:                              ;   Parent Loop BB209_3 Depth=1
                                        ; =>  This Inner Loop Header: Depth=2
	flat_load_b128 v[3:6], v[0:1] offset:-8
	v_add_co_u32 v0, vcc_lo, v0, s14
	s_wait_alu 0xfffd
	v_add_co_ci_u32_e64 v1, null, s15, v1, vcc_lo
	s_add_co_i32 s18, s18, -1
	s_delay_alu instid0(SALU_CYCLE_1) | instskip(SKIP_2) | instid1(VALU_DEP_1)
	s_cmp_eq_u32 s18, 0
	s_wait_loadcnt_dscnt 0x0
	v_xor_b32_e32 v7, 0x80000000, v6
	v_cndmask_b32_e64 v6, v6, v7, s0
	ds_store_b128 v2, v[3:6]
	v_add_nc_u32_e32 v2, 0xc0, v2
	s_cbranch_scc0 .LBB209_5
; %bb.6:                                ;   in Loop: Header=BB209_3 Depth=1
	s_and_b32 vcc_lo, exec_lo, s27
	s_wait_alu 0xfffe
	s_cbranch_vccz .LBB209_12
; %bb.7:                                ;   in Loop: Header=BB209_3 Depth=1
	ds_load_b128 v[0:3], v19
                                        ; implicit-def: $vgpr6_vgpr7
	s_wait_dscnt 0x0
	v_cmp_ngt_f64_e64 s18, |v[0:1]|, |v[2:3]|
	s_and_saveexec_b32 s19, s18
	s_delay_alu instid0(SALU_CYCLE_1)
	s_xor_b32 s18, exec_lo, s19
	s_cbranch_execz .LBB209_9
; %bb.8:                                ;   in Loop: Header=BB209_3 Depth=1
	v_div_scale_f64 v[4:5], null, v[2:3], v[2:3], v[0:1]
	v_div_scale_f64 v[22:23], vcc_lo, v[0:1], v[2:3], v[0:1]
	s_delay_alu instid0(VALU_DEP_2) | instskip(NEXT) | instid1(TRANS32_DEP_1)
	v_rcp_f64_e32 v[6:7], v[4:5]
	v_fma_f64 v[20:21], -v[4:5], v[6:7], 1.0
	s_delay_alu instid0(VALU_DEP_1) | instskip(NEXT) | instid1(VALU_DEP_1)
	v_fma_f64 v[6:7], v[6:7], v[20:21], v[6:7]
	v_fma_f64 v[20:21], -v[4:5], v[6:7], 1.0
	s_delay_alu instid0(VALU_DEP_1) | instskip(NEXT) | instid1(VALU_DEP_1)
	v_fma_f64 v[6:7], v[6:7], v[20:21], v[6:7]
	v_mul_f64_e32 v[20:21], v[22:23], v[6:7]
	s_delay_alu instid0(VALU_DEP_1) | instskip(SKIP_1) | instid1(VALU_DEP_1)
	v_fma_f64 v[4:5], -v[4:5], v[20:21], v[22:23]
	s_wait_alu 0xfffd
	v_div_fmas_f64 v[4:5], v[4:5], v[6:7], v[20:21]
	s_delay_alu instid0(VALU_DEP_1) | instskip(NEXT) | instid1(VALU_DEP_1)
	v_div_fixup_f64 v[4:5], v[4:5], v[2:3], v[0:1]
	v_fma_f64 v[0:1], v[0:1], v[4:5], v[2:3]
	s_delay_alu instid0(VALU_DEP_1) | instskip(SKIP_1) | instid1(VALU_DEP_2)
	v_div_scale_f64 v[2:3], null, v[0:1], v[0:1], 1.0
	v_div_scale_f64 v[22:23], vcc_lo, 1.0, v[0:1], 1.0
	v_rcp_f64_e32 v[6:7], v[2:3]
	s_delay_alu instid0(TRANS32_DEP_1) | instskip(NEXT) | instid1(VALU_DEP_1)
	v_fma_f64 v[20:21], -v[2:3], v[6:7], 1.0
	v_fma_f64 v[6:7], v[6:7], v[20:21], v[6:7]
	s_delay_alu instid0(VALU_DEP_1) | instskip(NEXT) | instid1(VALU_DEP_1)
	v_fma_f64 v[20:21], -v[2:3], v[6:7], 1.0
	v_fma_f64 v[6:7], v[6:7], v[20:21], v[6:7]
	s_delay_alu instid0(VALU_DEP_1) | instskip(NEXT) | instid1(VALU_DEP_1)
	v_mul_f64_e32 v[20:21], v[22:23], v[6:7]
	v_fma_f64 v[2:3], -v[2:3], v[20:21], v[22:23]
	s_wait_alu 0xfffd
	s_delay_alu instid0(VALU_DEP_1) | instskip(SKIP_1) | instid1(VALU_DEP_2)
	v_div_fmas_f64 v[2:3], v[2:3], v[6:7], v[20:21]
	v_add_f64_e32 v[6:7], 0, v[4:5]
	v_div_fixup_f64 v[0:1], v[2:3], v[0:1], 1.0
	v_fma_f64 v[2:3], v[4:5], 0, -1.0
	s_delay_alu instid0(VALU_DEP_2) | instskip(NEXT) | instid1(VALU_DEP_2)
	v_mul_f64_e32 v[4:5], v[6:7], v[0:1]
	v_mul_f64_e32 v[6:7], v[2:3], v[0:1]
                                        ; implicit-def: $vgpr0_vgpr1
.LBB209_9:                              ;   in Loop: Header=BB209_3 Depth=1
	s_and_not1_saveexec_b32 s18, s18
	s_cbranch_execz .LBB209_11
; %bb.10:                               ;   in Loop: Header=BB209_3 Depth=1
	v_div_scale_f64 v[4:5], null, v[0:1], v[0:1], v[2:3]
	v_div_scale_f64 v[22:23], vcc_lo, v[2:3], v[0:1], v[2:3]
	s_delay_alu instid0(VALU_DEP_2) | instskip(NEXT) | instid1(TRANS32_DEP_1)
	v_rcp_f64_e32 v[6:7], v[4:5]
	v_fma_f64 v[20:21], -v[4:5], v[6:7], 1.0
	s_delay_alu instid0(VALU_DEP_1) | instskip(NEXT) | instid1(VALU_DEP_1)
	v_fma_f64 v[6:7], v[6:7], v[20:21], v[6:7]
	v_fma_f64 v[20:21], -v[4:5], v[6:7], 1.0
	s_delay_alu instid0(VALU_DEP_1) | instskip(NEXT) | instid1(VALU_DEP_1)
	v_fma_f64 v[6:7], v[6:7], v[20:21], v[6:7]
	v_mul_f64_e32 v[20:21], v[22:23], v[6:7]
	s_delay_alu instid0(VALU_DEP_1) | instskip(SKIP_1) | instid1(VALU_DEP_1)
	v_fma_f64 v[4:5], -v[4:5], v[20:21], v[22:23]
	s_wait_alu 0xfffd
	v_div_fmas_f64 v[4:5], v[4:5], v[6:7], v[20:21]
	s_delay_alu instid0(VALU_DEP_1) | instskip(NEXT) | instid1(VALU_DEP_1)
	v_div_fixup_f64 v[4:5], v[4:5], v[0:1], v[2:3]
	v_fma_f64 v[0:1], v[2:3], v[4:5], v[0:1]
	s_delay_alu instid0(VALU_DEP_1) | instskip(SKIP_1) | instid1(VALU_DEP_2)
	v_div_scale_f64 v[2:3], null, v[0:1], v[0:1], 1.0
	v_div_scale_f64 v[22:23], vcc_lo, 1.0, v[0:1], 1.0
	v_rcp_f64_e32 v[6:7], v[2:3]
	s_delay_alu instid0(TRANS32_DEP_1) | instskip(NEXT) | instid1(VALU_DEP_1)
	v_fma_f64 v[20:21], -v[2:3], v[6:7], 1.0
	v_fma_f64 v[6:7], v[6:7], v[20:21], v[6:7]
	s_delay_alu instid0(VALU_DEP_1) | instskip(NEXT) | instid1(VALU_DEP_1)
	v_fma_f64 v[20:21], -v[2:3], v[6:7], 1.0
	v_fma_f64 v[6:7], v[6:7], v[20:21], v[6:7]
	s_delay_alu instid0(VALU_DEP_1) | instskip(NEXT) | instid1(VALU_DEP_1)
	v_mul_f64_e32 v[20:21], v[22:23], v[6:7]
	v_fma_f64 v[2:3], -v[2:3], v[20:21], v[22:23]
	s_wait_alu 0xfffd
	s_delay_alu instid0(VALU_DEP_1) | instskip(SKIP_1) | instid1(VALU_DEP_2)
	v_div_fmas_f64 v[2:3], v[2:3], v[6:7], v[20:21]
	v_fma_f64 v[6:7], v[4:5], 0, 1.0
	v_div_fixup_f64 v[0:1], v[2:3], v[0:1], 1.0
	v_add_f64_e64 v[2:3], -v[4:5], 0
	s_delay_alu instid0(VALU_DEP_2) | instskip(NEXT) | instid1(VALU_DEP_2)
	v_mul_f64_e32 v[4:5], v[6:7], v[0:1]
	v_mul_f64_e32 v[6:7], v[2:3], v[0:1]
.LBB209_11:                             ;   in Loop: Header=BB209_3 Depth=1
	s_or_b32 exec_lo, exec_lo, s18
	s_branch .LBB209_13
.LBB209_12:                             ;   in Loop: Header=BB209_3 Depth=1
	v_mov_b32_e32 v6, 0
	v_dual_mov_b32 v7, 0 :: v_dual_mov_b32 v4, 0
	v_mov_b32_e32 v5, 0x3ff00000
.LBB209_13:                             ;   in Loop: Header=BB209_3 Depth=1
	ds_store_b128 v19, v[4:7]
.LBB209_14:                             ;   in Loop: Header=BB209_3 Depth=1
	s_wait_alu 0xfffe
	s_or_b32 exec_lo, exec_lo, s3
	s_and_saveexec_b32 s3, s29
	s_cbranch_execz .LBB209_17
; %bb.15:                               ;   in Loop: Header=BB209_3 Depth=1
	s_wait_loadcnt 0x0
	v_add_co_u32 v0, vcc_lo, v11, v18
	s_wait_alu 0xfffd
	v_add_co_ci_u32_e64 v1, null, v12, v17, vcc_lo
	v_mov_b32_e32 v2, v8
	s_mov_b32 s18, s25
.LBB209_16:                             ;   Parent Loop BB209_3 Depth=1
                                        ; =>  This Inner Loop Header: Depth=2
	flat_load_b128 v[3:6], v[0:1] offset:-8
	v_add_co_u32 v0, vcc_lo, v0, 16
	s_wait_alu 0xfffd
	v_add_co_ci_u32_e64 v1, null, 0, v1, vcc_lo
	s_add_co_i32 s18, s18, -1
	s_delay_alu instid0(SALU_CYCLE_1) | instskip(SKIP_3) | instid1(VALU_DEP_2)
	s_cmp_lg_u32 s18, 0
	s_wait_loadcnt_dscnt 0x0
	v_mul_f64_e32 v[20:21], s[6:7], v[5:6]
	v_mul_f64_e32 v[5:6], s[4:5], v[5:6]
	v_fma_f64 v[20:21], s[4:5], v[3:4], -v[20:21]
	s_delay_alu instid0(VALU_DEP_2)
	v_fma_f64 v[22:23], s[6:7], v[3:4], v[5:6]
	ds_store_b128 v2, v[20:23]
	v_add_nc_u32_e32 v2, 0xc0, v2
	s_cbranch_scc1 .LBB209_16
.LBB209_17:                             ;   in Loop: Header=BB209_3 Depth=1
	s_wait_alu 0xfffe
	s_or_b32 exec_lo, exec_lo, s3
	s_delay_alu instid0(SALU_CYCLE_1)
	s_and_not1_b32 vcc_lo, exec_lo, s28
	s_mov_b32 s3, -1
	; wave barrier
	s_wait_loadcnt_dscnt 0x0
	global_inv scope:SCOPE_SE
	s_wait_alu 0xfffe
	s_cbranch_vccnz .LBB209_39
; %bb.18:                               ;   in Loop: Header=BB209_3 Depth=1
	s_mov_b32 s20, 0
	s_delay_alu instid0(SALU_CYCLE_1)
	s_mov_b32 s3, s20
	s_branch .LBB209_20
.LBB209_19:                             ;   in Loop: Header=BB209_20 Depth=2
	s_cmp_lt_i32 s3, s25
	s_cselect_b32 s18, -1, 0
	s_add_co_i32 s19, s20, 1
	s_cmp_lt_u32 s20, 2
	s_cselect_b32 s20, -1, 0
	s_delay_alu instid0(SALU_CYCLE_1)
	s_and_b32 s18, s18, s20
	s_mov_b32 s20, s19
	s_and_b32 vcc_lo, exec_lo, s18
	s_wait_alu 0xfffe
	s_cbranch_vccz .LBB209_38
.LBB209_20:                             ;   Parent Loop BB209_3 Depth=1
                                        ; =>  This Loop Header: Depth=2
                                        ;       Child Loop BB209_23 Depth 3
                                        ;         Child Loop BB209_24 Depth 4
                                        ;         Child Loop BB209_27 Depth 4
                                        ;           Child Loop BB209_28 Depth 5
                                        ;         Child Loop BB209_32 Depth 4
                                        ;           Child Loop BB209_34 Depth 5
	s_getpc_b64 s[18:19]
	s_sext_i32_i16 s19, s19
	s_add_co_u32 s18, s18, __const._ZL38rocblas_trsm_small_left_device_sharedBILi12ELi12ELb0E19rocblas_complex_numIdES1_PKPKS1_PKPS1_Ev13rocblas_fill_18rocblas_operation_17rocblas_diagonal_iiT3_T4_lilT5_lili.step_sizes@rel32@lo+8
	s_add_co_ci_u32 s19, s19, __const._ZL38rocblas_trsm_small_left_device_sharedBILi12ELi12ELb0E19rocblas_complex_numIdES1_PKPKS1_PKPS1_Ev13rocblas_fill_18rocblas_operation_17rocblas_diagonal_iiT3_T4_lilT5_lili.step_sizes@rel32@hi+16
	s_lshl_b64 s[34:35], s[20:21], 2
	s_delay_alu instid0(SALU_CYCLE_1) | instskip(SKIP_3) | instid1(SALU_CYCLE_1)
	s_add_nc_u64 s[18:19], s[18:19], s[34:35]
	s_load_b32 s18, s[18:19], 0x0
	s_wait_kmcnt 0x0
	s_add_co_i32 s19, s18, -1
	s_add_co_i32 s23, s19, s3
	s_wait_alu 0xfffe
	s_cmp_ge_i32 s23, s25
	s_cbranch_scc1 .LBB209_19
; %bb.21:                               ;   in Loop: Header=BB209_20 Depth=2
	s_mul_i32 s23, s3, 0xc0
	s_max_i32 s31, s18, 1
	s_wait_alu 0xfffe
	v_add_nc_u32_e32 v4, s23, v8
	s_mul_i32 s33, s18, 0xc0
	s_mul_i32 s34, s3, 0xd0
	;; [unrolled: 1-line block ×3, first 2 shown]
	s_branch .LBB209_23
.LBB209_22:                             ;   in Loop: Header=BB209_23 Depth=3
	s_add_co_i32 s3, s3, s18
	v_add_nc_u32_e32 v4, s33, v4
	s_wait_alu 0xfffe
	s_add_co_i32 s36, s19, s3
	s_add_co_i32 s23, s23, s33
	s_add_co_i32 s34, s34, s35
	s_wait_alu 0xfffe
	s_cmp_ge_i32 s36, s25
	s_cbranch_scc1 .LBB209_19
.LBB209_23:                             ;   Parent Loop BB209_3 Depth=1
                                        ;     Parent Loop BB209_20 Depth=2
                                        ; =>    This Loop Header: Depth=3
                                        ;         Child Loop BB209_24 Depth 4
                                        ;         Child Loop BB209_27 Depth 4
                                        ;           Child Loop BB209_28 Depth 5
                                        ;         Child Loop BB209_32 Depth 4
                                        ;           Child Loop BB209_34 Depth 5
	v_mov_b32_e32 v0, v4
	s_mov_b32 s36, 0
	s_wait_alu 0xfffe
	s_mov_b32 s37, s31
.LBB209_24:                             ;   Parent Loop BB209_3 Depth=1
                                        ;     Parent Loop BB209_20 Depth=2
                                        ;       Parent Loop BB209_23 Depth=3
                                        ; =>      This Inner Loop Header: Depth=4
	ds_load_b128 v[20:23], v0
	v_add_nc_u32_e32 v0, 0xc0, v0
	s_wait_alu 0xfffe
	s_add_co_i32 s37, s37, -1
	s_wait_dscnt 0x0
	scratch_store_b128 off, v[20:23], s36
	s_add_co_i32 s36, s36, 16
	s_wait_alu 0xfffe
	s_cmp_eq_u32 s37, 0
	s_cbranch_scc0 .LBB209_24
; %bb.25:                               ;   in Loop: Header=BB209_23 Depth=3
	s_cmp_lt_i32 s3, 1
	s_cbranch_scc1 .LBB209_30
; %bb.26:                               ;   in Loop: Header=BB209_23 Depth=3
	s_mov_b32 s36, 0
	s_mov_b32 s37, s23
.LBB209_27:                             ;   Parent Loop BB209_3 Depth=1
                                        ;     Parent Loop BB209_20 Depth=2
                                        ;       Parent Loop BB209_23 Depth=3
                                        ; =>      This Loop Header: Depth=4
                                        ;           Child Loop BB209_28 Depth 5
	s_wait_alu 0xfffe
	v_mad_co_u64_u32 v[0:1], null, 0xc0, s36, v[8:9]
	s_mov_b32 s38, s30
	s_mov_b32 s39, s37
	s_mov_b32 s40, s31
	ds_load_b128 v[0:3], v0
.LBB209_28:                             ;   Parent Loop BB209_3 Depth=1
                                        ;     Parent Loop BB209_20 Depth=2
                                        ;       Parent Loop BB209_23 Depth=3
                                        ;         Parent Loop BB209_27 Depth=4
                                        ; =>        This Inner Loop Header: Depth=5
	scratch_load_b128 v[20:23], off, s38 offset:-8
	s_wait_alu 0xfffe
	v_mov_b32_e32 v5, s39
	s_add_co_i32 s40, s40, -1
	s_addk_co_i32 s39, 0xc0
	ds_load_b128 v[24:27], v5
	s_wait_dscnt 0x0
	v_mul_f64_e32 v[5:6], v[2:3], v[26:27]
	v_mul_f64_e32 v[26:27], v[0:1], v[26:27]
	s_delay_alu instid0(VALU_DEP_2) | instskip(NEXT) | instid1(VALU_DEP_2)
	v_fma_f64 v[5:6], v[0:1], v[24:25], -v[5:6]
	v_fma_f64 v[24:25], v[2:3], v[24:25], v[26:27]
	s_wait_loadcnt 0x0
	s_delay_alu instid0(VALU_DEP_2) | instskip(NEXT) | instid1(VALU_DEP_2)
	v_add_f64_e64 v[20:21], v[20:21], -v[5:6]
	v_add_f64_e64 v[22:23], v[22:23], -v[24:25]
	scratch_store_b128 off, v[20:23], s38 offset:-8
	s_add_co_i32 s38, s38, 16
	s_wait_alu 0xfffe
	s_cmp_eq_u32 s40, 0
	s_cbranch_scc0 .LBB209_28
; %bb.29:                               ;   in Loop: Header=BB209_27 Depth=4
	s_add_co_i32 s36, s36, 1
	s_add_co_i32 s37, s37, 16
	s_wait_alu 0xfffe
	s_cmp_eq_u32 s36, s3
	s_cbranch_scc0 .LBB209_27
.LBB209_30:                             ;   in Loop: Header=BB209_23 Depth=3
	s_mul_i32 s36, s3, 0xc0
	s_mov_b32 s37, 0
	s_mov_b32 s38, s34
	s_branch .LBB209_32
.LBB209_31:                             ;   in Loop: Header=BB209_32 Depth=4
	s_wait_alu 0xfffe
	s_mulk_i32 s40, 0xd0
	s_addk_co_i32 s38, 0xc0
	s_wait_alu 0xfffe
	v_mov_b32_e32 v5, s40
	s_lshl_b32 s40, s37, 4
	s_add_co_i32 s37, s37, 1
	s_wait_alu 0xfffe
	s_cmp_eq_u32 s37, s31
	ds_load_b128 v[20:23], v5
	s_wait_loadcnt_dscnt 0x0
	v_mul_f64_e32 v[5:6], v[22:23], v[2:3]
	v_mul_f64_e32 v[2:3], v[20:21], v[2:3]
	s_delay_alu instid0(VALU_DEP_2) | instskip(NEXT) | instid1(VALU_DEP_2)
	v_fma_f64 v[20:21], v[20:21], v[0:1], -v[5:6]
	v_fma_f64 v[22:23], v[22:23], v[0:1], v[2:3]
	v_add_nc_u32_e32 v0, s39, v8
	scratch_store_b128 off, v[20:23], s40
	ds_store_b128 v0, v[20:23]
	s_cbranch_scc1 .LBB209_22
.LBB209_32:                             ;   Parent Loop BB209_3 Depth=1
                                        ;     Parent Loop BB209_20 Depth=2
                                        ;       Parent Loop BB209_23 Depth=3
                                        ; =>      This Loop Header: Depth=4
                                        ;           Child Loop BB209_34 Depth 5
	s_wait_alu 0xfffe
	s_cmp_lg_u32 s37, 0
	s_cbranch_scc0 .LBB209_36
; %bb.33:                               ;   in Loop: Header=BB209_32 Depth=4
	s_lshl_b32 s41, s37, 4
	s_add_co_i32 s40, s37, s3
	scratch_load_b128 v[0:3], off, s41
	s_wait_alu 0xfffe
	s_mul_i32 s39, s40, 0xc0
	s_mov_b32 s42, s38
	s_mov_b32 s43, s30
	;; [unrolled: 1-line block ×3, first 2 shown]
.LBB209_34:                             ;   Parent Loop BB209_3 Depth=1
                                        ;     Parent Loop BB209_20 Depth=2
                                        ;       Parent Loop BB209_23 Depth=3
                                        ;         Parent Loop BB209_32 Depth=4
                                        ; =>        This Inner Loop Header: Depth=5
	scratch_load_b128 v[20:23], off, s43 offset:-8
	s_wait_alu 0xfffe
	v_mov_b32_e32 v5, s42
	s_add_co_i32 s44, s44, -1
	s_add_co_i32 s43, s43, 16
	s_add_co_i32 s42, s42, 16
	s_cmp_eq_u32 s44, 0
	ds_load_b128 v[24:27], v5
	s_wait_loadcnt_dscnt 0x0
	v_mul_f64_e32 v[5:6], v[26:27], v[22:23]
	v_mul_f64_e32 v[22:23], v[24:25], v[22:23]
	s_delay_alu instid0(VALU_DEP_2) | instskip(NEXT) | instid1(VALU_DEP_2)
	v_fma_f64 v[5:6], v[24:25], v[20:21], -v[5:6]
	v_fma_f64 v[20:21], v[26:27], v[20:21], v[22:23]
	s_delay_alu instid0(VALU_DEP_2) | instskip(NEXT) | instid1(VALU_DEP_2)
	v_add_f64_e64 v[0:1], v[0:1], -v[5:6]
	v_add_f64_e64 v[2:3], v[2:3], -v[20:21]
	scratch_store_b128 off, v[0:3], s41
	s_cbranch_scc0 .LBB209_34
; %bb.35:                               ;   in Loop: Header=BB209_32 Depth=4
	s_branch .LBB209_31
.LBB209_36:                             ;   in Loop: Header=BB209_32 Depth=4
                                        ; implicit-def: $vgpr0_vgpr1
                                        ; implicit-def: $sgpr40
                                        ; implicit-def: $sgpr39
	s_cbranch_execz .LBB209_31
; %bb.37:                               ;   in Loop: Header=BB209_32 Depth=4
	scratch_load_b128 v[0:3], off, off
	s_mov_b32 s39, s36
	s_mov_b32 s40, s3
	s_branch .LBB209_31
.LBB209_38:                             ;   in Loop: Header=BB209_3 Depth=1
	s_mov_b32 s3, 0
.LBB209_39:                             ;   in Loop: Header=BB209_3 Depth=1
	s_wait_alu 0xfffe
	s_and_b32 vcc_lo, exec_lo, s3
	s_wait_alu 0xfffe
	s_cbranch_vccz .LBB209_59
; %bb.40:                               ;   in Loop: Header=BB209_3 Depth=1
	s_mov_b32 s20, 0
	s_mov_b32 s3, s26
	s_branch .LBB209_42
.LBB209_41:                             ;   in Loop: Header=BB209_42 Depth=2
	s_cmp_gt_i32 s3, -1
	s_cselect_b32 s18, -1, 0
	s_add_co_i32 s19, s20, 1
	s_cmp_lt_u32 s20, 2
	s_cselect_b32 s20, -1, 0
	s_delay_alu instid0(SALU_CYCLE_1)
	s_and_b32 s18, s18, s20
	s_mov_b32 s20, s19
	s_and_not1_b32 vcc_lo, exec_lo, s18
	s_wait_alu 0xfffe
	s_cbranch_vccnz .LBB209_59
.LBB209_42:                             ;   Parent Loop BB209_3 Depth=1
                                        ; =>  This Loop Header: Depth=2
                                        ;       Child Loop BB209_45 Depth 3
                                        ;         Child Loop BB209_46 Depth 4
                                        ;         Child Loop BB209_48 Depth 4
                                        ;           Child Loop BB209_49 Depth 5
                                        ;         Child Loop BB209_53 Depth 4
                                        ;           Child Loop BB209_55 Depth 5
	s_getpc_b64 s[18:19]
	s_sext_i32_i16 s19, s19
	s_add_co_u32 s18, s18, __const._ZL38rocblas_trsm_small_left_device_sharedBILi12ELi12ELb0E19rocblas_complex_numIdES1_PKPKS1_PKPS1_Ev13rocblas_fill_18rocblas_operation_17rocblas_diagonal_iiT3_T4_lilT5_lili.step_sizes@rel32@lo+8
	s_add_co_ci_u32 s19, s19, __const._ZL38rocblas_trsm_small_left_device_sharedBILi12ELi12ELb0E19rocblas_complex_numIdES1_PKPKS1_PKPS1_Ev13rocblas_fill_18rocblas_operation_17rocblas_diagonal_iiT3_T4_lilT5_lili.step_sizes@rel32@hi+16
	s_lshl_b64 s[34:35], s[20:21], 2
	s_delay_alu instid0(SALU_CYCLE_1) | instskip(SKIP_3) | instid1(SALU_CYCLE_1)
	s_add_nc_u64 s[18:19], s[18:19], s[34:35]
	s_load_b32 s18, s[18:19], 0x0
	s_wait_kmcnt 0x0
	s_add_co_i32 s19, s18, -1
	s_cmp_lt_i32 s3, s19
	s_cbranch_scc1 .LBB209_41
; %bb.43:                               ;   in Loop: Header=BB209_42 Depth=2
	v_mad_co_u64_u32 v[4:5], null, 0xc0, s3, v[8:9]
	s_lshl_b32 s33, s3, 4
	s_lshl_b32 s34, s18, 4
	s_max_i32 s23, s18, 1
	s_mul_i32 s31, s18, 0xffffff40
	s_wait_alu 0xfffe
	s_add_co_i32 s33, s22, s33
	s_sub_co_i32 s34, 0, s34
	s_mul_i32 s35, s3, 0xd0
	s_mul_i32 s36, s18, 0xffffff30
	s_branch .LBB209_45
.LBB209_44:                             ;   in Loop: Header=BB209_45 Depth=3
	v_add_nc_u32_e32 v4, s31, v4
	s_sub_co_i32 s3, s3, s18
	s_add_co_i32 s33, s33, s34
	s_add_co_i32 s35, s35, s36
	s_wait_alu 0xfffe
	s_cmp_lt_i32 s3, s19
	s_cbranch_scc1 .LBB209_41
.LBB209_45:                             ;   Parent Loop BB209_3 Depth=1
                                        ;     Parent Loop BB209_42 Depth=2
                                        ; =>    This Loop Header: Depth=3
                                        ;         Child Loop BB209_46 Depth 4
                                        ;         Child Loop BB209_48 Depth 4
                                        ;           Child Loop BB209_49 Depth 5
                                        ;         Child Loop BB209_53 Depth 4
                                        ;           Child Loop BB209_55 Depth 5
	v_mov_b32_e32 v0, v4
	s_mov_b32 s37, 0
	s_mov_b32 s38, s23
.LBB209_46:                             ;   Parent Loop BB209_3 Depth=1
                                        ;     Parent Loop BB209_42 Depth=2
                                        ;       Parent Loop BB209_45 Depth=3
                                        ; =>      This Inner Loop Header: Depth=4
	ds_load_b128 v[20:23], v0
	v_add_nc_u32_e32 v0, 0xffffff40, v0
	s_wait_alu 0xfffe
	s_add_co_i32 s38, s38, -1
	s_wait_dscnt 0x0
	scratch_store_b128 off, v[20:23], s37
	s_add_co_i32 s37, s37, 16
	s_wait_alu 0xfffe
	s_cmp_eq_u32 s38, 0
	s_cbranch_scc0 .LBB209_46
; %bb.47:                               ;   in Loop: Header=BB209_45 Depth=3
	s_cmp_le_i32 s26, s3
	s_mov_b32 s37, s33
	s_mov_b32 s38, s26
	s_cbranch_scc1 .LBB209_51
.LBB209_48:                             ;   Parent Loop BB209_3 Depth=1
                                        ;     Parent Loop BB209_42 Depth=2
                                        ;       Parent Loop BB209_45 Depth=3
                                        ; =>      This Loop Header: Depth=4
                                        ;           Child Loop BB209_49 Depth 5
	s_wait_alu 0xfffe
	v_mad_co_u64_u32 v[0:1], null, 0xc0, s38, v[8:9]
	s_mov_b32 s39, s30
	s_mov_b32 s40, s37
	s_mov_b32 s41, s23
	ds_load_b128 v[0:3], v0
.LBB209_49:                             ;   Parent Loop BB209_3 Depth=1
                                        ;     Parent Loop BB209_42 Depth=2
                                        ;       Parent Loop BB209_45 Depth=3
                                        ;         Parent Loop BB209_48 Depth=4
                                        ; =>        This Inner Loop Header: Depth=5
	scratch_load_b128 v[20:23], off, s39 offset:-8
	s_wait_alu 0xfffe
	v_mov_b32_e32 v5, s40
	s_add_co_i32 s41, s41, -1
	s_add_co_i32 s40, s40, -16
	ds_load_b128 v[24:27], v5
	s_wait_dscnt 0x0
	v_mul_f64_e32 v[5:6], v[2:3], v[26:27]
	v_mul_f64_e32 v[26:27], v[0:1], v[26:27]
	s_delay_alu instid0(VALU_DEP_2) | instskip(NEXT) | instid1(VALU_DEP_2)
	v_fma_f64 v[5:6], v[0:1], v[24:25], -v[5:6]
	v_fma_f64 v[24:25], v[2:3], v[24:25], v[26:27]
	s_wait_loadcnt 0x0
	s_delay_alu instid0(VALU_DEP_2) | instskip(NEXT) | instid1(VALU_DEP_2)
	v_add_f64_e64 v[20:21], v[20:21], -v[5:6]
	v_add_f64_e64 v[22:23], v[22:23], -v[24:25]
	scratch_store_b128 off, v[20:23], s39 offset:-8
	s_add_co_i32 s39, s39, 16
	s_wait_alu 0xfffe
	s_cmp_eq_u32 s41, 0
	s_cbranch_scc0 .LBB209_49
; %bb.50:                               ;   in Loop: Header=BB209_48 Depth=4
	s_add_co_i32 s38, s38, -1
	s_addk_co_i32 s37, 0xff40
	s_wait_alu 0xfffe
	s_cmp_le_i32 s38, s3
	s_cbranch_scc0 .LBB209_48
.LBB209_51:                             ;   in Loop: Header=BB209_45 Depth=3
	s_mov_b32 s37, 0
	s_mov_b32 s38, s35
	s_branch .LBB209_53
.LBB209_52:                             ;   in Loop: Header=BB209_53 Depth=4
	s_wait_alu 0xfffe
	s_mul_i32 s40, s39, 0xd0
	s_add_co_i32 s38, s38, -16
	s_wait_alu 0xfffe
	v_mov_b32_e32 v5, s40
	ds_load_b128 v[20:23], v5
	s_wait_loadcnt_dscnt 0x0
	v_mul_f64_e32 v[5:6], v[22:23], v[2:3]
	v_mul_f64_e32 v[2:3], v[20:21], v[2:3]
	s_delay_alu instid0(VALU_DEP_2) | instskip(NEXT) | instid1(VALU_DEP_2)
	v_fma_f64 v[20:21], v[20:21], v[0:1], -v[5:6]
	v_fma_f64 v[22:23], v[22:23], v[0:1], v[2:3]
	v_mad_co_u64_u32 v[0:1], null, 0xc0, s39, v[8:9]
	s_lshl_b32 s39, s37, 4
	s_add_co_i32 s37, s37, 1
	s_wait_alu 0xfffe
	s_cmp_eq_u32 s37, s23
	scratch_store_b128 off, v[20:23], s39
	ds_store_b128 v0, v[20:23]
	s_cbranch_scc1 .LBB209_44
.LBB209_53:                             ;   Parent Loop BB209_3 Depth=1
                                        ;     Parent Loop BB209_42 Depth=2
                                        ;       Parent Loop BB209_45 Depth=3
                                        ; =>      This Loop Header: Depth=4
                                        ;           Child Loop BB209_55 Depth 5
	s_wait_alu 0xfffe
	s_cmp_lg_u32 s37, 0
	s_cbranch_scc0 .LBB209_57
; %bb.54:                               ;   in Loop: Header=BB209_53 Depth=4
	s_lshl_b32 s40, s37, 4
	s_sub_co_i32 s39, s3, s37
	scratch_load_b128 v[0:3], off, s40
	s_mov_b32 s41, s30
	s_mov_b32 s42, s38
	;; [unrolled: 1-line block ×3, first 2 shown]
.LBB209_55:                             ;   Parent Loop BB209_3 Depth=1
                                        ;     Parent Loop BB209_42 Depth=2
                                        ;       Parent Loop BB209_45 Depth=3
                                        ;         Parent Loop BB209_53 Depth=4
                                        ; =>        This Inner Loop Header: Depth=5
	scratch_load_b128 v[20:23], off, s41 offset:-8
	s_wait_alu 0xfffe
	v_mov_b32_e32 v5, s42
	s_add_co_i32 s43, s43, -1
	s_addk_co_i32 s42, 0xff40
	s_add_co_i32 s41, s41, 16
	s_wait_alu 0xfffe
	s_cmp_eq_u32 s43, 0
	ds_load_b128 v[24:27], v5
	s_wait_loadcnt_dscnt 0x0
	v_mul_f64_e32 v[5:6], v[26:27], v[22:23]
	v_mul_f64_e32 v[22:23], v[24:25], v[22:23]
	s_delay_alu instid0(VALU_DEP_2) | instskip(NEXT) | instid1(VALU_DEP_2)
	v_fma_f64 v[5:6], v[24:25], v[20:21], -v[5:6]
	v_fma_f64 v[20:21], v[26:27], v[20:21], v[22:23]
	s_delay_alu instid0(VALU_DEP_2) | instskip(NEXT) | instid1(VALU_DEP_2)
	v_add_f64_e64 v[0:1], v[0:1], -v[5:6]
	v_add_f64_e64 v[2:3], v[2:3], -v[20:21]
	scratch_store_b128 off, v[0:3], s40
	s_cbranch_scc0 .LBB209_55
; %bb.56:                               ;   in Loop: Header=BB209_53 Depth=4
	s_branch .LBB209_52
.LBB209_57:                             ;   in Loop: Header=BB209_53 Depth=4
                                        ; implicit-def: $vgpr0_vgpr1
                                        ; implicit-def: $sgpr39
	s_cbranch_execz .LBB209_52
; %bb.58:                               ;   in Loop: Header=BB209_53 Depth=4
	scratch_load_b128 v[0:3], off, off
	s_mov_b32 s39, s3
	s_branch .LBB209_52
.LBB209_59:                             ;   in Loop: Header=BB209_3 Depth=1
	s_wait_storecnt 0x0
	; wave barrier
	s_wait_loadcnt_dscnt 0x0
	global_inv scope:SCOPE_SE
	s_and_saveexec_b32 s3, s29
	s_cbranch_execz .LBB209_2
; %bb.60:                               ;   in Loop: Header=BB209_3 Depth=1
	v_add_co_u32 v0, vcc_lo, v11, s10
	s_wait_alu 0xfffd
	v_add_co_ci_u32_e64 v1, null, s11, v12, vcc_lo
	v_mov_b32_e32 v2, v8
	s_delay_alu instid0(VALU_DEP_3) | instskip(SKIP_1) | instid1(VALU_DEP_3)
	v_add_co_u32 v0, vcc_lo, v0, s16
	s_wait_alu 0xfffd
	v_add_co_ci_u32_e64 v1, null, s17, v1, vcc_lo
	s_mov_b32 s18, s25
	v_add_co_u32 v0, vcc_lo, v0, v9
	s_wait_alu 0xfffd
	v_add_co_ci_u32_e64 v1, null, v1, v10, vcc_lo
.LBB209_61:                             ;   Parent Loop BB209_3 Depth=1
                                        ; =>  This Inner Loop Header: Depth=2
	ds_load_2addr_b64 v[3:6], v2 offset1:1
	v_add_nc_u32_e32 v2, 0xc0, v2
	s_add_co_i32 s18, s18, -1
	s_delay_alu instid0(SALU_CYCLE_1)
	s_cmp_lg_u32 s18, 0
	s_wait_dscnt 0x0
	flat_store_b128 v[0:1], v[3:6]
	v_add_co_u32 v0, vcc_lo, v0, 16
	s_wait_alu 0xfffd
	v_add_co_ci_u32_e64 v1, null, 0, v1, vcc_lo
	s_cbranch_scc1 .LBB209_61
	s_branch .LBB209_2
.LBB209_62:
	s_endpgm
	.section	.rodata,"a",@progbits
	.p2align	6, 0x0
	.amdhsa_kernel _ZL38rocblas_trsm_small_left_device_sharedBILi12ELi12ELb0E19rocblas_complex_numIdES1_PKPKS1_PKPS1_Ev13rocblas_fill_18rocblas_operation_17rocblas_diagonal_iiT3_T4_lilT5_lili
		.amdhsa_group_segment_fixed_size 4608
		.amdhsa_private_segment_fixed_size 208
		.amdhsa_kernarg_size 368
		.amdhsa_user_sgpr_count 2
		.amdhsa_user_sgpr_dispatch_ptr 0
		.amdhsa_user_sgpr_queue_ptr 0
		.amdhsa_user_sgpr_kernarg_segment_ptr 1
		.amdhsa_user_sgpr_dispatch_id 0
		.amdhsa_user_sgpr_private_segment_size 0
		.amdhsa_wavefront_size32 1
		.amdhsa_uses_dynamic_stack 0
		.amdhsa_enable_private_segment 1
		.amdhsa_system_sgpr_workgroup_id_x 1
		.amdhsa_system_sgpr_workgroup_id_y 0
		.amdhsa_system_sgpr_workgroup_id_z 1
		.amdhsa_system_sgpr_workgroup_info 0
		.amdhsa_system_vgpr_workitem_id 0
		.amdhsa_next_free_vgpr 193
		.amdhsa_next_free_sgpr 45
		.amdhsa_reserve_vcc 1
		.amdhsa_float_round_mode_32 0
		.amdhsa_float_round_mode_16_64 0
		.amdhsa_float_denorm_mode_32 3
		.amdhsa_float_denorm_mode_16_64 3
		.amdhsa_fp16_overflow 0
		.amdhsa_workgroup_processor_mode 1
		.amdhsa_memory_ordered 1
		.amdhsa_forward_progress 1
		.amdhsa_inst_pref_size 25
		.amdhsa_round_robin_scheduling 0
		.amdhsa_exception_fp_ieee_invalid_op 0
		.amdhsa_exception_fp_denorm_src 0
		.amdhsa_exception_fp_ieee_div_zero 0
		.amdhsa_exception_fp_ieee_overflow 0
		.amdhsa_exception_fp_ieee_underflow 0
		.amdhsa_exception_fp_ieee_inexact 0
		.amdhsa_exception_int_div_zero 0
	.end_amdhsa_kernel
	.section	.text._ZL38rocblas_trsm_small_left_device_sharedBILi12ELi12ELb0E19rocblas_complex_numIdES1_PKPKS1_PKPS1_Ev13rocblas_fill_18rocblas_operation_17rocblas_diagonal_iiT3_T4_lilT5_lili,"axG",@progbits,_ZL38rocblas_trsm_small_left_device_sharedBILi12ELi12ELb0E19rocblas_complex_numIdES1_PKPKS1_PKPS1_Ev13rocblas_fill_18rocblas_operation_17rocblas_diagonal_iiT3_T4_lilT5_lili,comdat
.Lfunc_end209:
	.size	_ZL38rocblas_trsm_small_left_device_sharedBILi12ELi12ELb0E19rocblas_complex_numIdES1_PKPKS1_PKPS1_Ev13rocblas_fill_18rocblas_operation_17rocblas_diagonal_iiT3_T4_lilT5_lili, .Lfunc_end209-_ZL38rocblas_trsm_small_left_device_sharedBILi12ELi12ELb0E19rocblas_complex_numIdES1_PKPKS1_PKPS1_Ev13rocblas_fill_18rocblas_operation_17rocblas_diagonal_iiT3_T4_lilT5_lili
                                        ; -- End function
	.set _ZL38rocblas_trsm_small_left_device_sharedBILi12ELi12ELb0E19rocblas_complex_numIdES1_PKPKS1_PKPS1_Ev13rocblas_fill_18rocblas_operation_17rocblas_diagonal_iiT3_T4_lilT5_lili.num_vgpr, 28
	.set _ZL38rocblas_trsm_small_left_device_sharedBILi12ELi12ELb0E19rocblas_complex_numIdES1_PKPKS1_PKPS1_Ev13rocblas_fill_18rocblas_operation_17rocblas_diagonal_iiT3_T4_lilT5_lili.num_agpr, 0
	.set _ZL38rocblas_trsm_small_left_device_sharedBILi12ELi12ELb0E19rocblas_complex_numIdES1_PKPKS1_PKPS1_Ev13rocblas_fill_18rocblas_operation_17rocblas_diagonal_iiT3_T4_lilT5_lili.numbered_sgpr, 45
	.set _ZL38rocblas_trsm_small_left_device_sharedBILi12ELi12ELb0E19rocblas_complex_numIdES1_PKPKS1_PKPS1_Ev13rocblas_fill_18rocblas_operation_17rocblas_diagonal_iiT3_T4_lilT5_lili.num_named_barrier, 0
	.set _ZL38rocblas_trsm_small_left_device_sharedBILi12ELi12ELb0E19rocblas_complex_numIdES1_PKPKS1_PKPS1_Ev13rocblas_fill_18rocblas_operation_17rocblas_diagonal_iiT3_T4_lilT5_lili.private_seg_size, 208
	.set _ZL38rocblas_trsm_small_left_device_sharedBILi12ELi12ELb0E19rocblas_complex_numIdES1_PKPKS1_PKPS1_Ev13rocblas_fill_18rocblas_operation_17rocblas_diagonal_iiT3_T4_lilT5_lili.uses_vcc, 1
	.set _ZL38rocblas_trsm_small_left_device_sharedBILi12ELi12ELb0E19rocblas_complex_numIdES1_PKPKS1_PKPS1_Ev13rocblas_fill_18rocblas_operation_17rocblas_diagonal_iiT3_T4_lilT5_lili.uses_flat_scratch, 0
	.set _ZL38rocblas_trsm_small_left_device_sharedBILi12ELi12ELb0E19rocblas_complex_numIdES1_PKPKS1_PKPS1_Ev13rocblas_fill_18rocblas_operation_17rocblas_diagonal_iiT3_T4_lilT5_lili.has_dyn_sized_stack, 0
	.set _ZL38rocblas_trsm_small_left_device_sharedBILi12ELi12ELb0E19rocblas_complex_numIdES1_PKPKS1_PKPS1_Ev13rocblas_fill_18rocblas_operation_17rocblas_diagonal_iiT3_T4_lilT5_lili.has_recursion, 0
	.set _ZL38rocblas_trsm_small_left_device_sharedBILi12ELi12ELb0E19rocblas_complex_numIdES1_PKPKS1_PKPS1_Ev13rocblas_fill_18rocblas_operation_17rocblas_diagonal_iiT3_T4_lilT5_lili.has_indirect_call, 0
	.section	.AMDGPU.csdata,"",@progbits
; Kernel info:
; codeLenInByte = 3112
; TotalNumSgprs: 47
; NumVgprs: 28
; ScratchSize: 208
; MemoryBound: 0
; FloatMode: 240
; IeeeMode: 1
; LDSByteSize: 4608 bytes/workgroup (compile time only)
; SGPRBlocks: 0
; VGPRBlocks: 24
; NumSGPRsForWavesPerEU: 47
; NumVGPRsForWavesPerEU: 193
; Occupancy: 7
; WaveLimiterHint : 0
; COMPUTE_PGM_RSRC2:SCRATCH_EN: 1
; COMPUTE_PGM_RSRC2:USER_SGPR: 2
; COMPUTE_PGM_RSRC2:TRAP_HANDLER: 0
; COMPUTE_PGM_RSRC2:TGID_X_EN: 1
; COMPUTE_PGM_RSRC2:TGID_Y_EN: 0
; COMPUTE_PGM_RSRC2:TGID_Z_EN: 1
; COMPUTE_PGM_RSRC2:TIDIG_COMP_CNT: 0
	.section	.text._ZL30rocblas_trsm_small_left_deviceILi12ELi12ELb0E19rocblas_complex_numIdES1_PKPKS1_PKPS1_Ev13rocblas_fill_18rocblas_operation_17rocblas_diagonal_iiT3_T4_lilT5_lili,"axG",@progbits,_ZL30rocblas_trsm_small_left_deviceILi12ELi12ELb0E19rocblas_complex_numIdES1_PKPKS1_PKPS1_Ev13rocblas_fill_18rocblas_operation_17rocblas_diagonal_iiT3_T4_lilT5_lili,comdat
	.globl	_ZL30rocblas_trsm_small_left_deviceILi12ELi12ELb0E19rocblas_complex_numIdES1_PKPKS1_PKPS1_Ev13rocblas_fill_18rocblas_operation_17rocblas_diagonal_iiT3_T4_lilT5_lili ; -- Begin function _ZL30rocblas_trsm_small_left_deviceILi12ELi12ELb0E19rocblas_complex_numIdES1_PKPKS1_PKPS1_Ev13rocblas_fill_18rocblas_operation_17rocblas_diagonal_iiT3_T4_lilT5_lili
	.p2align	8
	.type	_ZL30rocblas_trsm_small_left_deviceILi12ELi12ELb0E19rocblas_complex_numIdES1_PKPKS1_PKPS1_Ev13rocblas_fill_18rocblas_operation_17rocblas_diagonal_iiT3_T4_lilT5_lili,@function
_ZL30rocblas_trsm_small_left_deviceILi12ELi12ELb0E19rocblas_complex_numIdES1_PKPKS1_PKPS1_Ev13rocblas_fill_18rocblas_operation_17rocblas_diagonal_iiT3_T4_lilT5_lili: ; @_ZL30rocblas_trsm_small_left_deviceILi12ELi12ELb0E19rocblas_complex_numIdES1_PKPKS1_PKPS1_Ev13rocblas_fill_18rocblas_operation_17rocblas_diagonal_iiT3_T4_lilT5_lili
; %bb.0:
	s_load_b32 s3, s[0:1], 0x68
	s_lshr_b32 s20, ttmp7, 16
	s_wait_kmcnt 0x0
	s_cmp_ge_u32 s20, s3
	s_cbranch_scc1 .LBB210_59
; %bb.1:
	s_clause 0x5
	s_load_b32 s22, s[0:1], 0x38
	s_load_b128 s[16:19], s[0:1], 0x4
	s_load_b32 s2, s[0:1], 0x58
	s_load_b32 s21, s[0:1], 0x70
	s_load_b128 s[12:15], s[0:1], 0x48
	s_load_b256 s[4:11], s[0:1], 0x18
	v_mad_co_u64_u32 v[1:2], null, ttmp9, 12, v[0:1]
	s_mul_i32 s1, ttmp9, -12
	v_dual_mov_b32 v13, 0 :: v_dual_lshlrev_b32 v12, 4, v0
	v_mul_u32_u24_e32 v3, 0xc0, v0
	s_mov_b32 s37, 0
                                        ; implicit-def: $sgpr38
                                        ; implicit-def: $sgpr39
	s_delay_alu instid0(VALU_DEP_1)
	v_add_nc_u32_e32 v18, v12, v3
	s_wait_kmcnt 0x0
	s_ashr_i32 s23, s22, 31
	s_cmp_eq_u32 s16, 0x71
	v_mad_co_i64_i32 v[1:2], null, s2, v1, 0
	s_cselect_b32 s0, -1, 0
	s_min_i32 s30, s18, 12
	s_add_co_i32 s21, s21, -1
	s_wait_alu 0xfffe
	s_add_co_i32 s2, s19, s1
	s_add_co_i32 s31, s30, -1
	s_cmp_ge_u32 ttmp9, s21
	v_lshlrev_b64_e32 v[8:9], 4, v[1:2]
	s_wait_alu 0xfffe
	s_cselect_b32 s2, s2, 12
	s_cmp_lg_u32 s17, 0x84
	v_cmp_gt_i32_e64 s1, s30, v0
	s_cselect_b32 s33, -1, 0
	s_cmp_lg_u32 s16, 0x6f
	s_wait_alu 0xfffe
	v_cmp_gt_i32_e64 s2, s2, v0
	s_cselect_b32 s34, -1, 0
	s_lshl_b64 s[16:17], s[10:11], 4
	s_lshl_b64 s[10:11], s[14:15], 4
	v_add_co_u32 v0, s14, s16, v12
	v_add_co_u32 v1, vcc_lo, v8, s10
	v_add_co_ci_u32_e64 v14, null, s17, 0, s14
	s_delay_alu instid0(VALU_DEP_3) | instskip(SKIP_1) | instid1(VALU_DEP_4)
	v_or_b32_e32 v15, 8, v0
	v_add_co_ci_u32_e64 v16, null, s11, v9, vcc_lo
	v_or_b32_e32 v17, 8, v1
	s_mul_i32 s36, s30, 0xc0
	s_or_b32 s35, 0, 8
	s_lshl_b64 s[14:15], s[22:23], 4
	s_addk_co_i32 s36, 0xff40
	s_mov_b32 s17, 0
	s_branch .LBB210_4
.LBB210_2:                              ;   in Loop: Header=BB210_4 Depth=1
	s_add_co_i32 s20, s20, 0x10000
	s_delay_alu instid0(SALU_CYCLE_1)
	s_cmp_ge_u32 s20, s3
	s_cselect_b32 s16, -1, 0
	s_and_not1_b32 s39, s39, exec_lo
	s_wait_alu 0xfffe
	s_or_not1_b32 s16, s16, exec_lo
.LBB210_3:                              ;   in Loop: Header=BB210_4 Depth=1
	s_or_b32 exec_lo, exec_lo, s21
	s_wait_alu 0xfffe
	s_and_b32 s16, exec_lo, s16
	s_wait_alu 0xfffe
	s_or_b32 s37, s16, s37
	s_and_not1_b32 s16, s38, exec_lo
	s_and_b32 s18, s39, exec_lo
	s_wait_alu 0xfffe
	s_or_b32 s38, s16, s18
	s_and_not1_b32 exec_lo, exec_lo, s37
	s_cbranch_execz .LBB210_58
.LBB210_4:                              ; =>This Loop Header: Depth=1
                                        ;     Child Loop BB210_6 Depth 2
                                        ;     Child Loop BB210_19 Depth 2
                                        ;       Child Loop BB210_22 Depth 3
                                        ;         Child Loop BB210_23 Depth 4
                                        ;         Child Loop BB210_26 Depth 4
                                        ;           Child Loop BB210_27 Depth 5
                                        ;         Child Loop BB210_31 Depth 4
                                        ;           Child Loop BB210_33 Depth 5
                                        ;     Child Loop BB210_41 Depth 2
                                        ;       Child Loop BB210_44 Depth 3
                                        ;         Child Loop BB210_45 Depth 4
                                        ;         Child Loop BB210_47 Depth 4
                                        ;           Child Loop BB210_48 Depth 5
                                        ;         Child Loop BB210_52 Depth 4
                                        ;           Child Loop BB210_54 Depth 5
	s_wait_alu 0xfffe
	s_mov_b32 s21, s17
	s_delay_alu instid0(SALU_CYCLE_1) | instskip(NEXT) | instid1(SALU_CYCLE_1)
	s_lshl_b64 s[18:19], s[20:21], 3
	s_add_nc_u64 s[22:23], s[12:13], s[18:19]
	global_load_b64 v[10:11], v13, s[22:23]
	s_and_saveexec_b32 s16, s1
	s_cbranch_execz .LBB210_15
; %bb.5:                                ;   in Loop: Header=BB210_4 Depth=1
	s_add_nc_u64 s[18:19], s[8:9], s[18:19]
	v_mov_b32_e32 v2, v12
	global_load_b64 v[0:1], v13, s[18:19]
	s_mov_b32 s18, s30
	s_wait_loadcnt 0x0
	v_add_co_u32 v0, vcc_lo, v0, v15
	s_wait_alu 0xfffd
	v_add_co_ci_u32_e64 v1, null, v1, v14, vcc_lo
.LBB210_6:                              ;   Parent Loop BB210_4 Depth=1
                                        ; =>  This Inner Loop Header: Depth=2
	flat_load_b128 v[3:6], v[0:1] offset:-8
	v_add_co_u32 v0, vcc_lo, v0, s14
	s_wait_alu 0xfffd
	v_add_co_ci_u32_e64 v1, null, s15, v1, vcc_lo
	s_add_co_i32 s18, s18, -1
	s_delay_alu instid0(SALU_CYCLE_1) | instskip(SKIP_2) | instid1(VALU_DEP_1)
	s_cmp_eq_u32 s18, 0
	s_wait_loadcnt_dscnt 0x0
	v_xor_b32_e32 v7, 0x80000000, v6
	v_cndmask_b32_e64 v6, v6, v7, s0
	ds_store_b128 v2, v[3:6]
	v_add_nc_u32_e32 v2, 0xc0, v2
	s_cbranch_scc0 .LBB210_6
; %bb.7:                                ;   in Loop: Header=BB210_4 Depth=1
	s_and_b32 vcc_lo, exec_lo, s33
	s_wait_alu 0xfffe
	s_cbranch_vccz .LBB210_13
; %bb.8:                                ;   in Loop: Header=BB210_4 Depth=1
	ds_load_b128 v[0:3], v18
                                        ; implicit-def: $vgpr6_vgpr7
	s_wait_dscnt 0x0
	v_cmp_ngt_f64_e64 s18, |v[0:1]|, |v[2:3]|
	s_and_saveexec_b32 s19, s18
	s_delay_alu instid0(SALU_CYCLE_1)
	s_xor_b32 s18, exec_lo, s19
	s_cbranch_execz .LBB210_10
; %bb.9:                                ;   in Loop: Header=BB210_4 Depth=1
	v_div_scale_f64 v[4:5], null, v[2:3], v[2:3], v[0:1]
	v_div_scale_f64 v[21:22], vcc_lo, v[0:1], v[2:3], v[0:1]
	s_delay_alu instid0(VALU_DEP_2) | instskip(NEXT) | instid1(TRANS32_DEP_1)
	v_rcp_f64_e32 v[6:7], v[4:5]
	v_fma_f64 v[19:20], -v[4:5], v[6:7], 1.0
	s_delay_alu instid0(VALU_DEP_1) | instskip(NEXT) | instid1(VALU_DEP_1)
	v_fma_f64 v[6:7], v[6:7], v[19:20], v[6:7]
	v_fma_f64 v[19:20], -v[4:5], v[6:7], 1.0
	s_delay_alu instid0(VALU_DEP_1) | instskip(NEXT) | instid1(VALU_DEP_1)
	v_fma_f64 v[6:7], v[6:7], v[19:20], v[6:7]
	v_mul_f64_e32 v[19:20], v[21:22], v[6:7]
	s_delay_alu instid0(VALU_DEP_1) | instskip(SKIP_1) | instid1(VALU_DEP_1)
	v_fma_f64 v[4:5], -v[4:5], v[19:20], v[21:22]
	s_wait_alu 0xfffd
	v_div_fmas_f64 v[4:5], v[4:5], v[6:7], v[19:20]
	s_delay_alu instid0(VALU_DEP_1) | instskip(NEXT) | instid1(VALU_DEP_1)
	v_div_fixup_f64 v[4:5], v[4:5], v[2:3], v[0:1]
	v_fma_f64 v[0:1], v[0:1], v[4:5], v[2:3]
	s_delay_alu instid0(VALU_DEP_1) | instskip(SKIP_1) | instid1(VALU_DEP_2)
	v_div_scale_f64 v[2:3], null, v[0:1], v[0:1], 1.0
	v_div_scale_f64 v[21:22], vcc_lo, 1.0, v[0:1], 1.0
	v_rcp_f64_e32 v[6:7], v[2:3]
	s_delay_alu instid0(TRANS32_DEP_1) | instskip(NEXT) | instid1(VALU_DEP_1)
	v_fma_f64 v[19:20], -v[2:3], v[6:7], 1.0
	v_fma_f64 v[6:7], v[6:7], v[19:20], v[6:7]
	s_delay_alu instid0(VALU_DEP_1) | instskip(NEXT) | instid1(VALU_DEP_1)
	v_fma_f64 v[19:20], -v[2:3], v[6:7], 1.0
	v_fma_f64 v[6:7], v[6:7], v[19:20], v[6:7]
	s_delay_alu instid0(VALU_DEP_1) | instskip(NEXT) | instid1(VALU_DEP_1)
	v_mul_f64_e32 v[19:20], v[21:22], v[6:7]
	v_fma_f64 v[2:3], -v[2:3], v[19:20], v[21:22]
	s_wait_alu 0xfffd
	s_delay_alu instid0(VALU_DEP_1) | instskip(SKIP_1) | instid1(VALU_DEP_2)
	v_div_fmas_f64 v[2:3], v[2:3], v[6:7], v[19:20]
	v_add_f64_e32 v[6:7], 0, v[4:5]
	v_div_fixup_f64 v[0:1], v[2:3], v[0:1], 1.0
	v_fma_f64 v[2:3], v[4:5], 0, -1.0
	s_delay_alu instid0(VALU_DEP_2) | instskip(NEXT) | instid1(VALU_DEP_2)
	v_mul_f64_e32 v[4:5], v[6:7], v[0:1]
	v_mul_f64_e32 v[6:7], v[2:3], v[0:1]
                                        ; implicit-def: $vgpr0_vgpr1
.LBB210_10:                             ;   in Loop: Header=BB210_4 Depth=1
	s_and_not1_saveexec_b32 s18, s18
	s_cbranch_execz .LBB210_12
; %bb.11:                               ;   in Loop: Header=BB210_4 Depth=1
	v_div_scale_f64 v[4:5], null, v[0:1], v[0:1], v[2:3]
	v_div_scale_f64 v[21:22], vcc_lo, v[2:3], v[0:1], v[2:3]
	s_delay_alu instid0(VALU_DEP_2) | instskip(NEXT) | instid1(TRANS32_DEP_1)
	v_rcp_f64_e32 v[6:7], v[4:5]
	v_fma_f64 v[19:20], -v[4:5], v[6:7], 1.0
	s_delay_alu instid0(VALU_DEP_1) | instskip(NEXT) | instid1(VALU_DEP_1)
	v_fma_f64 v[6:7], v[6:7], v[19:20], v[6:7]
	v_fma_f64 v[19:20], -v[4:5], v[6:7], 1.0
	s_delay_alu instid0(VALU_DEP_1) | instskip(NEXT) | instid1(VALU_DEP_1)
	v_fma_f64 v[6:7], v[6:7], v[19:20], v[6:7]
	v_mul_f64_e32 v[19:20], v[21:22], v[6:7]
	s_delay_alu instid0(VALU_DEP_1) | instskip(SKIP_1) | instid1(VALU_DEP_1)
	v_fma_f64 v[4:5], -v[4:5], v[19:20], v[21:22]
	s_wait_alu 0xfffd
	v_div_fmas_f64 v[4:5], v[4:5], v[6:7], v[19:20]
	s_delay_alu instid0(VALU_DEP_1) | instskip(NEXT) | instid1(VALU_DEP_1)
	v_div_fixup_f64 v[4:5], v[4:5], v[0:1], v[2:3]
	v_fma_f64 v[0:1], v[2:3], v[4:5], v[0:1]
	s_delay_alu instid0(VALU_DEP_1) | instskip(SKIP_1) | instid1(VALU_DEP_2)
	v_div_scale_f64 v[2:3], null, v[0:1], v[0:1], 1.0
	v_div_scale_f64 v[21:22], vcc_lo, 1.0, v[0:1], 1.0
	v_rcp_f64_e32 v[6:7], v[2:3]
	s_delay_alu instid0(TRANS32_DEP_1) | instskip(NEXT) | instid1(VALU_DEP_1)
	v_fma_f64 v[19:20], -v[2:3], v[6:7], 1.0
	v_fma_f64 v[6:7], v[6:7], v[19:20], v[6:7]
	s_delay_alu instid0(VALU_DEP_1) | instskip(NEXT) | instid1(VALU_DEP_1)
	v_fma_f64 v[19:20], -v[2:3], v[6:7], 1.0
	v_fma_f64 v[6:7], v[6:7], v[19:20], v[6:7]
	s_delay_alu instid0(VALU_DEP_1) | instskip(NEXT) | instid1(VALU_DEP_1)
	v_mul_f64_e32 v[19:20], v[21:22], v[6:7]
	v_fma_f64 v[2:3], -v[2:3], v[19:20], v[21:22]
	s_wait_alu 0xfffd
	s_delay_alu instid0(VALU_DEP_1) | instskip(SKIP_1) | instid1(VALU_DEP_2)
	v_div_fmas_f64 v[2:3], v[2:3], v[6:7], v[19:20]
	v_fma_f64 v[6:7], v[4:5], 0, 1.0
	v_div_fixup_f64 v[0:1], v[2:3], v[0:1], 1.0
	v_add_f64_e64 v[2:3], -v[4:5], 0
	s_delay_alu instid0(VALU_DEP_2) | instskip(NEXT) | instid1(VALU_DEP_2)
	v_mul_f64_e32 v[4:5], v[6:7], v[0:1]
	v_mul_f64_e32 v[6:7], v[2:3], v[0:1]
.LBB210_12:                             ;   in Loop: Header=BB210_4 Depth=1
	s_or_b32 exec_lo, exec_lo, s18
	s_branch .LBB210_14
.LBB210_13:                             ;   in Loop: Header=BB210_4 Depth=1
	v_mov_b32_e32 v6, 0
	v_dual_mov_b32 v7, 0 :: v_dual_mov_b32 v4, 0
	v_mov_b32_e32 v5, 0x3ff00000
.LBB210_14:                             ;   in Loop: Header=BB210_4 Depth=1
	ds_store_b128 v18, v[4:7]
.LBB210_15:                             ;   in Loop: Header=BB210_4 Depth=1
	s_wait_alu 0xfffe
	s_or_b32 exec_lo, exec_lo, s16
	s_mov_b32 s16, -1
	s_or_b32 s39, s39, exec_lo
	; wave barrier
	s_wait_loadcnt_dscnt 0x0
	global_inv scope:SCOPE_SE
	s_and_saveexec_b32 s21, s2
	s_cbranch_execz .LBB210_3
; %bb.16:                               ;   in Loop: Header=BB210_4 Depth=1
	v_add_co_u32 v0, vcc_lo, v10, s10
	s_wait_alu 0xfffd
	v_add_co_ci_u32_e64 v1, null, s11, v11, vcc_lo
	s_delay_alu instid0(VALU_DEP_2) | instskip(SKIP_1) | instid1(VALU_DEP_2)
	v_add_co_u32 v6, vcc_lo, v0, v8
	s_wait_alu 0xfffd
	v_add_co_ci_u32_e64 v7, null, v1, v9, vcc_lo
	s_and_not1_b32 vcc_lo, exec_lo, s34
	s_wait_alu 0xfffe
	s_cbranch_vccnz .LBB210_38
; %bb.17:                               ;   in Loop: Header=BB210_4 Depth=1
	v_add_co_u32 v19, vcc_lo, v10, v17
	s_wait_alu 0xfffd
	v_add_co_ci_u32_e64 v20, null, v11, v16, vcc_lo
	s_mov_b32 s22, 0
	s_mov_b32 s18, 0
	s_branch .LBB210_19
.LBB210_18:                             ;   in Loop: Header=BB210_19 Depth=2
	s_cmp_lt_i32 s18, s30
	s_cselect_b32 s16, -1, 0
	s_add_co_i32 s19, s22, 1
	s_cmp_lt_u32 s22, 2
	s_cselect_b32 s22, -1, 0
	s_wait_alu 0xfffe
	s_and_b32 s16, s16, s22
	s_mov_b32 s22, s19
	s_wait_alu 0xfffe
	s_and_b32 vcc_lo, exec_lo, s16
	s_wait_alu 0xfffe
	s_cbranch_vccz .LBB210_37
.LBB210_19:                             ;   Parent Loop BB210_4 Depth=1
                                        ; =>  This Loop Header: Depth=2
                                        ;       Child Loop BB210_22 Depth 3
                                        ;         Child Loop BB210_23 Depth 4
                                        ;         Child Loop BB210_26 Depth 4
                                        ;           Child Loop BB210_27 Depth 5
                                        ;         Child Loop BB210_31 Depth 4
                                        ;           Child Loop BB210_33 Depth 5
	s_mov_b32 s23, s17
	s_getpc_b64 s[24:25]
	s_wait_alu 0xfffe
	s_sext_i32_i16 s25, s25
	s_add_co_u32 s24, s24, __const._ZL30rocblas_trsm_small_left_deviceILi12ELi12ELb0E19rocblas_complex_numIdES1_PKPKS1_PKPS1_Ev13rocblas_fill_18rocblas_operation_17rocblas_diagonal_iiT3_T4_lilT5_lili.step_sizes@rel32@lo+12
	s_wait_alu 0xfffe
	s_add_co_ci_u32 s25, s25, __const._ZL30rocblas_trsm_small_left_deviceILi12ELi12ELb0E19rocblas_complex_numIdES1_PKPKS1_PKPS1_Ev13rocblas_fill_18rocblas_operation_17rocblas_diagonal_iiT3_T4_lilT5_lili.step_sizes@rel32@hi+24
	s_lshl_b64 s[26:27], s[22:23], 2
	s_wait_alu 0xfffe
	s_add_nc_u64 s[24:25], s[24:25], s[26:27]
	s_load_b32 s24, s[24:25], 0x0
	s_wait_kmcnt 0x0
	s_add_co_i32 s23, s24, -1
	s_wait_alu 0xfffe
	s_add_co_i32 s16, s23, s18
	s_wait_alu 0xfffe
	s_cmp_ge_i32 s16, s30
	s_cbranch_scc1 .LBB210_18
; %bb.20:                               ;   in Loop: Header=BB210_19 Depth=2
	s_ashr_i32 s19, s18, 31
	s_ashr_i32 s25, s24, 31
	s_lshl_b64 s[26:27], s[18:19], 4
	s_max_i32 s40, s24, 1
	s_wait_alu 0xfffe
	v_add_co_u32 v4, vcc_lo, v19, s26
	s_wait_alu 0xfffd
	v_add_co_ci_u32_e64 v5, null, s27, v20, vcc_lo
	s_lshl_b64 s[26:27], s[24:25], 4
	s_mul_i32 s19, s18, 0xc0
	s_mul_i32 s25, s24, 0xc0
	;; [unrolled: 1-line block ×4, first 2 shown]
	s_branch .LBB210_22
.LBB210_21:                             ;   in Loop: Header=BB210_22 Depth=3
	v_add_co_u32 v4, vcc_lo, v4, s26
	s_add_co_i32 s18, s18, s24
	s_wait_alu 0xfffd
	v_add_co_ci_u32_e64 v5, null, s27, v5, vcc_lo
	s_add_co_i32 s16, s23, s18
	s_add_co_i32 s19, s19, s25
	;; [unrolled: 1-line block ×3, first 2 shown]
	s_wait_alu 0xfffe
	s_cmp_ge_i32 s16, s30
	s_cbranch_scc1 .LBB210_18
.LBB210_22:                             ;   Parent Loop BB210_4 Depth=1
                                        ;     Parent Loop BB210_19 Depth=2
                                        ; =>    This Loop Header: Depth=3
                                        ;         Child Loop BB210_23 Depth 4
                                        ;         Child Loop BB210_26 Depth 4
                                        ;           Child Loop BB210_27 Depth 5
                                        ;         Child Loop BB210_31 Depth 4
                                        ;           Child Loop BB210_33 Depth 5
	v_dual_mov_b32 v0, v4 :: v_dual_mov_b32 v1, v5
	s_mov_b32 s16, 8
	s_mov_b32 s28, s40
.LBB210_23:                             ;   Parent Loop BB210_4 Depth=1
                                        ;     Parent Loop BB210_19 Depth=2
                                        ;       Parent Loop BB210_22 Depth=3
                                        ; =>      This Inner Loop Header: Depth=4
	flat_load_b128 v[21:24], v[0:1] offset:-8
	v_add_co_u32 v0, vcc_lo, v0, 16
	s_wait_alu 0xfffd
	v_add_co_ci_u32_e64 v1, null, 0, v1, vcc_lo
	s_wait_alu 0xfffe
	s_add_co_i32 s28, s28, -1
	s_mov_b32 s29, s16
	s_add_co_i32 s16, s16, 16
	s_wait_alu 0xfffe
	s_cmp_eq_u32 s28, 0
	s_wait_loadcnt_dscnt 0x0
	v_mul_f64_e32 v[2:3], s[6:7], v[23:24]
	v_mul_f64_e32 v[25:26], s[4:5], v[23:24]
	s_delay_alu instid0(VALU_DEP_2) | instskip(NEXT) | instid1(VALU_DEP_2)
	v_fma_f64 v[23:24], s[4:5], v[21:22], -v[2:3]
	v_fma_f64 v[25:26], s[6:7], v[21:22], v[25:26]
	scratch_store_b128 off, v[23:26], s29 offset:-8
	s_cbranch_scc0 .LBB210_23
; %bb.24:                               ;   in Loop: Header=BB210_22 Depth=3
	s_cmp_lt_i32 s18, 1
	s_cbranch_scc1 .LBB210_29
; %bb.25:                               ;   in Loop: Header=BB210_22 Depth=3
	s_mov_b32 s16, 0
	s_mov_b32 s28, s19
.LBB210_26:                             ;   Parent Loop BB210_4 Depth=1
                                        ;     Parent Loop BB210_19 Depth=2
                                        ;       Parent Loop BB210_22 Depth=3
                                        ; =>      This Loop Header: Depth=4
                                        ;           Child Loop BB210_27 Depth 5
	s_wait_alu 0xfffe
	s_lshl_b64 s[44:45], s[16:17], 4
	s_mov_b32 s29, s35
	s_wait_alu 0xfffe
	v_add_co_u32 v0, vcc_lo, v6, s44
	s_wait_alu 0xfffd
	v_add_co_ci_u32_e64 v1, null, s45, v7, vcc_lo
	s_mov_b32 s43, s28
	s_mov_b32 s44, s40
	flat_load_b128 v[0:3], v[0:1]
.LBB210_27:                             ;   Parent Loop BB210_4 Depth=1
                                        ;     Parent Loop BB210_19 Depth=2
                                        ;       Parent Loop BB210_22 Depth=3
                                        ;         Parent Loop BB210_26 Depth=4
                                        ; =>        This Inner Loop Header: Depth=5
	scratch_load_b128 v[21:24], off, s29 offset:-8
	s_wait_alu 0xfffe
	v_mov_b32_e32 v25, s43
	s_add_co_i32 s44, s44, -1
	s_addk_co_i32 s43, 0xc0
	ds_load_b128 v[25:28], v25
	s_wait_loadcnt_dscnt 0x100
	v_mul_f64_e32 v[29:30], v[2:3], v[27:28]
	v_mul_f64_e32 v[27:28], v[0:1], v[27:28]
	s_delay_alu instid0(VALU_DEP_2) | instskip(NEXT) | instid1(VALU_DEP_2)
	v_fma_f64 v[29:30], v[0:1], v[25:26], -v[29:30]
	v_fma_f64 v[25:26], v[2:3], v[25:26], v[27:28]
	s_wait_loadcnt 0x0
	s_delay_alu instid0(VALU_DEP_2) | instskip(NEXT) | instid1(VALU_DEP_2)
	v_add_f64_e64 v[21:22], v[21:22], -v[29:30]
	v_add_f64_e64 v[23:24], v[23:24], -v[25:26]
	scratch_store_b128 off, v[21:24], s29 offset:-8
	s_add_co_i32 s29, s29, 16
	s_wait_alu 0xfffe
	s_cmp_eq_u32 s44, 0
	s_cbranch_scc0 .LBB210_27
; %bb.28:                               ;   in Loop: Header=BB210_26 Depth=4
	s_add_co_i32 s16, s16, 1
	s_add_co_i32 s28, s28, 16
	s_wait_alu 0xfffe
	s_cmp_eq_u32 s16, s18
	s_cbranch_scc0 .LBB210_26
.LBB210_29:                             ;   in Loop: Header=BB210_22 Depth=3
	s_mov_b32 s16, 0
	s_mov_b32 s43, s41
	s_branch .LBB210_31
.LBB210_30:                             ;   in Loop: Header=BB210_31 Depth=4
	s_wait_alu 0xfffe
	s_mul_i32 s29, s28, 0xd0
	s_lshl_b32 s44, s16, 4
	s_wait_alu 0xfffe
	v_mov_b32_e32 v21, s29
	s_ashr_i32 s29, s28, 31
	s_add_co_i32 s16, s16, 1
	s_wait_alu 0xfffe
	s_lshl_b64 s[28:29], s[28:29], 4
	s_addk_co_i32 s43, 0xc0
	ds_load_b128 v[21:24], v21
	s_cmp_eq_u32 s16, s40
	s_wait_loadcnt_dscnt 0x0
	v_mul_f64_e32 v[25:26], v[23:24], v[2:3]
	v_mul_f64_e32 v[2:3], v[21:22], v[2:3]
	s_delay_alu instid0(VALU_DEP_2) | instskip(NEXT) | instid1(VALU_DEP_2)
	v_fma_f64 v[21:22], v[21:22], v[0:1], -v[25:26]
	v_fma_f64 v[23:24], v[23:24], v[0:1], v[2:3]
	s_wait_alu 0xfffe
	v_add_co_u32 v0, vcc_lo, v6, s28
	s_wait_alu 0xfffd
	v_add_co_ci_u32_e64 v1, null, s29, v7, vcc_lo
	scratch_store_b128 off, v[21:24], s44
	flat_store_b128 v[0:1], v[21:24]
	s_cbranch_scc1 .LBB210_21
.LBB210_31:                             ;   Parent Loop BB210_4 Depth=1
                                        ;     Parent Loop BB210_19 Depth=2
                                        ;       Parent Loop BB210_22 Depth=3
                                        ; =>      This Loop Header: Depth=4
                                        ;           Child Loop BB210_33 Depth 5
	s_wait_alu 0xfffe
	s_cmp_lg_u32 s16, 0
	s_cbranch_scc0 .LBB210_35
; %bb.32:                               ;   in Loop: Header=BB210_31 Depth=4
	s_lshl_b32 s29, s16, 4
	s_add_co_i32 s28, s16, s18
	scratch_load_b128 v[0:3], off, s29
	s_mov_b32 s44, s43
	s_mov_b32 s45, s35
	;; [unrolled: 1-line block ×3, first 2 shown]
.LBB210_33:                             ;   Parent Loop BB210_4 Depth=1
                                        ;     Parent Loop BB210_19 Depth=2
                                        ;       Parent Loop BB210_22 Depth=3
                                        ;         Parent Loop BB210_31 Depth=4
                                        ; =>        This Inner Loop Header: Depth=5
	scratch_load_b128 v[21:24], off, s45 offset:-8
	s_wait_alu 0xfffe
	v_mov_b32_e32 v25, s44
	s_add_co_i32 s46, s46, -1
	s_add_co_i32 s45, s45, 16
	s_add_co_i32 s44, s44, 16
	s_cmp_eq_u32 s46, 0
	ds_load_b128 v[25:28], v25
	s_wait_loadcnt_dscnt 0x0
	v_mul_f64_e32 v[29:30], v[27:28], v[23:24]
	v_mul_f64_e32 v[23:24], v[25:26], v[23:24]
	s_delay_alu instid0(VALU_DEP_2) | instskip(NEXT) | instid1(VALU_DEP_2)
	v_fma_f64 v[25:26], v[25:26], v[21:22], -v[29:30]
	v_fma_f64 v[21:22], v[27:28], v[21:22], v[23:24]
	s_delay_alu instid0(VALU_DEP_2) | instskip(NEXT) | instid1(VALU_DEP_2)
	v_add_f64_e64 v[0:1], v[0:1], -v[25:26]
	v_add_f64_e64 v[2:3], v[2:3], -v[21:22]
	scratch_store_b128 off, v[0:3], s29
	s_cbranch_scc0 .LBB210_33
; %bb.34:                               ;   in Loop: Header=BB210_31 Depth=4
	s_branch .LBB210_30
.LBB210_35:                             ;   in Loop: Header=BB210_31 Depth=4
                                        ; implicit-def: $vgpr0_vgpr1
                                        ; implicit-def: $sgpr28
	s_cbranch_execz .LBB210_30
; %bb.36:                               ;   in Loop: Header=BB210_31 Depth=4
	scratch_load_b128 v[0:3], off, off
	s_mov_b32 s28, s18
	s_branch .LBB210_30
.LBB210_37:                             ;   in Loop: Header=BB210_4 Depth=1
	s_mov_b32 s16, 0
.LBB210_38:                             ;   in Loop: Header=BB210_4 Depth=1
	s_wait_alu 0xfffe
	s_and_b32 vcc_lo, exec_lo, s16
	s_wait_alu 0xfffe
	s_cbranch_vccz .LBB210_2
; %bb.39:                               ;   in Loop: Header=BB210_4 Depth=1
	v_add_co_u32 v4, vcc_lo, v10, v17
	s_wait_alu 0xfffd
	v_add_co_ci_u32_e64 v5, null, v11, v16, vcc_lo
	s_mov_b32 s16, 0
	s_mov_b32 s18, s31
	s_branch .LBB210_41
.LBB210_40:                             ;   in Loop: Header=BB210_41 Depth=2
	s_cmp_gt_i32 s18, -1
	s_cselect_b32 s19, -1, 0
	s_add_co_i32 s22, s16, 1
	s_cmp_lt_u32 s16, 2
	s_cselect_b32 s16, -1, 0
	s_wait_alu 0xfffe
	s_and_b32 s16, s19, s16
	s_wait_alu 0xfffe
	s_and_not1_b32 vcc_lo, exec_lo, s16
	s_mov_b32 s16, s22
	s_wait_alu 0xfffe
	s_cbranch_vccnz .LBB210_2
.LBB210_41:                             ;   Parent Loop BB210_4 Depth=1
                                        ; =>  This Loop Header: Depth=2
                                        ;       Child Loop BB210_44 Depth 3
                                        ;         Child Loop BB210_45 Depth 4
                                        ;         Child Loop BB210_47 Depth 4
                                        ;           Child Loop BB210_48 Depth 5
                                        ;         Child Loop BB210_52 Depth 4
                                        ;           Child Loop BB210_54 Depth 5
	s_getpc_b64 s[22:23]
	s_wait_alu 0xfffe
	s_sext_i32_i16 s23, s23
	s_add_co_u32 s22, s22, __const._ZL30rocblas_trsm_small_left_deviceILi12ELi12ELb0E19rocblas_complex_numIdES1_PKPKS1_PKPS1_Ev13rocblas_fill_18rocblas_operation_17rocblas_diagonal_iiT3_T4_lilT5_lili.step_sizes@rel32@lo+12
	s_wait_alu 0xfffe
	s_add_co_ci_u32 s23, s23, __const._ZL30rocblas_trsm_small_left_deviceILi12ELi12ELb0E19rocblas_complex_numIdES1_PKPKS1_PKPS1_Ev13rocblas_fill_18rocblas_operation_17rocblas_diagonal_iiT3_T4_lilT5_lili.step_sizes@rel32@hi+24
	s_lshl_b64 s[24:25], s[16:17], 2
	s_wait_alu 0xfffe
	s_add_nc_u64 s[22:23], s[22:23], s[24:25]
	s_load_b32 s26, s[22:23], 0x0
	s_wait_kmcnt 0x0
	s_add_co_i32 s27, s26, -1
	s_wait_alu 0xfffe
	s_cmp_lt_i32 s18, s27
	s_cbranch_scc1 .LBB210_40
; %bb.42:                               ;   in Loop: Header=BB210_41 Depth=2
	s_lshl_b32 s19, s18, 4
	s_lshl_b32 s22, s26, 4
	s_max_i32 s28, s26, 1
	s_add_co_i32 s29, s36, s19
	s_wait_alu 0xfffe
	s_sub_co_i32 s40, 0, s22
	s_mul_i32 s41, s18, 0xd0
	s_mul_i32 s42, s26, 0xffffff30
	s_branch .LBB210_44
.LBB210_43:                             ;   in Loop: Header=BB210_44 Depth=3
	s_sub_co_i32 s18, s18, s26
	s_add_co_i32 s29, s29, s40
	s_add_co_i32 s41, s41, s42
	s_cmp_lt_i32 s18, s27
	s_cbranch_scc1 .LBB210_40
.LBB210_44:                             ;   Parent Loop BB210_4 Depth=1
                                        ;     Parent Loop BB210_41 Depth=2
                                        ; =>    This Loop Header: Depth=3
                                        ;         Child Loop BB210_45 Depth 4
                                        ;         Child Loop BB210_47 Depth 4
                                        ;           Child Loop BB210_48 Depth 5
                                        ;         Child Loop BB210_52 Depth 4
                                        ;           Child Loop BB210_54 Depth 5
	s_ashr_i32 s19, s18, 31
	s_delay_alu instid0(SALU_CYCLE_1)
	s_lshl_b64 s[22:23], s[18:19], 4
	s_wait_alu 0xfffe
	v_add_co_u32 v0, vcc_lo, v4, s22
	s_wait_alu 0xfffd
	v_add_co_ci_u32_e64 v1, null, s23, v5, vcc_lo
	s_mov_b32 s22, 8
	s_mov_b32 s23, s28
.LBB210_45:                             ;   Parent Loop BB210_4 Depth=1
                                        ;     Parent Loop BB210_41 Depth=2
                                        ;       Parent Loop BB210_44 Depth=3
                                        ; =>      This Inner Loop Header: Depth=4
	flat_load_b128 v[19:22], v[0:1] offset:-8
	v_add_co_u32 v0, vcc_lo, v0, -16
	s_wait_alu 0xfffd
	v_add_co_ci_u32_e64 v1, null, -1, v1, vcc_lo
	s_wait_alu 0xfffe
	s_add_co_i32 s23, s23, -1
	s_mov_b32 s24, s22
	s_add_co_i32 s22, s22, 16
	s_wait_alu 0xfffe
	s_cmp_eq_u32 s23, 0
	s_wait_loadcnt_dscnt 0x0
	v_mul_f64_e32 v[2:3], s[6:7], v[21:22]
	v_mul_f64_e32 v[10:11], s[4:5], v[21:22]
	s_delay_alu instid0(VALU_DEP_2) | instskip(NEXT) | instid1(VALU_DEP_2)
	v_fma_f64 v[21:22], s[4:5], v[19:20], -v[2:3]
	v_fma_f64 v[23:24], s[6:7], v[19:20], v[10:11]
	scratch_store_b128 off, v[21:24], s24 offset:-8
	s_cbranch_scc0 .LBB210_45
; %bb.46:                               ;   in Loop: Header=BB210_44 Depth=3
	s_cmp_le_i32 s31, s18
	s_mov_b32 s24, s29
	s_mov_b32 s22, s31
	s_cbranch_scc1 .LBB210_50
.LBB210_47:                             ;   Parent Loop BB210_4 Depth=1
                                        ;     Parent Loop BB210_41 Depth=2
                                        ;       Parent Loop BB210_44 Depth=3
                                        ; =>      This Loop Header: Depth=4
                                        ;           Child Loop BB210_48 Depth 5
	s_wait_alu 0xfffe
	s_ashr_i32 s23, s22, 31
	s_mov_b32 s25, s24
	s_wait_alu 0xfffe
	s_lshl_b64 s[44:45], s[22:23], 4
	s_mov_b32 s23, s35
	s_wait_alu 0xfffe
	v_add_co_u32 v0, vcc_lo, v6, s44
	s_wait_alu 0xfffd
	v_add_co_ci_u32_e64 v1, null, s45, v7, vcc_lo
	s_mov_b32 s43, s28
	flat_load_b128 v[0:3], v[0:1]
.LBB210_48:                             ;   Parent Loop BB210_4 Depth=1
                                        ;     Parent Loop BB210_41 Depth=2
                                        ;       Parent Loop BB210_44 Depth=3
                                        ;         Parent Loop BB210_47 Depth=4
                                        ; =>        This Inner Loop Header: Depth=5
	scratch_load_b128 v[19:22], off, s23 offset:-8
	v_mov_b32_e32 v10, s25
	s_wait_alu 0xfffe
	s_add_co_i32 s43, s43, -1
	s_add_co_i32 s25, s25, -16
	ds_load_b128 v[23:26], v10
	s_wait_loadcnt_dscnt 0x100
	v_mul_f64_e32 v[10:11], v[2:3], v[25:26]
	v_mul_f64_e32 v[25:26], v[0:1], v[25:26]
	s_delay_alu instid0(VALU_DEP_2) | instskip(NEXT) | instid1(VALU_DEP_2)
	v_fma_f64 v[10:11], v[0:1], v[23:24], -v[10:11]
	v_fma_f64 v[23:24], v[2:3], v[23:24], v[25:26]
	s_wait_loadcnt 0x0
	s_delay_alu instid0(VALU_DEP_2) | instskip(NEXT) | instid1(VALU_DEP_2)
	v_add_f64_e64 v[19:20], v[19:20], -v[10:11]
	v_add_f64_e64 v[21:22], v[21:22], -v[23:24]
	scratch_store_b128 off, v[19:22], s23 offset:-8
	s_add_co_i32 s23, s23, 16
	s_wait_alu 0xfffe
	s_cmp_eq_u32 s43, 0
	s_cbranch_scc0 .LBB210_48
; %bb.49:                               ;   in Loop: Header=BB210_47 Depth=4
	s_add_co_i32 s22, s22, -1
	s_addk_co_i32 s24, 0xff40
	s_wait_alu 0xfffe
	s_cmp_le_i32 s22, s18
	s_cbranch_scc0 .LBB210_47
.LBB210_50:                             ;   in Loop: Header=BB210_44 Depth=3
	s_mov_b32 s43, 0
	s_mov_b32 s44, s41
	s_branch .LBB210_52
.LBB210_51:                             ;   in Loop: Header=BB210_52 Depth=4
	s_wait_alu 0xfffe
	s_mulk_i32 s24, 0xd0
	s_lshl_b64 s[22:23], s[22:23], 4
	s_wait_alu 0xfffe
	v_mov_b32_e32 v10, s24
	s_lshl_b32 s24, s43, 4
	s_add_co_i32 s43, s43, 1
	s_add_co_i32 s44, s44, -16
	s_wait_alu 0xfffe
	s_cmp_eq_u32 s43, s28
	ds_load_b128 v[19:22], v10
	s_wait_loadcnt_dscnt 0x0
	v_mul_f64_e32 v[10:11], v[21:22], v[2:3]
	v_mul_f64_e32 v[2:3], v[19:20], v[2:3]
	s_delay_alu instid0(VALU_DEP_2) | instskip(NEXT) | instid1(VALU_DEP_2)
	v_fma_f64 v[19:20], v[19:20], v[0:1], -v[10:11]
	v_fma_f64 v[21:22], v[21:22], v[0:1], v[2:3]
	v_add_co_u32 v0, vcc_lo, v6, s22
	s_wait_alu 0xfffd
	v_add_co_ci_u32_e64 v1, null, s23, v7, vcc_lo
	scratch_store_b128 off, v[19:22], s24
	flat_store_b128 v[0:1], v[19:22]
	s_cbranch_scc1 .LBB210_43
.LBB210_52:                             ;   Parent Loop BB210_4 Depth=1
                                        ;     Parent Loop BB210_41 Depth=2
                                        ;       Parent Loop BB210_44 Depth=3
                                        ; =>      This Loop Header: Depth=4
                                        ;           Child Loop BB210_54 Depth 5
	s_wait_alu 0xfffe
	s_cmp_lg_u32 s43, 0
	s_cbranch_scc0 .LBB210_56
; %bb.53:                               ;   in Loop: Header=BB210_52 Depth=4
	s_lshl_b32 s22, s43, 4
	s_mov_b32 s23, s35
	scratch_load_b128 v[0:3], off, s22
	s_mov_b32 s24, s44
	s_mov_b32 s25, s43
.LBB210_54:                             ;   Parent Loop BB210_4 Depth=1
                                        ;     Parent Loop BB210_41 Depth=2
                                        ;       Parent Loop BB210_44 Depth=3
                                        ;         Parent Loop BB210_52 Depth=4
                                        ; =>        This Inner Loop Header: Depth=5
	scratch_load_b128 v[19:22], off, s23 offset:-8
	s_wait_alu 0xfffe
	v_mov_b32_e32 v10, s24
	s_add_co_i32 s25, s25, -1
	s_addk_co_i32 s24, 0xff40
	s_add_co_i32 s23, s23, 16
	s_wait_alu 0xfffe
	s_cmp_eq_u32 s25, 0
	ds_load_b128 v[23:26], v10
	s_wait_loadcnt_dscnt 0x0
	v_mul_f64_e32 v[10:11], v[25:26], v[21:22]
	v_mul_f64_e32 v[21:22], v[23:24], v[21:22]
	s_delay_alu instid0(VALU_DEP_2) | instskip(NEXT) | instid1(VALU_DEP_2)
	v_fma_f64 v[10:11], v[23:24], v[19:20], -v[10:11]
	v_fma_f64 v[19:20], v[25:26], v[19:20], v[21:22]
	s_delay_alu instid0(VALU_DEP_2) | instskip(NEXT) | instid1(VALU_DEP_2)
	v_add_f64_e64 v[0:1], v[0:1], -v[10:11]
	v_add_f64_e64 v[2:3], v[2:3], -v[19:20]
	scratch_store_b128 off, v[0:3], s22
	s_cbranch_scc0 .LBB210_54
; %bb.55:                               ;   in Loop: Header=BB210_52 Depth=4
	s_sub_co_i32 s24, s18, s43
	s_wait_alu 0xfffe
	s_ashr_i32 s25, s24, 31
	s_wait_alu 0xfffe
	s_mov_b64 s[22:23], s[24:25]
	s_branch .LBB210_51
.LBB210_56:                             ;   in Loop: Header=BB210_52 Depth=4
                                        ; implicit-def: $vgpr0_vgpr1
                                        ; implicit-def: $sgpr24
                                        ; implicit-def: $sgpr22_sgpr23
	s_cbranch_execz .LBB210_51
; %bb.57:                               ;   in Loop: Header=BB210_52 Depth=4
	scratch_load_b128 v[0:3], off, off
	s_mov_b64 s[22:23], s[18:19]
	s_mov_b32 s24, s18
	s_branch .LBB210_51
.LBB210_58:
	s_or_b32 exec_lo, exec_lo, s37
	s_and_saveexec_b32 s0, s38
	s_wait_alu 0xfffe
	s_xor_b32 s0, exec_lo, s0
.LBB210_59:
	s_endpgm
	.section	.rodata,"a",@progbits
	.p2align	6, 0x0
	.amdhsa_kernel _ZL30rocblas_trsm_small_left_deviceILi12ELi12ELb0E19rocblas_complex_numIdES1_PKPKS1_PKPS1_Ev13rocblas_fill_18rocblas_operation_17rocblas_diagonal_iiT3_T4_lilT5_lili
		.amdhsa_group_segment_fixed_size 2304
		.amdhsa_private_segment_fixed_size 208
		.amdhsa_kernarg_size 368
		.amdhsa_user_sgpr_count 2
		.amdhsa_user_sgpr_dispatch_ptr 0
		.amdhsa_user_sgpr_queue_ptr 0
		.amdhsa_user_sgpr_kernarg_segment_ptr 1
		.amdhsa_user_sgpr_dispatch_id 0
		.amdhsa_user_sgpr_private_segment_size 0
		.amdhsa_wavefront_size32 1
		.amdhsa_uses_dynamic_stack 0
		.amdhsa_enable_private_segment 1
		.amdhsa_system_sgpr_workgroup_id_x 1
		.amdhsa_system_sgpr_workgroup_id_y 0
		.amdhsa_system_sgpr_workgroup_id_z 1
		.amdhsa_system_sgpr_workgroup_info 0
		.amdhsa_system_vgpr_workitem_id 0
		.amdhsa_next_free_vgpr 31
		.amdhsa_next_free_sgpr 47
		.amdhsa_reserve_vcc 1
		.amdhsa_float_round_mode_32 0
		.amdhsa_float_round_mode_16_64 0
		.amdhsa_float_denorm_mode_32 3
		.amdhsa_float_denorm_mode_16_64 3
		.amdhsa_fp16_overflow 0
		.amdhsa_workgroup_processor_mode 1
		.amdhsa_memory_ordered 1
		.amdhsa_forward_progress 1
		.amdhsa_inst_pref_size 25
		.amdhsa_round_robin_scheduling 0
		.amdhsa_exception_fp_ieee_invalid_op 0
		.amdhsa_exception_fp_denorm_src 0
		.amdhsa_exception_fp_ieee_div_zero 0
		.amdhsa_exception_fp_ieee_overflow 0
		.amdhsa_exception_fp_ieee_underflow 0
		.amdhsa_exception_fp_ieee_inexact 0
		.amdhsa_exception_int_div_zero 0
	.end_amdhsa_kernel
	.section	.text._ZL30rocblas_trsm_small_left_deviceILi12ELi12ELb0E19rocblas_complex_numIdES1_PKPKS1_PKPS1_Ev13rocblas_fill_18rocblas_operation_17rocblas_diagonal_iiT3_T4_lilT5_lili,"axG",@progbits,_ZL30rocblas_trsm_small_left_deviceILi12ELi12ELb0E19rocblas_complex_numIdES1_PKPKS1_PKPS1_Ev13rocblas_fill_18rocblas_operation_17rocblas_diagonal_iiT3_T4_lilT5_lili,comdat
.Lfunc_end210:
	.size	_ZL30rocblas_trsm_small_left_deviceILi12ELi12ELb0E19rocblas_complex_numIdES1_PKPKS1_PKPS1_Ev13rocblas_fill_18rocblas_operation_17rocblas_diagonal_iiT3_T4_lilT5_lili, .Lfunc_end210-_ZL30rocblas_trsm_small_left_deviceILi12ELi12ELb0E19rocblas_complex_numIdES1_PKPKS1_PKPS1_Ev13rocblas_fill_18rocblas_operation_17rocblas_diagonal_iiT3_T4_lilT5_lili
                                        ; -- End function
	.set _ZL30rocblas_trsm_small_left_deviceILi12ELi12ELb0E19rocblas_complex_numIdES1_PKPKS1_PKPS1_Ev13rocblas_fill_18rocblas_operation_17rocblas_diagonal_iiT3_T4_lilT5_lili.num_vgpr, 31
	.set _ZL30rocblas_trsm_small_left_deviceILi12ELi12ELb0E19rocblas_complex_numIdES1_PKPKS1_PKPS1_Ev13rocblas_fill_18rocblas_operation_17rocblas_diagonal_iiT3_T4_lilT5_lili.num_agpr, 0
	.set _ZL30rocblas_trsm_small_left_deviceILi12ELi12ELb0E19rocblas_complex_numIdES1_PKPKS1_PKPS1_Ev13rocblas_fill_18rocblas_operation_17rocblas_diagonal_iiT3_T4_lilT5_lili.numbered_sgpr, 47
	.set _ZL30rocblas_trsm_small_left_deviceILi12ELi12ELb0E19rocblas_complex_numIdES1_PKPKS1_PKPS1_Ev13rocblas_fill_18rocblas_operation_17rocblas_diagonal_iiT3_T4_lilT5_lili.num_named_barrier, 0
	.set _ZL30rocblas_trsm_small_left_deviceILi12ELi12ELb0E19rocblas_complex_numIdES1_PKPKS1_PKPS1_Ev13rocblas_fill_18rocblas_operation_17rocblas_diagonal_iiT3_T4_lilT5_lili.private_seg_size, 208
	.set _ZL30rocblas_trsm_small_left_deviceILi12ELi12ELb0E19rocblas_complex_numIdES1_PKPKS1_PKPS1_Ev13rocblas_fill_18rocblas_operation_17rocblas_diagonal_iiT3_T4_lilT5_lili.uses_vcc, 1
	.set _ZL30rocblas_trsm_small_left_deviceILi12ELi12ELb0E19rocblas_complex_numIdES1_PKPKS1_PKPS1_Ev13rocblas_fill_18rocblas_operation_17rocblas_diagonal_iiT3_T4_lilT5_lili.uses_flat_scratch, 0
	.set _ZL30rocblas_trsm_small_left_deviceILi12ELi12ELb0E19rocblas_complex_numIdES1_PKPKS1_PKPS1_Ev13rocblas_fill_18rocblas_operation_17rocblas_diagonal_iiT3_T4_lilT5_lili.has_dyn_sized_stack, 0
	.set _ZL30rocblas_trsm_small_left_deviceILi12ELi12ELb0E19rocblas_complex_numIdES1_PKPKS1_PKPS1_Ev13rocblas_fill_18rocblas_operation_17rocblas_diagonal_iiT3_T4_lilT5_lili.has_recursion, 0
	.set _ZL30rocblas_trsm_small_left_deviceILi12ELi12ELb0E19rocblas_complex_numIdES1_PKPKS1_PKPS1_Ev13rocblas_fill_18rocblas_operation_17rocblas_diagonal_iiT3_T4_lilT5_lili.has_indirect_call, 0
	.section	.AMDGPU.csdata,"",@progbits
; Kernel info:
; codeLenInByte = 3156
; TotalNumSgprs: 49
; NumVgprs: 31
; ScratchSize: 208
; MemoryBound: 0
; FloatMode: 240
; IeeeMode: 1
; LDSByteSize: 2304 bytes/workgroup (compile time only)
; SGPRBlocks: 0
; VGPRBlocks: 3
; NumSGPRsForWavesPerEU: 49
; NumVGPRsForWavesPerEU: 31
; Occupancy: 14
; WaveLimiterHint : 1
; COMPUTE_PGM_RSRC2:SCRATCH_EN: 1
; COMPUTE_PGM_RSRC2:USER_SGPR: 2
; COMPUTE_PGM_RSRC2:TRAP_HANDLER: 0
; COMPUTE_PGM_RSRC2:TGID_X_EN: 1
; COMPUTE_PGM_RSRC2:TGID_Y_EN: 0
; COMPUTE_PGM_RSRC2:TGID_Z_EN: 1
; COMPUTE_PGM_RSRC2:TIDIG_COMP_CNT: 0
	.section	.text._ZL38rocblas_trsm_small_left_device_sharedBILi12ELi12ELb1E19rocblas_complex_numIdES1_PKPKS1_PKPS1_Ev13rocblas_fill_18rocblas_operation_17rocblas_diagonal_iiT3_T4_lilT5_lili,"axG",@progbits,_ZL38rocblas_trsm_small_left_device_sharedBILi12ELi12ELb1E19rocblas_complex_numIdES1_PKPKS1_PKPS1_Ev13rocblas_fill_18rocblas_operation_17rocblas_diagonal_iiT3_T4_lilT5_lili,comdat
	.globl	_ZL38rocblas_trsm_small_left_device_sharedBILi12ELi12ELb1E19rocblas_complex_numIdES1_PKPKS1_PKPS1_Ev13rocblas_fill_18rocblas_operation_17rocblas_diagonal_iiT3_T4_lilT5_lili ; -- Begin function _ZL38rocblas_trsm_small_left_device_sharedBILi12ELi12ELb1E19rocblas_complex_numIdES1_PKPKS1_PKPS1_Ev13rocblas_fill_18rocblas_operation_17rocblas_diagonal_iiT3_T4_lilT5_lili
	.p2align	8
	.type	_ZL38rocblas_trsm_small_left_device_sharedBILi12ELi12ELb1E19rocblas_complex_numIdES1_PKPKS1_PKPS1_Ev13rocblas_fill_18rocblas_operation_17rocblas_diagonal_iiT3_T4_lilT5_lili,@function
_ZL38rocblas_trsm_small_left_device_sharedBILi12ELi12ELb1E19rocblas_complex_numIdES1_PKPKS1_PKPS1_Ev13rocblas_fill_18rocblas_operation_17rocblas_diagonal_iiT3_T4_lilT5_lili: ; @_ZL38rocblas_trsm_small_left_device_sharedBILi12ELi12ELb1E19rocblas_complex_numIdES1_PKPKS1_PKPS1_Ev13rocblas_fill_18rocblas_operation_17rocblas_diagonal_iiT3_T4_lilT5_lili
; %bb.0:
	s_load_b32 s24, s[0:1], 0x68
	s_lshr_b32 s2, ttmp7, 16
	s_wait_kmcnt 0x0
	s_cmp_ge_u32 s2, s24
	s_cbranch_scc1 .LBB211_62
; %bb.1:
	s_clause 0x5
	s_load_b32 s22, s[0:1], 0x38
	s_load_b32 s30, s[0:1], 0x58
	s_load_b128 s[16:19], s[0:1], 0x4
	s_load_b32 s3, s[0:1], 0x70
	s_load_b128 s[12:15], s[0:1], 0x48
	s_load_b256 s[4:11], s[0:1], 0x18
	s_mul_i32 s1, ttmp9, -12
	s_mul_i32 s34, ttmp9, 12
	v_dual_mov_b32 v14, 0 :: v_dual_lshlrev_b32 v13, 4, v0
	v_mul_u32_u24_e32 v5, 0xc0, v0
	s_mov_b32 s21, 0
	s_delay_alu instid0(VALU_DEP_2) | instskip(NEXT) | instid1(VALU_DEP_2)
	v_or_b32_e32 v8, 0x900, v13
	v_add_nc_u32_e32 v19, v13, v5
	s_wait_kmcnt 0x0
	s_ashr_i32 s23, s22, 31
	s_ashr_i32 s31, s30, 31
	s_cmp_eq_u32 s16, 0x71
	v_mad_co_i64_i32 v[1:2], null, s30, v0, 0
	s_cselect_b32 s0, -1, 0
	s_min_i32 s25, s18, 12
	s_add_co_i32 s3, s3, -1
	s_add_co_i32 s1, s19, s1
	s_add_co_i32 s26, s25, -1
	s_cmp_ge_u32 ttmp9, s3
	v_lshlrev_b64_e32 v[9:10], 4, v[1:2]
	s_cselect_b32 s3, s1, 12
	s_ashr_i32 s35, s34, 31
	s_cmp_lg_u32 s17, 0x84
	v_cmp_gt_i32_e64 s1, s25, v0
	s_cselect_b32 s27, -1, 0
	s_cmp_gt_i32 s18, 0
	v_cmp_gt_i32_e32 vcc_lo, s3, v0
	s_cselect_b32 s20, -1, 0
	s_cmp_lg_u32 s16, 0x6f
	s_mul_u64 s[18:19], s[30:31], s[34:35]
	s_cselect_b32 s28, -1, 0
	s_lshl_b64 s[16:17], s[34:35], 4
	s_and_b32 s29, vcc_lo, s20
	v_add_co_u32 v0, s3, s16, v13
	s_wait_alu 0xf1ff
	v_add_co_ci_u32_e64 v3, null, s17, 0, s3
	s_lshl_b64 s[16:17], s[10:11], 4
	s_lshl_b64 s[10:11], s[14:15], 4
	v_mul_lo_u32 v6, v0, s31
	v_mul_lo_u32 v7, v3, s30
	v_mad_co_u64_u32 v[3:4], null, v0, s30, s[10:11]
	s_wait_alu 0xfffe
	v_add_co_u32 v0, s3, s16, v13
	s_wait_alu 0xf1ff
	v_add_co_ci_u32_e64 v15, null, s17, 0, s3
	s_lshl_b32 s3, s25, 4
	v_or_b32_e32 v16, 8, v0
	v_add3_u32 v17, v7, v4, v6
	v_or_b32_e32 v18, 8, v3
	s_or_b32 s30, 0, 8
	s_lshl_b64 s[14:15], s[22:23], 4
	s_wait_alu 0xfffe
	s_add_co_i32 s22, s3, -16
	s_lshl_b64 s[16:17], s[18:19], 4
	s_branch .LBB211_3
.LBB211_2:                              ;   in Loop: Header=BB211_3 Depth=1
	s_wait_alu 0xfffe
	s_or_b32 exec_lo, exec_lo, s3
	s_add_co_i32 s2, s2, 0x10000
	s_wait_alu 0xfffe
	s_cmp_lt_u32 s2, s24
	s_cbranch_scc0 .LBB211_62
.LBB211_3:                              ; =>This Loop Header: Depth=1
                                        ;     Child Loop BB211_5 Depth 2
                                        ;     Child Loop BB211_16 Depth 2
	;; [unrolled: 1-line block ×3, first 2 shown]
                                        ;       Child Loop BB211_23 Depth 3
                                        ;         Child Loop BB211_24 Depth 4
                                        ;         Child Loop BB211_26 Depth 4
                                        ;           Child Loop BB211_27 Depth 5
                                        ;         Child Loop BB211_31 Depth 4
                                        ;           Child Loop BB211_33 Depth 5
                                        ;     Child Loop BB211_41 Depth 2
                                        ;       Child Loop BB211_44 Depth 3
                                        ;         Child Loop BB211_45 Depth 4
                                        ;         Child Loop BB211_48 Depth 4
                                        ;           Child Loop BB211_49 Depth 5
                                        ;         Child Loop BB211_53 Depth 4
                                        ;           Child Loop BB211_55 Depth 5
                                        ;     Child Loop BB211_61 Depth 2
	s_mov_b32 s3, s21
	s_wait_alu 0xfffe
	s_lshl_b64 s[18:19], s[2:3], 3
	s_delay_alu instid0(SALU_CYCLE_1)
	s_add_nc_u64 s[34:35], s[12:13], s[18:19]
	global_load_b64 v[11:12], v14, s[34:35]
	s_and_saveexec_b32 s3, s1
	s_cbranch_execz .LBB211_14
; %bb.4:                                ;   in Loop: Header=BB211_3 Depth=1
	s_add_nc_u64 s[18:19], s[8:9], s[18:19]
	v_mov_b32_e32 v2, v13
	global_load_b64 v[0:1], v14, s[18:19]
	s_mov_b32 s18, s25
	s_wait_loadcnt 0x0
	v_add_co_u32 v0, vcc_lo, v0, v16
	s_wait_alu 0xfffd
	v_add_co_ci_u32_e64 v1, null, v1, v15, vcc_lo
.LBB211_5:                              ;   Parent Loop BB211_3 Depth=1
                                        ; =>  This Inner Loop Header: Depth=2
	flat_load_b128 v[3:6], v[0:1] offset:-8
	v_add_co_u32 v0, vcc_lo, v0, s14
	s_wait_alu 0xfffd
	v_add_co_ci_u32_e64 v1, null, s15, v1, vcc_lo
	s_add_co_i32 s18, s18, -1
	s_delay_alu instid0(SALU_CYCLE_1) | instskip(SKIP_2) | instid1(VALU_DEP_1)
	s_cmp_eq_u32 s18, 0
	s_wait_loadcnt_dscnt 0x0
	v_xor_b32_e32 v7, 0x80000000, v6
	v_cndmask_b32_e64 v6, v6, v7, s0
	ds_store_b128 v2, v[3:6]
	v_add_nc_u32_e32 v2, 0xc0, v2
	s_cbranch_scc0 .LBB211_5
; %bb.6:                                ;   in Loop: Header=BB211_3 Depth=1
	s_and_b32 vcc_lo, exec_lo, s27
	s_wait_alu 0xfffe
	s_cbranch_vccz .LBB211_12
; %bb.7:                                ;   in Loop: Header=BB211_3 Depth=1
	ds_load_b128 v[0:3], v19
                                        ; implicit-def: $vgpr6_vgpr7
	s_wait_dscnt 0x0
	v_cmp_ngt_f64_e64 s18, |v[0:1]|, |v[2:3]|
	s_and_saveexec_b32 s19, s18
	s_delay_alu instid0(SALU_CYCLE_1)
	s_xor_b32 s18, exec_lo, s19
	s_cbranch_execz .LBB211_9
; %bb.8:                                ;   in Loop: Header=BB211_3 Depth=1
	v_div_scale_f64 v[4:5], null, v[2:3], v[2:3], v[0:1]
	v_div_scale_f64 v[22:23], vcc_lo, v[0:1], v[2:3], v[0:1]
	s_delay_alu instid0(VALU_DEP_2) | instskip(NEXT) | instid1(TRANS32_DEP_1)
	v_rcp_f64_e32 v[6:7], v[4:5]
	v_fma_f64 v[20:21], -v[4:5], v[6:7], 1.0
	s_delay_alu instid0(VALU_DEP_1) | instskip(NEXT) | instid1(VALU_DEP_1)
	v_fma_f64 v[6:7], v[6:7], v[20:21], v[6:7]
	v_fma_f64 v[20:21], -v[4:5], v[6:7], 1.0
	s_delay_alu instid0(VALU_DEP_1) | instskip(NEXT) | instid1(VALU_DEP_1)
	v_fma_f64 v[6:7], v[6:7], v[20:21], v[6:7]
	v_mul_f64_e32 v[20:21], v[22:23], v[6:7]
	s_delay_alu instid0(VALU_DEP_1) | instskip(SKIP_1) | instid1(VALU_DEP_1)
	v_fma_f64 v[4:5], -v[4:5], v[20:21], v[22:23]
	s_wait_alu 0xfffd
	v_div_fmas_f64 v[4:5], v[4:5], v[6:7], v[20:21]
	s_delay_alu instid0(VALU_DEP_1) | instskip(NEXT) | instid1(VALU_DEP_1)
	v_div_fixup_f64 v[4:5], v[4:5], v[2:3], v[0:1]
	v_fma_f64 v[0:1], v[0:1], v[4:5], v[2:3]
	s_delay_alu instid0(VALU_DEP_1) | instskip(SKIP_1) | instid1(VALU_DEP_2)
	v_div_scale_f64 v[2:3], null, v[0:1], v[0:1], 1.0
	v_div_scale_f64 v[22:23], vcc_lo, 1.0, v[0:1], 1.0
	v_rcp_f64_e32 v[6:7], v[2:3]
	s_delay_alu instid0(TRANS32_DEP_1) | instskip(NEXT) | instid1(VALU_DEP_1)
	v_fma_f64 v[20:21], -v[2:3], v[6:7], 1.0
	v_fma_f64 v[6:7], v[6:7], v[20:21], v[6:7]
	s_delay_alu instid0(VALU_DEP_1) | instskip(NEXT) | instid1(VALU_DEP_1)
	v_fma_f64 v[20:21], -v[2:3], v[6:7], 1.0
	v_fma_f64 v[6:7], v[6:7], v[20:21], v[6:7]
	s_delay_alu instid0(VALU_DEP_1) | instskip(NEXT) | instid1(VALU_DEP_1)
	v_mul_f64_e32 v[20:21], v[22:23], v[6:7]
	v_fma_f64 v[2:3], -v[2:3], v[20:21], v[22:23]
	s_wait_alu 0xfffd
	s_delay_alu instid0(VALU_DEP_1) | instskip(SKIP_1) | instid1(VALU_DEP_2)
	v_div_fmas_f64 v[2:3], v[2:3], v[6:7], v[20:21]
	v_add_f64_e32 v[6:7], 0, v[4:5]
	v_div_fixup_f64 v[0:1], v[2:3], v[0:1], 1.0
	v_fma_f64 v[2:3], v[4:5], 0, -1.0
	s_delay_alu instid0(VALU_DEP_2) | instskip(NEXT) | instid1(VALU_DEP_2)
	v_mul_f64_e32 v[4:5], v[6:7], v[0:1]
	v_mul_f64_e32 v[6:7], v[2:3], v[0:1]
                                        ; implicit-def: $vgpr0_vgpr1
.LBB211_9:                              ;   in Loop: Header=BB211_3 Depth=1
	s_and_not1_saveexec_b32 s18, s18
	s_cbranch_execz .LBB211_11
; %bb.10:                               ;   in Loop: Header=BB211_3 Depth=1
	v_div_scale_f64 v[4:5], null, v[0:1], v[0:1], v[2:3]
	v_div_scale_f64 v[22:23], vcc_lo, v[2:3], v[0:1], v[2:3]
	s_delay_alu instid0(VALU_DEP_2) | instskip(NEXT) | instid1(TRANS32_DEP_1)
	v_rcp_f64_e32 v[6:7], v[4:5]
	v_fma_f64 v[20:21], -v[4:5], v[6:7], 1.0
	s_delay_alu instid0(VALU_DEP_1) | instskip(NEXT) | instid1(VALU_DEP_1)
	v_fma_f64 v[6:7], v[6:7], v[20:21], v[6:7]
	v_fma_f64 v[20:21], -v[4:5], v[6:7], 1.0
	s_delay_alu instid0(VALU_DEP_1) | instskip(NEXT) | instid1(VALU_DEP_1)
	v_fma_f64 v[6:7], v[6:7], v[20:21], v[6:7]
	v_mul_f64_e32 v[20:21], v[22:23], v[6:7]
	s_delay_alu instid0(VALU_DEP_1) | instskip(SKIP_1) | instid1(VALU_DEP_1)
	v_fma_f64 v[4:5], -v[4:5], v[20:21], v[22:23]
	s_wait_alu 0xfffd
	v_div_fmas_f64 v[4:5], v[4:5], v[6:7], v[20:21]
	s_delay_alu instid0(VALU_DEP_1) | instskip(NEXT) | instid1(VALU_DEP_1)
	v_div_fixup_f64 v[4:5], v[4:5], v[0:1], v[2:3]
	v_fma_f64 v[0:1], v[2:3], v[4:5], v[0:1]
	s_delay_alu instid0(VALU_DEP_1) | instskip(SKIP_1) | instid1(VALU_DEP_2)
	v_div_scale_f64 v[2:3], null, v[0:1], v[0:1], 1.0
	v_div_scale_f64 v[22:23], vcc_lo, 1.0, v[0:1], 1.0
	v_rcp_f64_e32 v[6:7], v[2:3]
	s_delay_alu instid0(TRANS32_DEP_1) | instskip(NEXT) | instid1(VALU_DEP_1)
	v_fma_f64 v[20:21], -v[2:3], v[6:7], 1.0
	v_fma_f64 v[6:7], v[6:7], v[20:21], v[6:7]
	s_delay_alu instid0(VALU_DEP_1) | instskip(NEXT) | instid1(VALU_DEP_1)
	v_fma_f64 v[20:21], -v[2:3], v[6:7], 1.0
	v_fma_f64 v[6:7], v[6:7], v[20:21], v[6:7]
	s_delay_alu instid0(VALU_DEP_1) | instskip(NEXT) | instid1(VALU_DEP_1)
	v_mul_f64_e32 v[20:21], v[22:23], v[6:7]
	v_fma_f64 v[2:3], -v[2:3], v[20:21], v[22:23]
	s_wait_alu 0xfffd
	s_delay_alu instid0(VALU_DEP_1) | instskip(SKIP_1) | instid1(VALU_DEP_2)
	v_div_fmas_f64 v[2:3], v[2:3], v[6:7], v[20:21]
	v_fma_f64 v[6:7], v[4:5], 0, 1.0
	v_div_fixup_f64 v[0:1], v[2:3], v[0:1], 1.0
	v_add_f64_e64 v[2:3], -v[4:5], 0
	s_delay_alu instid0(VALU_DEP_2) | instskip(NEXT) | instid1(VALU_DEP_2)
	v_mul_f64_e32 v[4:5], v[6:7], v[0:1]
	v_mul_f64_e32 v[6:7], v[2:3], v[0:1]
.LBB211_11:                             ;   in Loop: Header=BB211_3 Depth=1
	s_or_b32 exec_lo, exec_lo, s18
	s_branch .LBB211_13
.LBB211_12:                             ;   in Loop: Header=BB211_3 Depth=1
	v_mov_b32_e32 v6, 0
	v_dual_mov_b32 v7, 0 :: v_dual_mov_b32 v4, 0
	v_mov_b32_e32 v5, 0x3ff00000
.LBB211_13:                             ;   in Loop: Header=BB211_3 Depth=1
	ds_store_b128 v19, v[4:7]
.LBB211_14:                             ;   in Loop: Header=BB211_3 Depth=1
	s_wait_alu 0xfffe
	s_or_b32 exec_lo, exec_lo, s3
	s_and_saveexec_b32 s3, s29
	s_cbranch_execz .LBB211_17
; %bb.15:                               ;   in Loop: Header=BB211_3 Depth=1
	s_wait_loadcnt 0x0
	v_add_co_u32 v0, vcc_lo, v11, v18
	s_wait_alu 0xfffd
	v_add_co_ci_u32_e64 v1, null, v12, v17, vcc_lo
	v_mov_b32_e32 v2, v8
	s_mov_b32 s18, s25
.LBB211_16:                             ;   Parent Loop BB211_3 Depth=1
                                        ; =>  This Inner Loop Header: Depth=2
	flat_load_b128 v[3:6], v[0:1] offset:-8
	v_add_co_u32 v0, vcc_lo, v0, 16
	s_wait_alu 0xfffd
	v_add_co_ci_u32_e64 v1, null, 0, v1, vcc_lo
	s_add_co_i32 s18, s18, -1
	s_delay_alu instid0(SALU_CYCLE_1) | instskip(SKIP_3) | instid1(VALU_DEP_2)
	s_cmp_lg_u32 s18, 0
	s_wait_loadcnt_dscnt 0x0
	v_mul_f64_e32 v[20:21], s[6:7], v[5:6]
	v_mul_f64_e32 v[5:6], s[4:5], v[5:6]
	v_fma_f64 v[20:21], s[4:5], v[3:4], -v[20:21]
	s_delay_alu instid0(VALU_DEP_2)
	v_fma_f64 v[22:23], s[6:7], v[3:4], v[5:6]
	ds_store_b128 v2, v[20:23]
	v_add_nc_u32_e32 v2, 0xc0, v2
	s_cbranch_scc1 .LBB211_16
.LBB211_17:                             ;   in Loop: Header=BB211_3 Depth=1
	s_wait_alu 0xfffe
	s_or_b32 exec_lo, exec_lo, s3
	s_delay_alu instid0(SALU_CYCLE_1)
	s_and_not1_b32 vcc_lo, exec_lo, s28
	s_mov_b32 s3, -1
	; wave barrier
	s_wait_loadcnt_dscnt 0x0
	global_inv scope:SCOPE_SE
	s_wait_alu 0xfffe
	s_cbranch_vccnz .LBB211_38
; %bb.18:                               ;   in Loop: Header=BB211_3 Depth=1
	s_mov_b32 s20, 0
	s_mov_b32 s3, s26
	s_branch .LBB211_20
.LBB211_19:                             ;   in Loop: Header=BB211_20 Depth=2
	s_cmp_gt_i32 s3, -1
	s_cselect_b32 s18, -1, 0
	s_add_co_i32 s19, s20, 1
	s_cmp_lt_u32 s20, 2
	s_cselect_b32 s20, -1, 0
	s_delay_alu instid0(SALU_CYCLE_1)
	s_and_b32 s18, s18, s20
	s_mov_b32 s20, s19
	s_and_b32 vcc_lo, exec_lo, s18
	s_wait_alu 0xfffe
	s_cbranch_vccz .LBB211_37
.LBB211_20:                             ;   Parent Loop BB211_3 Depth=1
                                        ; =>  This Loop Header: Depth=2
                                        ;       Child Loop BB211_23 Depth 3
                                        ;         Child Loop BB211_24 Depth 4
                                        ;         Child Loop BB211_26 Depth 4
                                        ;           Child Loop BB211_27 Depth 5
                                        ;         Child Loop BB211_31 Depth 4
                                        ;           Child Loop BB211_33 Depth 5
	s_getpc_b64 s[18:19]
	s_sext_i32_i16 s19, s19
	s_add_co_u32 s18, s18, __const._ZL38rocblas_trsm_small_left_device_sharedBILi12ELi12ELb1E19rocblas_complex_numIdES1_PKPKS1_PKPS1_Ev13rocblas_fill_18rocblas_operation_17rocblas_diagonal_iiT3_T4_lilT5_lili.step_sizes@rel32@lo+8
	s_add_co_ci_u32 s19, s19, __const._ZL38rocblas_trsm_small_left_device_sharedBILi12ELi12ELb1E19rocblas_complex_numIdES1_PKPKS1_PKPS1_Ev13rocblas_fill_18rocblas_operation_17rocblas_diagonal_iiT3_T4_lilT5_lili.step_sizes@rel32@hi+16
	s_lshl_b64 s[34:35], s[20:21], 2
	s_delay_alu instid0(SALU_CYCLE_1) | instskip(SKIP_3) | instid1(SALU_CYCLE_1)
	s_add_nc_u64 s[18:19], s[18:19], s[34:35]
	s_load_b32 s18, s[18:19], 0x0
	s_wait_kmcnt 0x0
	s_add_co_i32 s19, s18, -1
	s_cmp_lt_i32 s3, s19
	s_cbranch_scc1 .LBB211_19
; %bb.21:                               ;   in Loop: Header=BB211_20 Depth=2
	s_mul_i32 s33, s3, 0xc0
	s_max_i32 s23, s18, 1
	s_wait_alu 0xfffe
	v_add_nc_u32_e32 v4, s33, v8
	s_mul_i32 s31, s18, 0xffffff40
	s_add_co_i32 s33, s22, s33
	s_mul_i32 s34, s3, 0xd0
	s_mul_i32 s35, s18, 0xffffff30
	s_branch .LBB211_23
.LBB211_22:                             ;   in Loop: Header=BB211_23 Depth=3
	v_add_nc_u32_e32 v4, s31, v4
	s_sub_co_i32 s3, s3, s18
	s_add_co_i32 s33, s33, s31
	s_add_co_i32 s34, s34, s35
	s_wait_alu 0xfffe
	s_cmp_lt_i32 s3, s19
	s_cbranch_scc1 .LBB211_19
.LBB211_23:                             ;   Parent Loop BB211_3 Depth=1
                                        ;     Parent Loop BB211_20 Depth=2
                                        ; =>    This Loop Header: Depth=3
                                        ;         Child Loop BB211_24 Depth 4
                                        ;         Child Loop BB211_26 Depth 4
                                        ;           Child Loop BB211_27 Depth 5
                                        ;         Child Loop BB211_31 Depth 4
                                        ;           Child Loop BB211_33 Depth 5
	v_mov_b32_e32 v0, v4
	s_mov_b32 s36, 0
	s_mov_b32 s37, s23
.LBB211_24:                             ;   Parent Loop BB211_3 Depth=1
                                        ;     Parent Loop BB211_20 Depth=2
                                        ;       Parent Loop BB211_23 Depth=3
                                        ; =>      This Inner Loop Header: Depth=4
	ds_load_b128 v[20:23], v0
	v_add_nc_u32_e32 v0, 0xffffff40, v0
	s_wait_alu 0xfffe
	s_add_co_i32 s37, s37, -1
	s_wait_dscnt 0x0
	scratch_store_b128 off, v[20:23], s36
	s_add_co_i32 s36, s36, 16
	s_wait_alu 0xfffe
	s_cmp_eq_u32 s37, 0
	s_cbranch_scc0 .LBB211_24
; %bb.25:                               ;   in Loop: Header=BB211_23 Depth=3
	s_cmp_le_i32 s26, s3
	s_mov_b32 s36, s33
	s_mov_b32 s37, s26
	s_cbranch_scc1 .LBB211_29
.LBB211_26:                             ;   Parent Loop BB211_3 Depth=1
                                        ;     Parent Loop BB211_20 Depth=2
                                        ;       Parent Loop BB211_23 Depth=3
                                        ; =>      This Loop Header: Depth=4
                                        ;           Child Loop BB211_27 Depth 5
	s_wait_alu 0xfffe
	v_mad_co_u64_u32 v[0:1], null, 0xc0, s37, v[8:9]
	s_mov_b32 s38, s30
	s_mov_b32 s39, s36
	;; [unrolled: 1-line block ×3, first 2 shown]
	ds_load_b128 v[0:3], v0
.LBB211_27:                             ;   Parent Loop BB211_3 Depth=1
                                        ;     Parent Loop BB211_20 Depth=2
                                        ;       Parent Loop BB211_23 Depth=3
                                        ;         Parent Loop BB211_26 Depth=4
                                        ; =>        This Inner Loop Header: Depth=5
	scratch_load_b128 v[20:23], off, s38 offset:-8
	s_wait_alu 0xfffe
	v_mov_b32_e32 v5, s39
	s_add_co_i32 s40, s40, -1
	s_addk_co_i32 s39, 0xff40
	ds_load_b128 v[24:27], v5
	s_wait_dscnt 0x0
	v_mul_f64_e32 v[5:6], v[2:3], v[26:27]
	v_mul_f64_e32 v[26:27], v[0:1], v[26:27]
	s_delay_alu instid0(VALU_DEP_2) | instskip(NEXT) | instid1(VALU_DEP_2)
	v_fma_f64 v[5:6], v[0:1], v[24:25], -v[5:6]
	v_fma_f64 v[24:25], v[2:3], v[24:25], v[26:27]
	s_wait_loadcnt 0x0
	s_delay_alu instid0(VALU_DEP_2) | instskip(NEXT) | instid1(VALU_DEP_2)
	v_add_f64_e64 v[20:21], v[20:21], -v[5:6]
	v_add_f64_e64 v[22:23], v[22:23], -v[24:25]
	scratch_store_b128 off, v[20:23], s38 offset:-8
	s_add_co_i32 s38, s38, 16
	s_wait_alu 0xfffe
	s_cmp_eq_u32 s40, 0
	s_cbranch_scc0 .LBB211_27
; %bb.28:                               ;   in Loop: Header=BB211_26 Depth=4
	s_add_co_i32 s37, s37, -1
	s_add_co_i32 s36, s36, -16
	s_wait_alu 0xfffe
	s_cmp_le_i32 s37, s3
	s_cbranch_scc0 .LBB211_26
.LBB211_29:                             ;   in Loop: Header=BB211_23 Depth=3
	s_mul_i32 s36, s3, 0xc0
	s_mov_b32 s37, 0
	s_mov_b32 s38, s34
	s_branch .LBB211_31
.LBB211_30:                             ;   in Loop: Header=BB211_31 Depth=4
	s_wait_alu 0xfffe
	s_mulk_i32 s40, 0xd0
	s_addk_co_i32 s38, 0xff40
	s_wait_alu 0xfffe
	v_mov_b32_e32 v5, s40
	s_lshl_b32 s40, s37, 4
	s_add_co_i32 s37, s37, 1
	s_wait_alu 0xfffe
	s_cmp_eq_u32 s37, s23
	ds_load_b128 v[20:23], v5
	s_wait_loadcnt_dscnt 0x0
	v_mul_f64_e32 v[5:6], v[22:23], v[2:3]
	v_mul_f64_e32 v[2:3], v[20:21], v[2:3]
	s_delay_alu instid0(VALU_DEP_2) | instskip(NEXT) | instid1(VALU_DEP_2)
	v_fma_f64 v[20:21], v[20:21], v[0:1], -v[5:6]
	v_fma_f64 v[22:23], v[22:23], v[0:1], v[2:3]
	v_add_nc_u32_e32 v0, s39, v8
	scratch_store_b128 off, v[20:23], s40
	ds_store_b128 v0, v[20:23]
	s_cbranch_scc1 .LBB211_22
.LBB211_31:                             ;   Parent Loop BB211_3 Depth=1
                                        ;     Parent Loop BB211_20 Depth=2
                                        ;       Parent Loop BB211_23 Depth=3
                                        ; =>      This Loop Header: Depth=4
                                        ;           Child Loop BB211_33 Depth 5
	s_wait_alu 0xfffe
	s_cmp_lg_u32 s37, 0
	s_cbranch_scc0 .LBB211_35
; %bb.32:                               ;   in Loop: Header=BB211_31 Depth=4
	s_lshl_b32 s41, s37, 4
	s_sub_co_i32 s40, s3, s37
	scratch_load_b128 v[0:3], off, s41
	s_wait_alu 0xfffe
	s_mul_i32 s39, s40, 0xc0
	s_mov_b32 s42, s30
	s_mov_b32 s43, s38
	;; [unrolled: 1-line block ×3, first 2 shown]
.LBB211_33:                             ;   Parent Loop BB211_3 Depth=1
                                        ;     Parent Loop BB211_20 Depth=2
                                        ;       Parent Loop BB211_23 Depth=3
                                        ;         Parent Loop BB211_31 Depth=4
                                        ; =>        This Inner Loop Header: Depth=5
	scratch_load_b128 v[20:23], off, s42 offset:-8
	s_wait_alu 0xfffe
	v_mov_b32_e32 v5, s43
	s_add_co_i32 s44, s44, -1
	s_add_co_i32 s43, s43, -16
	s_add_co_i32 s42, s42, 16
	s_cmp_eq_u32 s44, 0
	ds_load_b128 v[24:27], v5
	s_wait_loadcnt_dscnt 0x0
	v_mul_f64_e32 v[5:6], v[26:27], v[22:23]
	v_mul_f64_e32 v[22:23], v[24:25], v[22:23]
	s_delay_alu instid0(VALU_DEP_2) | instskip(NEXT) | instid1(VALU_DEP_2)
	v_fma_f64 v[5:6], v[24:25], v[20:21], -v[5:6]
	v_fma_f64 v[20:21], v[26:27], v[20:21], v[22:23]
	s_delay_alu instid0(VALU_DEP_2) | instskip(NEXT) | instid1(VALU_DEP_2)
	v_add_f64_e64 v[0:1], v[0:1], -v[5:6]
	v_add_f64_e64 v[2:3], v[2:3], -v[20:21]
	scratch_store_b128 off, v[0:3], s41
	s_cbranch_scc0 .LBB211_33
; %bb.34:                               ;   in Loop: Header=BB211_31 Depth=4
	s_branch .LBB211_30
.LBB211_35:                             ;   in Loop: Header=BB211_31 Depth=4
                                        ; implicit-def: $vgpr0_vgpr1
                                        ; implicit-def: $sgpr40
                                        ; implicit-def: $sgpr39
	s_cbranch_execz .LBB211_30
; %bb.36:                               ;   in Loop: Header=BB211_31 Depth=4
	scratch_load_b128 v[0:3], off, off
	s_mov_b32 s39, s36
	s_mov_b32 s40, s3
	s_branch .LBB211_30
.LBB211_37:                             ;   in Loop: Header=BB211_3 Depth=1
	s_mov_b32 s3, 0
.LBB211_38:                             ;   in Loop: Header=BB211_3 Depth=1
	s_wait_alu 0xfffe
	s_and_b32 vcc_lo, exec_lo, s3
	s_wait_alu 0xfffe
	s_cbranch_vccz .LBB211_59
; %bb.39:                               ;   in Loop: Header=BB211_3 Depth=1
	s_mov_b32 s20, 0
	s_delay_alu instid0(SALU_CYCLE_1)
	s_mov_b32 s3, s20
	s_branch .LBB211_41
.LBB211_40:                             ;   in Loop: Header=BB211_41 Depth=2
	s_cmp_lt_i32 s3, s25
	s_cselect_b32 s18, -1, 0
	s_add_co_i32 s19, s20, 1
	s_cmp_lt_u32 s20, 2
	s_cselect_b32 s20, -1, 0
	s_delay_alu instid0(SALU_CYCLE_1)
	s_and_b32 s18, s18, s20
	s_mov_b32 s20, s19
	s_and_not1_b32 vcc_lo, exec_lo, s18
	s_wait_alu 0xfffe
	s_cbranch_vccnz .LBB211_59
.LBB211_41:                             ;   Parent Loop BB211_3 Depth=1
                                        ; =>  This Loop Header: Depth=2
                                        ;       Child Loop BB211_44 Depth 3
                                        ;         Child Loop BB211_45 Depth 4
                                        ;         Child Loop BB211_48 Depth 4
                                        ;           Child Loop BB211_49 Depth 5
                                        ;         Child Loop BB211_53 Depth 4
                                        ;           Child Loop BB211_55 Depth 5
	s_getpc_b64 s[18:19]
	s_sext_i32_i16 s19, s19
	s_add_co_u32 s18, s18, __const._ZL38rocblas_trsm_small_left_device_sharedBILi12ELi12ELb1E19rocblas_complex_numIdES1_PKPKS1_PKPS1_Ev13rocblas_fill_18rocblas_operation_17rocblas_diagonal_iiT3_T4_lilT5_lili.step_sizes@rel32@lo+8
	s_add_co_ci_u32 s19, s19, __const._ZL38rocblas_trsm_small_left_device_sharedBILi12ELi12ELb1E19rocblas_complex_numIdES1_PKPKS1_PKPS1_Ev13rocblas_fill_18rocblas_operation_17rocblas_diagonal_iiT3_T4_lilT5_lili.step_sizes@rel32@hi+16
	s_lshl_b64 s[34:35], s[20:21], 2
	s_delay_alu instid0(SALU_CYCLE_1) | instskip(SKIP_3) | instid1(SALU_CYCLE_1)
	s_add_nc_u64 s[18:19], s[18:19], s[34:35]
	s_load_b32 s18, s[18:19], 0x0
	s_wait_kmcnt 0x0
	s_add_co_i32 s19, s18, -1
	s_add_co_i32 s23, s19, s3
	s_delay_alu instid0(SALU_CYCLE_1)
	s_cmp_ge_i32 s23, s25
	s_cbranch_scc1 .LBB211_40
; %bb.42:                               ;   in Loop: Header=BB211_41 Depth=2
	v_mad_co_u64_u32 v[4:5], null, 0xc0, s3, v[8:9]
	s_max_i32 s23, s18, 1
	s_mul_i32 s31, s18, 0xc0
	s_lshl_b32 s33, s3, 4
	s_lshl_b32 s34, s18, 4
	s_mul_i32 s35, s3, 0xd0
	s_mul_i32 s36, s18, 0xd0
	s_branch .LBB211_44
.LBB211_43:                             ;   in Loop: Header=BB211_44 Depth=3
	s_add_co_i32 s3, s3, s18
	v_add_nc_u32_e32 v4, s31, v4
	s_wait_alu 0xfffe
	s_add_co_i32 s37, s19, s3
	s_add_co_i32 s33, s33, s34
	;; [unrolled: 1-line block ×3, first 2 shown]
	s_wait_alu 0xfffe
	s_cmp_ge_i32 s37, s25
	s_cbranch_scc1 .LBB211_40
.LBB211_44:                             ;   Parent Loop BB211_3 Depth=1
                                        ;     Parent Loop BB211_41 Depth=2
                                        ; =>    This Loop Header: Depth=3
                                        ;         Child Loop BB211_45 Depth 4
                                        ;         Child Loop BB211_48 Depth 4
                                        ;           Child Loop BB211_49 Depth 5
                                        ;         Child Loop BB211_53 Depth 4
                                        ;           Child Loop BB211_55 Depth 5
	v_mov_b32_e32 v0, v4
	s_mov_b32 s37, 0
	s_mov_b32 s38, s23
.LBB211_45:                             ;   Parent Loop BB211_3 Depth=1
                                        ;     Parent Loop BB211_41 Depth=2
                                        ;       Parent Loop BB211_44 Depth=3
                                        ; =>      This Inner Loop Header: Depth=4
	ds_load_b128 v[20:23], v0
	v_add_nc_u32_e32 v0, 0xc0, v0
	s_wait_alu 0xfffe
	s_add_co_i32 s38, s38, -1
	s_wait_dscnt 0x0
	scratch_store_b128 off, v[20:23], s37
	s_add_co_i32 s37, s37, 16
	s_wait_alu 0xfffe
	s_cmp_eq_u32 s38, 0
	s_cbranch_scc0 .LBB211_45
; %bb.46:                               ;   in Loop: Header=BB211_44 Depth=3
	s_cmp_lt_i32 s3, 1
	s_cbranch_scc1 .LBB211_51
; %bb.47:                               ;   in Loop: Header=BB211_44 Depth=3
	s_mov_b32 s37, 0
	s_mov_b32 s38, s33
.LBB211_48:                             ;   Parent Loop BB211_3 Depth=1
                                        ;     Parent Loop BB211_41 Depth=2
                                        ;       Parent Loop BB211_44 Depth=3
                                        ; =>      This Loop Header: Depth=4
                                        ;           Child Loop BB211_49 Depth 5
	s_wait_alu 0xfffe
	v_mad_co_u64_u32 v[0:1], null, 0xc0, s37, v[8:9]
	s_mov_b32 s39, s30
	s_mov_b32 s40, s38
	;; [unrolled: 1-line block ×3, first 2 shown]
	ds_load_b128 v[0:3], v0
.LBB211_49:                             ;   Parent Loop BB211_3 Depth=1
                                        ;     Parent Loop BB211_41 Depth=2
                                        ;       Parent Loop BB211_44 Depth=3
                                        ;         Parent Loop BB211_48 Depth=4
                                        ; =>        This Inner Loop Header: Depth=5
	scratch_load_b128 v[20:23], off, s39 offset:-8
	s_wait_alu 0xfffe
	v_mov_b32_e32 v5, s40
	s_add_co_i32 s41, s41, -1
	s_add_co_i32 s40, s40, 16
	ds_load_b128 v[24:27], v5
	s_wait_dscnt 0x0
	v_mul_f64_e32 v[5:6], v[2:3], v[26:27]
	v_mul_f64_e32 v[26:27], v[0:1], v[26:27]
	s_delay_alu instid0(VALU_DEP_2) | instskip(NEXT) | instid1(VALU_DEP_2)
	v_fma_f64 v[5:6], v[0:1], v[24:25], -v[5:6]
	v_fma_f64 v[24:25], v[2:3], v[24:25], v[26:27]
	s_wait_loadcnt 0x0
	s_delay_alu instid0(VALU_DEP_2) | instskip(NEXT) | instid1(VALU_DEP_2)
	v_add_f64_e64 v[20:21], v[20:21], -v[5:6]
	v_add_f64_e64 v[22:23], v[22:23], -v[24:25]
	scratch_store_b128 off, v[20:23], s39 offset:-8
	s_add_co_i32 s39, s39, 16
	s_wait_alu 0xfffe
	s_cmp_eq_u32 s41, 0
	s_cbranch_scc0 .LBB211_49
; %bb.50:                               ;   in Loop: Header=BB211_48 Depth=4
	s_add_co_i32 s37, s37, 1
	s_addk_co_i32 s38, 0xc0
	s_wait_alu 0xfffe
	s_cmp_eq_u32 s37, s3
	s_cbranch_scc0 .LBB211_48
.LBB211_51:                             ;   in Loop: Header=BB211_44 Depth=3
	s_mov_b32 s37, 0
	s_mov_b32 s38, s35
	s_branch .LBB211_53
.LBB211_52:                             ;   in Loop: Header=BB211_53 Depth=4
	s_add_co_i32 s39, s37, s3
	s_add_co_i32 s38, s38, 16
	s_wait_alu 0xfffe
	s_mul_i32 s40, s39, 0xd0
	s_wait_alu 0xfffe
	v_mov_b32_e32 v5, s40
	ds_load_b128 v[20:23], v5
	s_wait_loadcnt_dscnt 0x0
	v_mul_f64_e32 v[5:6], v[22:23], v[2:3]
	v_mul_f64_e32 v[2:3], v[20:21], v[2:3]
	s_delay_alu instid0(VALU_DEP_2) | instskip(NEXT) | instid1(VALU_DEP_2)
	v_fma_f64 v[20:21], v[20:21], v[0:1], -v[5:6]
	v_fma_f64 v[22:23], v[22:23], v[0:1], v[2:3]
	v_mad_co_u64_u32 v[0:1], null, 0xc0, s39, v[8:9]
	s_lshl_b32 s39, s37, 4
	s_add_co_i32 s37, s37, 1
	s_wait_alu 0xfffe
	s_cmp_eq_u32 s37, s23
	scratch_store_b128 off, v[20:23], s39
	ds_store_b128 v0, v[20:23]
	s_cbranch_scc1 .LBB211_43
.LBB211_53:                             ;   Parent Loop BB211_3 Depth=1
                                        ;     Parent Loop BB211_41 Depth=2
                                        ;       Parent Loop BB211_44 Depth=3
                                        ; =>      This Loop Header: Depth=4
                                        ;           Child Loop BB211_55 Depth 5
	s_wait_alu 0xfffe
	s_cmp_lg_u32 s37, 0
	s_cbranch_scc0 .LBB211_57
; %bb.54:                               ;   in Loop: Header=BB211_53 Depth=4
	s_lshl_b32 s39, s37, 4
	s_mov_b32 s40, s30
	scratch_load_b128 v[0:3], off, s39
	s_mov_b32 s41, s38
	s_mov_b32 s42, s37
.LBB211_55:                             ;   Parent Loop BB211_3 Depth=1
                                        ;     Parent Loop BB211_41 Depth=2
                                        ;       Parent Loop BB211_44 Depth=3
                                        ;         Parent Loop BB211_53 Depth=4
                                        ; =>        This Inner Loop Header: Depth=5
	scratch_load_b128 v[20:23], off, s40 offset:-8
	s_wait_alu 0xfffe
	v_mov_b32_e32 v5, s41
	s_add_co_i32 s42, s42, -1
	s_addk_co_i32 s41, 0xc0
	s_add_co_i32 s40, s40, 16
	s_wait_alu 0xfffe
	s_cmp_eq_u32 s42, 0
	ds_load_b128 v[24:27], v5
	s_wait_loadcnt_dscnt 0x0
	v_mul_f64_e32 v[5:6], v[26:27], v[22:23]
	v_mul_f64_e32 v[22:23], v[24:25], v[22:23]
	s_delay_alu instid0(VALU_DEP_2) | instskip(NEXT) | instid1(VALU_DEP_2)
	v_fma_f64 v[5:6], v[24:25], v[20:21], -v[5:6]
	v_fma_f64 v[20:21], v[26:27], v[20:21], v[22:23]
	s_delay_alu instid0(VALU_DEP_2) | instskip(NEXT) | instid1(VALU_DEP_2)
	v_add_f64_e64 v[0:1], v[0:1], -v[5:6]
	v_add_f64_e64 v[2:3], v[2:3], -v[20:21]
	scratch_store_b128 off, v[0:3], s39
	s_cbranch_scc0 .LBB211_55
; %bb.56:                               ;   in Loop: Header=BB211_53 Depth=4
	s_branch .LBB211_52
.LBB211_57:                             ;   in Loop: Header=BB211_53 Depth=4
                                        ; implicit-def: $vgpr0_vgpr1
	s_cbranch_execz .LBB211_52
; %bb.58:                               ;   in Loop: Header=BB211_53 Depth=4
	scratch_load_b128 v[0:3], off, off
	s_branch .LBB211_52
.LBB211_59:                             ;   in Loop: Header=BB211_3 Depth=1
	s_wait_storecnt 0x0
	; wave barrier
	s_wait_loadcnt_dscnt 0x0
	global_inv scope:SCOPE_SE
	s_and_saveexec_b32 s3, s29
	s_cbranch_execz .LBB211_2
; %bb.60:                               ;   in Loop: Header=BB211_3 Depth=1
	v_add_co_u32 v0, vcc_lo, v11, s10
	s_wait_alu 0xfffd
	v_add_co_ci_u32_e64 v1, null, s11, v12, vcc_lo
	v_mov_b32_e32 v2, v8
	s_delay_alu instid0(VALU_DEP_3) | instskip(SKIP_1) | instid1(VALU_DEP_3)
	v_add_co_u32 v0, vcc_lo, v0, s16
	s_wait_alu 0xfffd
	v_add_co_ci_u32_e64 v1, null, s17, v1, vcc_lo
	s_mov_b32 s18, s25
	v_add_co_u32 v0, vcc_lo, v0, v9
	s_wait_alu 0xfffd
	v_add_co_ci_u32_e64 v1, null, v1, v10, vcc_lo
.LBB211_61:                             ;   Parent Loop BB211_3 Depth=1
                                        ; =>  This Inner Loop Header: Depth=2
	ds_load_2addr_b64 v[3:6], v2 offset1:1
	v_add_nc_u32_e32 v2, 0xc0, v2
	s_add_co_i32 s18, s18, -1
	s_delay_alu instid0(SALU_CYCLE_1)
	s_cmp_lg_u32 s18, 0
	s_wait_dscnt 0x0
	flat_store_b128 v[0:1], v[3:6]
	v_add_co_u32 v0, vcc_lo, v0, 16
	s_wait_alu 0xfffd
	v_add_co_ci_u32_e64 v1, null, 0, v1, vcc_lo
	s_cbranch_scc1 .LBB211_61
	s_branch .LBB211_2
.LBB211_62:
	s_endpgm
	.section	.rodata,"a",@progbits
	.p2align	6, 0x0
	.amdhsa_kernel _ZL38rocblas_trsm_small_left_device_sharedBILi12ELi12ELb1E19rocblas_complex_numIdES1_PKPKS1_PKPS1_Ev13rocblas_fill_18rocblas_operation_17rocblas_diagonal_iiT3_T4_lilT5_lili
		.amdhsa_group_segment_fixed_size 4608
		.amdhsa_private_segment_fixed_size 208
		.amdhsa_kernarg_size 368
		.amdhsa_user_sgpr_count 2
		.amdhsa_user_sgpr_dispatch_ptr 0
		.amdhsa_user_sgpr_queue_ptr 0
		.amdhsa_user_sgpr_kernarg_segment_ptr 1
		.amdhsa_user_sgpr_dispatch_id 0
		.amdhsa_user_sgpr_private_segment_size 0
		.amdhsa_wavefront_size32 1
		.amdhsa_uses_dynamic_stack 0
		.amdhsa_enable_private_segment 1
		.amdhsa_system_sgpr_workgroup_id_x 1
		.amdhsa_system_sgpr_workgroup_id_y 0
		.amdhsa_system_sgpr_workgroup_id_z 1
		.amdhsa_system_sgpr_workgroup_info 0
		.amdhsa_system_vgpr_workitem_id 0
		.amdhsa_next_free_vgpr 193
		.amdhsa_next_free_sgpr 45
		.amdhsa_reserve_vcc 1
		.amdhsa_float_round_mode_32 0
		.amdhsa_float_round_mode_16_64 0
		.amdhsa_float_denorm_mode_32 3
		.amdhsa_float_denorm_mode_16_64 3
		.amdhsa_fp16_overflow 0
		.amdhsa_workgroup_processor_mode 1
		.amdhsa_memory_ordered 1
		.amdhsa_forward_progress 1
		.amdhsa_inst_pref_size 25
		.amdhsa_round_robin_scheduling 0
		.amdhsa_exception_fp_ieee_invalid_op 0
		.amdhsa_exception_fp_denorm_src 0
		.amdhsa_exception_fp_ieee_div_zero 0
		.amdhsa_exception_fp_ieee_overflow 0
		.amdhsa_exception_fp_ieee_underflow 0
		.amdhsa_exception_fp_ieee_inexact 0
		.amdhsa_exception_int_div_zero 0
	.end_amdhsa_kernel
	.section	.text._ZL38rocblas_trsm_small_left_device_sharedBILi12ELi12ELb1E19rocblas_complex_numIdES1_PKPKS1_PKPS1_Ev13rocblas_fill_18rocblas_operation_17rocblas_diagonal_iiT3_T4_lilT5_lili,"axG",@progbits,_ZL38rocblas_trsm_small_left_device_sharedBILi12ELi12ELb1E19rocblas_complex_numIdES1_PKPKS1_PKPS1_Ev13rocblas_fill_18rocblas_operation_17rocblas_diagonal_iiT3_T4_lilT5_lili,comdat
.Lfunc_end211:
	.size	_ZL38rocblas_trsm_small_left_device_sharedBILi12ELi12ELb1E19rocblas_complex_numIdES1_PKPKS1_PKPS1_Ev13rocblas_fill_18rocblas_operation_17rocblas_diagonal_iiT3_T4_lilT5_lili, .Lfunc_end211-_ZL38rocblas_trsm_small_left_device_sharedBILi12ELi12ELb1E19rocblas_complex_numIdES1_PKPKS1_PKPS1_Ev13rocblas_fill_18rocblas_operation_17rocblas_diagonal_iiT3_T4_lilT5_lili
                                        ; -- End function
	.set _ZL38rocblas_trsm_small_left_device_sharedBILi12ELi12ELb1E19rocblas_complex_numIdES1_PKPKS1_PKPS1_Ev13rocblas_fill_18rocblas_operation_17rocblas_diagonal_iiT3_T4_lilT5_lili.num_vgpr, 28
	.set _ZL38rocblas_trsm_small_left_device_sharedBILi12ELi12ELb1E19rocblas_complex_numIdES1_PKPKS1_PKPS1_Ev13rocblas_fill_18rocblas_operation_17rocblas_diagonal_iiT3_T4_lilT5_lili.num_agpr, 0
	.set _ZL38rocblas_trsm_small_left_device_sharedBILi12ELi12ELb1E19rocblas_complex_numIdES1_PKPKS1_PKPS1_Ev13rocblas_fill_18rocblas_operation_17rocblas_diagonal_iiT3_T4_lilT5_lili.numbered_sgpr, 45
	.set _ZL38rocblas_trsm_small_left_device_sharedBILi12ELi12ELb1E19rocblas_complex_numIdES1_PKPKS1_PKPS1_Ev13rocblas_fill_18rocblas_operation_17rocblas_diagonal_iiT3_T4_lilT5_lili.num_named_barrier, 0
	.set _ZL38rocblas_trsm_small_left_device_sharedBILi12ELi12ELb1E19rocblas_complex_numIdES1_PKPKS1_PKPS1_Ev13rocblas_fill_18rocblas_operation_17rocblas_diagonal_iiT3_T4_lilT5_lili.private_seg_size, 208
	.set _ZL38rocblas_trsm_small_left_device_sharedBILi12ELi12ELb1E19rocblas_complex_numIdES1_PKPKS1_PKPS1_Ev13rocblas_fill_18rocblas_operation_17rocblas_diagonal_iiT3_T4_lilT5_lili.uses_vcc, 1
	.set _ZL38rocblas_trsm_small_left_device_sharedBILi12ELi12ELb1E19rocblas_complex_numIdES1_PKPKS1_PKPS1_Ev13rocblas_fill_18rocblas_operation_17rocblas_diagonal_iiT3_T4_lilT5_lili.uses_flat_scratch, 0
	.set _ZL38rocblas_trsm_small_left_device_sharedBILi12ELi12ELb1E19rocblas_complex_numIdES1_PKPKS1_PKPS1_Ev13rocblas_fill_18rocblas_operation_17rocblas_diagonal_iiT3_T4_lilT5_lili.has_dyn_sized_stack, 0
	.set _ZL38rocblas_trsm_small_left_device_sharedBILi12ELi12ELb1E19rocblas_complex_numIdES1_PKPKS1_PKPS1_Ev13rocblas_fill_18rocblas_operation_17rocblas_diagonal_iiT3_T4_lilT5_lili.has_recursion, 0
	.set _ZL38rocblas_trsm_small_left_device_sharedBILi12ELi12ELb1E19rocblas_complex_numIdES1_PKPKS1_PKPS1_Ev13rocblas_fill_18rocblas_operation_17rocblas_diagonal_iiT3_T4_lilT5_lili.has_indirect_call, 0
	.section	.AMDGPU.csdata,"",@progbits
; Kernel info:
; codeLenInByte = 3088
; TotalNumSgprs: 47
; NumVgprs: 28
; ScratchSize: 208
; MemoryBound: 0
; FloatMode: 240
; IeeeMode: 1
; LDSByteSize: 4608 bytes/workgroup (compile time only)
; SGPRBlocks: 0
; VGPRBlocks: 24
; NumSGPRsForWavesPerEU: 47
; NumVGPRsForWavesPerEU: 193
; Occupancy: 7
; WaveLimiterHint : 0
; COMPUTE_PGM_RSRC2:SCRATCH_EN: 1
; COMPUTE_PGM_RSRC2:USER_SGPR: 2
; COMPUTE_PGM_RSRC2:TRAP_HANDLER: 0
; COMPUTE_PGM_RSRC2:TGID_X_EN: 1
; COMPUTE_PGM_RSRC2:TGID_Y_EN: 0
; COMPUTE_PGM_RSRC2:TGID_Z_EN: 1
; COMPUTE_PGM_RSRC2:TIDIG_COMP_CNT: 0
	.section	.text._ZL30rocblas_trsm_small_left_deviceILi12ELi12ELb1E19rocblas_complex_numIdES1_PKPKS1_PKPS1_Ev13rocblas_fill_18rocblas_operation_17rocblas_diagonal_iiT3_T4_lilT5_lili,"axG",@progbits,_ZL30rocblas_trsm_small_left_deviceILi12ELi12ELb1E19rocblas_complex_numIdES1_PKPKS1_PKPS1_Ev13rocblas_fill_18rocblas_operation_17rocblas_diagonal_iiT3_T4_lilT5_lili,comdat
	.globl	_ZL30rocblas_trsm_small_left_deviceILi12ELi12ELb1E19rocblas_complex_numIdES1_PKPKS1_PKPS1_Ev13rocblas_fill_18rocblas_operation_17rocblas_diagonal_iiT3_T4_lilT5_lili ; -- Begin function _ZL30rocblas_trsm_small_left_deviceILi12ELi12ELb1E19rocblas_complex_numIdES1_PKPKS1_PKPS1_Ev13rocblas_fill_18rocblas_operation_17rocblas_diagonal_iiT3_T4_lilT5_lili
	.p2align	8
	.type	_ZL30rocblas_trsm_small_left_deviceILi12ELi12ELb1E19rocblas_complex_numIdES1_PKPKS1_PKPS1_Ev13rocblas_fill_18rocblas_operation_17rocblas_diagonal_iiT3_T4_lilT5_lili,@function
_ZL30rocblas_trsm_small_left_deviceILi12ELi12ELb1E19rocblas_complex_numIdES1_PKPKS1_PKPS1_Ev13rocblas_fill_18rocblas_operation_17rocblas_diagonal_iiT3_T4_lilT5_lili: ; @_ZL30rocblas_trsm_small_left_deviceILi12ELi12ELb1E19rocblas_complex_numIdES1_PKPKS1_PKPS1_Ev13rocblas_fill_18rocblas_operation_17rocblas_diagonal_iiT3_T4_lilT5_lili
; %bb.0:
	s_load_b32 s3, s[0:1], 0x68
	s_lshr_b32 s20, ttmp7, 16
	s_wait_kmcnt 0x0
	s_cmp_ge_u32 s20, s3
	s_cbranch_scc1 .LBB212_59
; %bb.1:
	s_clause 0x5
	s_load_b32 s22, s[0:1], 0x38
	s_load_b128 s[16:19], s[0:1], 0x4
	s_load_b32 s2, s[0:1], 0x58
	s_load_b32 s21, s[0:1], 0x70
	s_load_b128 s[12:15], s[0:1], 0x48
	s_load_b256 s[4:11], s[0:1], 0x18
	v_mad_co_u64_u32 v[1:2], null, ttmp9, 12, v[0:1]
	s_mul_i32 s1, ttmp9, -12
	v_dual_mov_b32 v13, 0 :: v_dual_lshlrev_b32 v12, 4, v0
	v_mul_u32_u24_e32 v3, 0xc0, v0
	s_mov_b32 s35, 0
                                        ; implicit-def: $sgpr36
                                        ; implicit-def: $sgpr37
	s_delay_alu instid0(VALU_DEP_1)
	v_add_nc_u32_e32 v18, v12, v3
	s_wait_kmcnt 0x0
	s_ashr_i32 s23, s22, 31
	s_cmp_eq_u32 s16, 0x71
	v_mad_co_i64_i32 v[1:2], null, s2, v1, 0
	s_cselect_b32 s0, -1, 0
	s_min_i32 s28, s18, 12
	s_add_co_i32 s21, s21, -1
	s_wait_alu 0xfffe
	s_add_co_i32 s2, s19, s1
	s_add_co_i32 s29, s28, -1
	s_cmp_ge_u32 ttmp9, s21
	v_lshlrev_b64_e32 v[8:9], 4, v[1:2]
	s_wait_alu 0xfffe
	s_cselect_b32 s2, s2, 12
	s_cmp_lg_u32 s17, 0x84
	v_cmp_gt_i32_e64 s1, s28, v0
	s_cselect_b32 s30, -1, 0
	s_cmp_lg_u32 s16, 0x6f
	s_wait_alu 0xfffe
	v_cmp_gt_i32_e64 s2, s2, v0
	s_cselect_b32 s31, -1, 0
	s_lshl_b64 s[16:17], s[10:11], 4
	s_lshl_b64 s[10:11], s[14:15], 4
	v_add_co_u32 v0, s14, s16, v12
	v_add_co_u32 v1, vcc_lo, v8, s10
	v_add_co_ci_u32_e64 v14, null, s17, 0, s14
	s_delay_alu instid0(VALU_DEP_3) | instskip(SKIP_1) | instid1(VALU_DEP_4)
	v_or_b32_e32 v15, 8, v0
	v_add_co_ci_u32_e64 v16, null, s11, v9, vcc_lo
	v_or_b32_e32 v17, 8, v1
	s_lshl_b32 s34, s28, 4
	s_or_b32 s33, 0, 8
	s_lshl_b64 s[14:15], s[22:23], 4
	s_add_co_i32 s34, s34, -16
	s_mov_b32 s17, 0
	s_branch .LBB212_4
.LBB212_2:                              ;   in Loop: Header=BB212_4 Depth=1
	s_add_co_i32 s20, s20, 0x10000
	s_delay_alu instid0(SALU_CYCLE_1)
	s_cmp_ge_u32 s20, s3
	s_cselect_b32 s16, -1, 0
	s_and_not1_b32 s37, s37, exec_lo
	s_wait_alu 0xfffe
	s_or_not1_b32 s16, s16, exec_lo
.LBB212_3:                              ;   in Loop: Header=BB212_4 Depth=1
	s_or_b32 exec_lo, exec_lo, s21
	s_wait_alu 0xfffe
	s_and_b32 s16, exec_lo, s16
	s_wait_alu 0xfffe
	s_or_b32 s35, s16, s35
	s_and_not1_b32 s16, s36, exec_lo
	s_and_b32 s18, s37, exec_lo
	s_wait_alu 0xfffe
	s_or_b32 s36, s16, s18
	s_and_not1_b32 exec_lo, exec_lo, s35
	s_cbranch_execz .LBB212_58
.LBB212_4:                              ; =>This Loop Header: Depth=1
                                        ;     Child Loop BB212_6 Depth 2
                                        ;     Child Loop BB212_19 Depth 2
                                        ;       Child Loop BB212_22 Depth 3
                                        ;         Child Loop BB212_23 Depth 4
                                        ;         Child Loop BB212_25 Depth 4
                                        ;           Child Loop BB212_26 Depth 5
                                        ;         Child Loop BB212_30 Depth 4
                                        ;           Child Loop BB212_32 Depth 5
                                        ;     Child Loop BB212_40 Depth 2
                                        ;       Child Loop BB212_43 Depth 3
                                        ;         Child Loop BB212_44 Depth 4
                                        ;         Child Loop BB212_47 Depth 4
                                        ;           Child Loop BB212_48 Depth 5
                                        ;         Child Loop BB212_52 Depth 4
                                        ;           Child Loop BB212_54 Depth 5
	s_wait_alu 0xfffe
	s_mov_b32 s21, s17
	s_delay_alu instid0(SALU_CYCLE_1) | instskip(NEXT) | instid1(SALU_CYCLE_1)
	s_lshl_b64 s[18:19], s[20:21], 3
	s_add_nc_u64 s[22:23], s[12:13], s[18:19]
	global_load_b64 v[10:11], v13, s[22:23]
	s_and_saveexec_b32 s16, s1
	s_cbranch_execz .LBB212_15
; %bb.5:                                ;   in Loop: Header=BB212_4 Depth=1
	s_add_nc_u64 s[18:19], s[8:9], s[18:19]
	v_mov_b32_e32 v2, v12
	global_load_b64 v[0:1], v13, s[18:19]
	s_mov_b32 s18, s28
	s_wait_loadcnt 0x0
	v_add_co_u32 v0, vcc_lo, v0, v15
	s_wait_alu 0xfffd
	v_add_co_ci_u32_e64 v1, null, v1, v14, vcc_lo
.LBB212_6:                              ;   Parent Loop BB212_4 Depth=1
                                        ; =>  This Inner Loop Header: Depth=2
	flat_load_b128 v[3:6], v[0:1] offset:-8
	v_add_co_u32 v0, vcc_lo, v0, s14
	s_wait_alu 0xfffd
	v_add_co_ci_u32_e64 v1, null, s15, v1, vcc_lo
	s_add_co_i32 s18, s18, -1
	s_delay_alu instid0(SALU_CYCLE_1) | instskip(SKIP_2) | instid1(VALU_DEP_1)
	s_cmp_eq_u32 s18, 0
	s_wait_loadcnt_dscnt 0x0
	v_xor_b32_e32 v7, 0x80000000, v6
	v_cndmask_b32_e64 v6, v6, v7, s0
	ds_store_b128 v2, v[3:6]
	v_add_nc_u32_e32 v2, 0xc0, v2
	s_cbranch_scc0 .LBB212_6
; %bb.7:                                ;   in Loop: Header=BB212_4 Depth=1
	s_and_b32 vcc_lo, exec_lo, s30
	s_wait_alu 0xfffe
	s_cbranch_vccz .LBB212_13
; %bb.8:                                ;   in Loop: Header=BB212_4 Depth=1
	ds_load_b128 v[0:3], v18
                                        ; implicit-def: $vgpr6_vgpr7
	s_wait_dscnt 0x0
	v_cmp_ngt_f64_e64 s18, |v[0:1]|, |v[2:3]|
	s_and_saveexec_b32 s19, s18
	s_delay_alu instid0(SALU_CYCLE_1)
	s_xor_b32 s18, exec_lo, s19
	s_cbranch_execz .LBB212_10
; %bb.9:                                ;   in Loop: Header=BB212_4 Depth=1
	v_div_scale_f64 v[4:5], null, v[2:3], v[2:3], v[0:1]
	v_div_scale_f64 v[21:22], vcc_lo, v[0:1], v[2:3], v[0:1]
	s_delay_alu instid0(VALU_DEP_2) | instskip(NEXT) | instid1(TRANS32_DEP_1)
	v_rcp_f64_e32 v[6:7], v[4:5]
	v_fma_f64 v[19:20], -v[4:5], v[6:7], 1.0
	s_delay_alu instid0(VALU_DEP_1) | instskip(NEXT) | instid1(VALU_DEP_1)
	v_fma_f64 v[6:7], v[6:7], v[19:20], v[6:7]
	v_fma_f64 v[19:20], -v[4:5], v[6:7], 1.0
	s_delay_alu instid0(VALU_DEP_1) | instskip(NEXT) | instid1(VALU_DEP_1)
	v_fma_f64 v[6:7], v[6:7], v[19:20], v[6:7]
	v_mul_f64_e32 v[19:20], v[21:22], v[6:7]
	s_delay_alu instid0(VALU_DEP_1) | instskip(SKIP_1) | instid1(VALU_DEP_1)
	v_fma_f64 v[4:5], -v[4:5], v[19:20], v[21:22]
	s_wait_alu 0xfffd
	v_div_fmas_f64 v[4:5], v[4:5], v[6:7], v[19:20]
	s_delay_alu instid0(VALU_DEP_1) | instskip(NEXT) | instid1(VALU_DEP_1)
	v_div_fixup_f64 v[4:5], v[4:5], v[2:3], v[0:1]
	v_fma_f64 v[0:1], v[0:1], v[4:5], v[2:3]
	s_delay_alu instid0(VALU_DEP_1) | instskip(SKIP_1) | instid1(VALU_DEP_2)
	v_div_scale_f64 v[2:3], null, v[0:1], v[0:1], 1.0
	v_div_scale_f64 v[21:22], vcc_lo, 1.0, v[0:1], 1.0
	v_rcp_f64_e32 v[6:7], v[2:3]
	s_delay_alu instid0(TRANS32_DEP_1) | instskip(NEXT) | instid1(VALU_DEP_1)
	v_fma_f64 v[19:20], -v[2:3], v[6:7], 1.0
	v_fma_f64 v[6:7], v[6:7], v[19:20], v[6:7]
	s_delay_alu instid0(VALU_DEP_1) | instskip(NEXT) | instid1(VALU_DEP_1)
	v_fma_f64 v[19:20], -v[2:3], v[6:7], 1.0
	v_fma_f64 v[6:7], v[6:7], v[19:20], v[6:7]
	s_delay_alu instid0(VALU_DEP_1) | instskip(NEXT) | instid1(VALU_DEP_1)
	v_mul_f64_e32 v[19:20], v[21:22], v[6:7]
	v_fma_f64 v[2:3], -v[2:3], v[19:20], v[21:22]
	s_wait_alu 0xfffd
	s_delay_alu instid0(VALU_DEP_1) | instskip(SKIP_1) | instid1(VALU_DEP_2)
	v_div_fmas_f64 v[2:3], v[2:3], v[6:7], v[19:20]
	v_add_f64_e32 v[6:7], 0, v[4:5]
	v_div_fixup_f64 v[0:1], v[2:3], v[0:1], 1.0
	v_fma_f64 v[2:3], v[4:5], 0, -1.0
	s_delay_alu instid0(VALU_DEP_2) | instskip(NEXT) | instid1(VALU_DEP_2)
	v_mul_f64_e32 v[4:5], v[6:7], v[0:1]
	v_mul_f64_e32 v[6:7], v[2:3], v[0:1]
                                        ; implicit-def: $vgpr0_vgpr1
.LBB212_10:                             ;   in Loop: Header=BB212_4 Depth=1
	s_and_not1_saveexec_b32 s18, s18
	s_cbranch_execz .LBB212_12
; %bb.11:                               ;   in Loop: Header=BB212_4 Depth=1
	v_div_scale_f64 v[4:5], null, v[0:1], v[0:1], v[2:3]
	v_div_scale_f64 v[21:22], vcc_lo, v[2:3], v[0:1], v[2:3]
	s_delay_alu instid0(VALU_DEP_2) | instskip(NEXT) | instid1(TRANS32_DEP_1)
	v_rcp_f64_e32 v[6:7], v[4:5]
	v_fma_f64 v[19:20], -v[4:5], v[6:7], 1.0
	s_delay_alu instid0(VALU_DEP_1) | instskip(NEXT) | instid1(VALU_DEP_1)
	v_fma_f64 v[6:7], v[6:7], v[19:20], v[6:7]
	v_fma_f64 v[19:20], -v[4:5], v[6:7], 1.0
	s_delay_alu instid0(VALU_DEP_1) | instskip(NEXT) | instid1(VALU_DEP_1)
	v_fma_f64 v[6:7], v[6:7], v[19:20], v[6:7]
	v_mul_f64_e32 v[19:20], v[21:22], v[6:7]
	s_delay_alu instid0(VALU_DEP_1) | instskip(SKIP_1) | instid1(VALU_DEP_1)
	v_fma_f64 v[4:5], -v[4:5], v[19:20], v[21:22]
	s_wait_alu 0xfffd
	v_div_fmas_f64 v[4:5], v[4:5], v[6:7], v[19:20]
	s_delay_alu instid0(VALU_DEP_1) | instskip(NEXT) | instid1(VALU_DEP_1)
	v_div_fixup_f64 v[4:5], v[4:5], v[0:1], v[2:3]
	v_fma_f64 v[0:1], v[2:3], v[4:5], v[0:1]
	s_delay_alu instid0(VALU_DEP_1) | instskip(SKIP_1) | instid1(VALU_DEP_2)
	v_div_scale_f64 v[2:3], null, v[0:1], v[0:1], 1.0
	v_div_scale_f64 v[21:22], vcc_lo, 1.0, v[0:1], 1.0
	v_rcp_f64_e32 v[6:7], v[2:3]
	s_delay_alu instid0(TRANS32_DEP_1) | instskip(NEXT) | instid1(VALU_DEP_1)
	v_fma_f64 v[19:20], -v[2:3], v[6:7], 1.0
	v_fma_f64 v[6:7], v[6:7], v[19:20], v[6:7]
	s_delay_alu instid0(VALU_DEP_1) | instskip(NEXT) | instid1(VALU_DEP_1)
	v_fma_f64 v[19:20], -v[2:3], v[6:7], 1.0
	v_fma_f64 v[6:7], v[6:7], v[19:20], v[6:7]
	s_delay_alu instid0(VALU_DEP_1) | instskip(NEXT) | instid1(VALU_DEP_1)
	v_mul_f64_e32 v[19:20], v[21:22], v[6:7]
	v_fma_f64 v[2:3], -v[2:3], v[19:20], v[21:22]
	s_wait_alu 0xfffd
	s_delay_alu instid0(VALU_DEP_1) | instskip(SKIP_1) | instid1(VALU_DEP_2)
	v_div_fmas_f64 v[2:3], v[2:3], v[6:7], v[19:20]
	v_fma_f64 v[6:7], v[4:5], 0, 1.0
	v_div_fixup_f64 v[0:1], v[2:3], v[0:1], 1.0
	v_add_f64_e64 v[2:3], -v[4:5], 0
	s_delay_alu instid0(VALU_DEP_2) | instskip(NEXT) | instid1(VALU_DEP_2)
	v_mul_f64_e32 v[4:5], v[6:7], v[0:1]
	v_mul_f64_e32 v[6:7], v[2:3], v[0:1]
.LBB212_12:                             ;   in Loop: Header=BB212_4 Depth=1
	s_or_b32 exec_lo, exec_lo, s18
	s_branch .LBB212_14
.LBB212_13:                             ;   in Loop: Header=BB212_4 Depth=1
	v_mov_b32_e32 v6, 0
	v_dual_mov_b32 v7, 0 :: v_dual_mov_b32 v4, 0
	v_mov_b32_e32 v5, 0x3ff00000
.LBB212_14:                             ;   in Loop: Header=BB212_4 Depth=1
	ds_store_b128 v18, v[4:7]
.LBB212_15:                             ;   in Loop: Header=BB212_4 Depth=1
	s_wait_alu 0xfffe
	s_or_b32 exec_lo, exec_lo, s16
	s_mov_b32 s16, -1
	s_or_b32 s37, s37, exec_lo
	; wave barrier
	s_wait_loadcnt_dscnt 0x0
	global_inv scope:SCOPE_SE
	s_and_saveexec_b32 s21, s2
	s_cbranch_execz .LBB212_3
; %bb.16:                               ;   in Loop: Header=BB212_4 Depth=1
	v_add_co_u32 v0, vcc_lo, v10, s10
	s_wait_alu 0xfffd
	v_add_co_ci_u32_e64 v1, null, s11, v11, vcc_lo
	s_delay_alu instid0(VALU_DEP_2) | instskip(SKIP_1) | instid1(VALU_DEP_2)
	v_add_co_u32 v6, vcc_lo, v0, v8
	s_wait_alu 0xfffd
	v_add_co_ci_u32_e64 v7, null, v1, v9, vcc_lo
	s_and_not1_b32 vcc_lo, exec_lo, s31
	s_wait_alu 0xfffe
	s_cbranch_vccnz .LBB212_37
; %bb.17:                               ;   in Loop: Header=BB212_4 Depth=1
	v_add_co_u32 v4, vcc_lo, v10, v17
	s_wait_alu 0xfffd
	v_add_co_ci_u32_e64 v5, null, v11, v16, vcc_lo
	s_mov_b32 s16, 0
	s_mov_b32 s18, s29
	s_branch .LBB212_19
.LBB212_18:                             ;   in Loop: Header=BB212_19 Depth=2
	s_cmp_gt_i32 s18, -1
	s_cselect_b32 s19, -1, 0
	s_add_co_i32 s22, s16, 1
	s_cmp_lt_u32 s16, 2
	s_cselect_b32 s16, -1, 0
	s_wait_alu 0xfffe
	s_and_b32 s16, s19, s16
	s_wait_alu 0xfffe
	s_and_b32 vcc_lo, exec_lo, s16
	s_mov_b32 s16, s22
	s_wait_alu 0xfffe
	s_cbranch_vccz .LBB212_36
.LBB212_19:                             ;   Parent Loop BB212_4 Depth=1
                                        ; =>  This Loop Header: Depth=2
                                        ;       Child Loop BB212_22 Depth 3
                                        ;         Child Loop BB212_23 Depth 4
                                        ;         Child Loop BB212_25 Depth 4
                                        ;           Child Loop BB212_26 Depth 5
                                        ;         Child Loop BB212_30 Depth 4
                                        ;           Child Loop BB212_32 Depth 5
	s_getpc_b64 s[22:23]
	s_wait_alu 0xfffe
	s_sext_i32_i16 s23, s23
	s_add_co_u32 s22, s22, __const._ZL30rocblas_trsm_small_left_deviceILi12ELi12ELb1E19rocblas_complex_numIdES1_PKPKS1_PKPS1_Ev13rocblas_fill_18rocblas_operation_17rocblas_diagonal_iiT3_T4_lilT5_lili.step_sizes@rel32@lo+12
	s_wait_alu 0xfffe
	s_add_co_ci_u32 s23, s23, __const._ZL30rocblas_trsm_small_left_deviceILi12ELi12ELb1E19rocblas_complex_numIdES1_PKPKS1_PKPS1_Ev13rocblas_fill_18rocblas_operation_17rocblas_diagonal_iiT3_T4_lilT5_lili.step_sizes@rel32@hi+24
	s_lshl_b64 s[24:25], s[16:17], 2
	s_wait_alu 0xfffe
	s_add_nc_u64 s[22:23], s[22:23], s[24:25]
	s_load_b32 s26, s[22:23], 0x0
	s_wait_kmcnt 0x0
	s_add_co_i32 s27, s26, -1
	s_wait_alu 0xfffe
	s_cmp_lt_i32 s18, s27
	s_cbranch_scc1 .LBB212_18
; %bb.20:                               ;   in Loop: Header=BB212_19 Depth=2
	s_mul_i32 s19, s18, 0xc0
	s_max_i32 s38, s26, 1
	s_add_co_i32 s39, s34, s19
	s_mul_i32 s40, s26, 0xffffff40
	s_mul_i32 s41, s18, 0xd0
	s_mul_i32 s42, s26, 0xffffff30
	s_branch .LBB212_22
.LBB212_21:                             ;   in Loop: Header=BB212_22 Depth=3
	s_sub_co_i32 s18, s18, s26
	s_add_co_i32 s39, s39, s40
	s_add_co_i32 s41, s41, s42
	s_cmp_lt_i32 s18, s27
	s_cbranch_scc1 .LBB212_18
.LBB212_22:                             ;   Parent Loop BB212_4 Depth=1
                                        ;     Parent Loop BB212_19 Depth=2
                                        ; =>    This Loop Header: Depth=3
                                        ;         Child Loop BB212_23 Depth 4
                                        ;         Child Loop BB212_25 Depth 4
                                        ;           Child Loop BB212_26 Depth 5
                                        ;         Child Loop BB212_30 Depth 4
                                        ;           Child Loop BB212_32 Depth 5
	s_ashr_i32 s19, s18, 31
	s_delay_alu instid0(SALU_CYCLE_1)
	s_lshl_b64 s[22:23], s[18:19], 4
	s_wait_alu 0xfffe
	v_add_co_u32 v0, vcc_lo, v4, s22
	s_wait_alu 0xfffd
	v_add_co_ci_u32_e64 v1, null, s23, v5, vcc_lo
	s_mov_b32 s22, 8
	s_mov_b32 s23, s38
.LBB212_23:                             ;   Parent Loop BB212_4 Depth=1
                                        ;     Parent Loop BB212_19 Depth=2
                                        ;       Parent Loop BB212_22 Depth=3
                                        ; =>      This Inner Loop Header: Depth=4
	flat_load_b128 v[19:22], v[0:1] offset:-8
	v_add_co_u32 v0, vcc_lo, v0, -16
	s_wait_alu 0xfffd
	v_add_co_ci_u32_e64 v1, null, -1, v1, vcc_lo
	s_wait_alu 0xfffe
	s_add_co_i32 s23, s23, -1
	s_mov_b32 s24, s22
	s_add_co_i32 s22, s22, 16
	s_wait_alu 0xfffe
	s_cmp_eq_u32 s23, 0
	s_wait_loadcnt_dscnt 0x0
	v_mul_f64_e32 v[2:3], s[6:7], v[21:22]
	v_mul_f64_e32 v[23:24], s[4:5], v[21:22]
	s_delay_alu instid0(VALU_DEP_2) | instskip(NEXT) | instid1(VALU_DEP_2)
	v_fma_f64 v[21:22], s[4:5], v[19:20], -v[2:3]
	v_fma_f64 v[23:24], s[6:7], v[19:20], v[23:24]
	scratch_store_b128 off, v[21:24], s24 offset:-8
	s_cbranch_scc0 .LBB212_23
; %bb.24:                               ;   in Loop: Header=BB212_22 Depth=3
	s_cmp_le_i32 s29, s18
	s_mov_b32 s24, s39
	s_mov_b32 s22, s29
	s_cbranch_scc1 .LBB212_28
.LBB212_25:                             ;   Parent Loop BB212_4 Depth=1
                                        ;     Parent Loop BB212_19 Depth=2
                                        ;       Parent Loop BB212_22 Depth=3
                                        ; =>      This Loop Header: Depth=4
                                        ;           Child Loop BB212_26 Depth 5
	s_wait_alu 0xfffe
	s_ashr_i32 s23, s22, 31
	s_mov_b32 s25, s24
	s_wait_alu 0xfffe
	s_lshl_b64 s[44:45], s[22:23], 4
	s_mov_b32 s23, s33
	s_wait_alu 0xfffe
	v_add_co_u32 v0, vcc_lo, v6, s44
	s_wait_alu 0xfffd
	v_add_co_ci_u32_e64 v1, null, s45, v7, vcc_lo
	s_mov_b32 s43, s38
	flat_load_b128 v[0:3], v[0:1]
.LBB212_26:                             ;   Parent Loop BB212_4 Depth=1
                                        ;     Parent Loop BB212_19 Depth=2
                                        ;       Parent Loop BB212_22 Depth=3
                                        ;         Parent Loop BB212_25 Depth=4
                                        ; =>        This Inner Loop Header: Depth=5
	scratch_load_b128 v[19:22], off, s23 offset:-8
	v_mov_b32_e32 v23, s25
	s_wait_alu 0xfffe
	s_add_co_i32 s43, s43, -1
	s_addk_co_i32 s25, 0xff40
	ds_load_b128 v[23:26], v23
	s_wait_loadcnt_dscnt 0x100
	v_mul_f64_e32 v[27:28], v[2:3], v[25:26]
	v_mul_f64_e32 v[25:26], v[0:1], v[25:26]
	s_delay_alu instid0(VALU_DEP_2) | instskip(NEXT) | instid1(VALU_DEP_2)
	v_fma_f64 v[27:28], v[0:1], v[23:24], -v[27:28]
	v_fma_f64 v[23:24], v[2:3], v[23:24], v[25:26]
	s_wait_loadcnt 0x0
	s_delay_alu instid0(VALU_DEP_2) | instskip(NEXT) | instid1(VALU_DEP_2)
	v_add_f64_e64 v[19:20], v[19:20], -v[27:28]
	v_add_f64_e64 v[21:22], v[21:22], -v[23:24]
	scratch_store_b128 off, v[19:22], s23 offset:-8
	s_add_co_i32 s23, s23, 16
	s_wait_alu 0xfffe
	s_cmp_eq_u32 s43, 0
	s_cbranch_scc0 .LBB212_26
; %bb.27:                               ;   in Loop: Header=BB212_25 Depth=4
	s_add_co_i32 s22, s22, -1
	s_add_co_i32 s24, s24, -16
	s_wait_alu 0xfffe
	s_cmp_le_i32 s22, s18
	s_cbranch_scc0 .LBB212_25
.LBB212_28:                             ;   in Loop: Header=BB212_22 Depth=3
	s_mov_b32 s43, 0
	s_mov_b32 s44, s41
	s_branch .LBB212_30
.LBB212_29:                             ;   in Loop: Header=BB212_30 Depth=4
	s_wait_alu 0xfffe
	s_mulk_i32 s24, 0xd0
	s_lshl_b64 s[22:23], s[22:23], 4
	s_wait_alu 0xfffe
	v_mov_b32_e32 v19, s24
	s_lshl_b32 s24, s43, 4
	s_add_co_i32 s43, s43, 1
	s_addk_co_i32 s44, 0xff40
	s_wait_alu 0xfffe
	s_cmp_eq_u32 s43, s38
	ds_load_b128 v[19:22], v19
	s_wait_loadcnt_dscnt 0x0
	v_mul_f64_e32 v[23:24], v[21:22], v[2:3]
	v_mul_f64_e32 v[2:3], v[19:20], v[2:3]
	s_delay_alu instid0(VALU_DEP_2) | instskip(NEXT) | instid1(VALU_DEP_2)
	v_fma_f64 v[19:20], v[19:20], v[0:1], -v[23:24]
	v_fma_f64 v[21:22], v[21:22], v[0:1], v[2:3]
	v_add_co_u32 v0, vcc_lo, v6, s22
	s_wait_alu 0xfffd
	v_add_co_ci_u32_e64 v1, null, s23, v7, vcc_lo
	scratch_store_b128 off, v[19:22], s24
	flat_store_b128 v[0:1], v[19:22]
	s_cbranch_scc1 .LBB212_21
.LBB212_30:                             ;   Parent Loop BB212_4 Depth=1
                                        ;     Parent Loop BB212_19 Depth=2
                                        ;       Parent Loop BB212_22 Depth=3
                                        ; =>      This Loop Header: Depth=4
                                        ;           Child Loop BB212_32 Depth 5
	s_wait_alu 0xfffe
	s_cmp_lg_u32 s43, 0
	s_cbranch_scc0 .LBB212_34
; %bb.31:                               ;   in Loop: Header=BB212_30 Depth=4
	s_lshl_b32 s22, s43, 4
	s_mov_b32 s23, s33
	scratch_load_b128 v[0:3], off, s22
	s_mov_b32 s24, s44
	s_mov_b32 s25, s43
.LBB212_32:                             ;   Parent Loop BB212_4 Depth=1
                                        ;     Parent Loop BB212_19 Depth=2
                                        ;       Parent Loop BB212_22 Depth=3
                                        ;         Parent Loop BB212_30 Depth=4
                                        ; =>        This Inner Loop Header: Depth=5
	scratch_load_b128 v[19:22], off, s23 offset:-8
	s_wait_alu 0xfffe
	v_mov_b32_e32 v23, s24
	s_add_co_i32 s25, s25, -1
	s_add_co_i32 s24, s24, -16
	s_add_co_i32 s23, s23, 16
	s_wait_alu 0xfffe
	s_cmp_eq_u32 s25, 0
	ds_load_b128 v[23:26], v23
	s_wait_loadcnt_dscnt 0x0
	v_mul_f64_e32 v[27:28], v[25:26], v[21:22]
	v_mul_f64_e32 v[21:22], v[23:24], v[21:22]
	s_delay_alu instid0(VALU_DEP_2) | instskip(NEXT) | instid1(VALU_DEP_2)
	v_fma_f64 v[23:24], v[23:24], v[19:20], -v[27:28]
	v_fma_f64 v[19:20], v[25:26], v[19:20], v[21:22]
	s_delay_alu instid0(VALU_DEP_2) | instskip(NEXT) | instid1(VALU_DEP_2)
	v_add_f64_e64 v[0:1], v[0:1], -v[23:24]
	v_add_f64_e64 v[2:3], v[2:3], -v[19:20]
	scratch_store_b128 off, v[0:3], s22
	s_cbranch_scc0 .LBB212_32
; %bb.33:                               ;   in Loop: Header=BB212_30 Depth=4
	s_sub_co_i32 s24, s18, s43
	s_wait_alu 0xfffe
	s_ashr_i32 s25, s24, 31
	s_wait_alu 0xfffe
	s_mov_b64 s[22:23], s[24:25]
	s_branch .LBB212_29
.LBB212_34:                             ;   in Loop: Header=BB212_30 Depth=4
                                        ; implicit-def: $vgpr0_vgpr1
                                        ; implicit-def: $sgpr24
                                        ; implicit-def: $sgpr22_sgpr23
	s_cbranch_execz .LBB212_29
; %bb.35:                               ;   in Loop: Header=BB212_30 Depth=4
	scratch_load_b128 v[0:3], off, off
	s_mov_b64 s[22:23], s[18:19]
	s_mov_b32 s24, s18
	s_branch .LBB212_29
.LBB212_36:                             ;   in Loop: Header=BB212_4 Depth=1
	s_mov_b32 s16, 0
.LBB212_37:                             ;   in Loop: Header=BB212_4 Depth=1
	s_wait_alu 0xfffe
	s_and_b32 vcc_lo, exec_lo, s16
	s_wait_alu 0xfffe
	s_cbranch_vccz .LBB212_2
; %bb.38:                               ;   in Loop: Header=BB212_4 Depth=1
	v_add_co_u32 v10, vcc_lo, v10, v17
	s_wait_alu 0xfffd
	v_add_co_ci_u32_e64 v11, null, v11, v16, vcc_lo
	s_mov_b32 s18, 0
	s_mov_b32 s22, 0
	s_branch .LBB212_40
.LBB212_39:                             ;   in Loop: Header=BB212_40 Depth=2
	s_cmp_lt_i32 s18, s28
	s_cselect_b32 s16, -1, 0
	s_add_co_i32 s19, s22, 1
	s_cmp_lt_u32 s22, 2
	s_cselect_b32 s22, -1, 0
	s_wait_alu 0xfffe
	s_and_b32 s16, s16, s22
	s_mov_b32 s22, s19
	s_wait_alu 0xfffe
	s_and_not1_b32 vcc_lo, exec_lo, s16
	s_wait_alu 0xfffe
	s_cbranch_vccnz .LBB212_2
.LBB212_40:                             ;   Parent Loop BB212_4 Depth=1
                                        ; =>  This Loop Header: Depth=2
                                        ;       Child Loop BB212_43 Depth 3
                                        ;         Child Loop BB212_44 Depth 4
                                        ;         Child Loop BB212_47 Depth 4
                                        ;           Child Loop BB212_48 Depth 5
                                        ;         Child Loop BB212_52 Depth 4
                                        ;           Child Loop BB212_54 Depth 5
	s_mov_b32 s23, s17
	s_getpc_b64 s[24:25]
	s_wait_alu 0xfffe
	s_sext_i32_i16 s25, s25
	s_add_co_u32 s24, s24, __const._ZL30rocblas_trsm_small_left_deviceILi12ELi12ELb1E19rocblas_complex_numIdES1_PKPKS1_PKPS1_Ev13rocblas_fill_18rocblas_operation_17rocblas_diagonal_iiT3_T4_lilT5_lili.step_sizes@rel32@lo+12
	s_wait_alu 0xfffe
	s_add_co_ci_u32 s25, s25, __const._ZL30rocblas_trsm_small_left_deviceILi12ELi12ELb1E19rocblas_complex_numIdES1_PKPKS1_PKPS1_Ev13rocblas_fill_18rocblas_operation_17rocblas_diagonal_iiT3_T4_lilT5_lili.step_sizes@rel32@hi+24
	s_lshl_b64 s[26:27], s[22:23], 2
	s_wait_alu 0xfffe
	s_add_nc_u64 s[24:25], s[24:25], s[26:27]
	s_load_b32 s24, s[24:25], 0x0
	s_wait_kmcnt 0x0
	s_add_co_i32 s23, s24, -1
	s_wait_alu 0xfffe
	s_add_co_i32 s16, s23, s18
	s_wait_alu 0xfffe
	s_cmp_ge_i32 s16, s28
	s_cbranch_scc1 .LBB212_39
; %bb.41:                               ;   in Loop: Header=BB212_40 Depth=2
	s_ashr_i32 s19, s18, 31
	s_ashr_i32 s25, s24, 31
	s_lshl_b64 s[26:27], s[18:19], 4
	s_max_i32 s38, s24, 1
	s_wait_alu 0xfffe
	v_add_co_u32 v4, vcc_lo, v10, s26
	s_wait_alu 0xfffd
	v_add_co_ci_u32_e64 v5, null, s27, v11, vcc_lo
	s_lshl_b64 s[26:27], s[24:25], 4
	s_lshl_b32 s19, s18, 4
	s_lshl_b32 s25, s24, 4
	s_mul_i32 s39, s18, 0xd0
	s_mul_i32 s40, s24, 0xd0
	s_branch .LBB212_43
.LBB212_42:                             ;   in Loop: Header=BB212_43 Depth=3
	v_add_co_u32 v4, vcc_lo, v4, s26
	s_add_co_i32 s18, s18, s24
	s_wait_alu 0xfffd
	v_add_co_ci_u32_e64 v5, null, s27, v5, vcc_lo
	s_add_co_i32 s16, s23, s18
	s_add_co_i32 s19, s19, s25
	;; [unrolled: 1-line block ×3, first 2 shown]
	s_wait_alu 0xfffe
	s_cmp_ge_i32 s16, s28
	s_cbranch_scc1 .LBB212_39
.LBB212_43:                             ;   Parent Loop BB212_4 Depth=1
                                        ;     Parent Loop BB212_40 Depth=2
                                        ; =>    This Loop Header: Depth=3
                                        ;         Child Loop BB212_44 Depth 4
                                        ;         Child Loop BB212_47 Depth 4
                                        ;           Child Loop BB212_48 Depth 5
                                        ;         Child Loop BB212_52 Depth 4
                                        ;           Child Loop BB212_54 Depth 5
	v_dual_mov_b32 v0, v4 :: v_dual_mov_b32 v1, v5
	s_mov_b32 s16, 8
	s_mov_b32 s41, s38
.LBB212_44:                             ;   Parent Loop BB212_4 Depth=1
                                        ;     Parent Loop BB212_40 Depth=2
                                        ;       Parent Loop BB212_43 Depth=3
                                        ; =>      This Inner Loop Header: Depth=4
	flat_load_b128 v[19:22], v[0:1] offset:-8
	v_add_co_u32 v0, vcc_lo, v0, 16
	s_wait_alu 0xfffd
	v_add_co_ci_u32_e64 v1, null, 0, v1, vcc_lo
	s_add_co_i32 s41, s41, -1
	s_wait_alu 0xfffe
	s_mov_b32 s42, s16
	s_add_co_i32 s16, s16, 16
	s_cmp_eq_u32 s41, 0
	s_wait_loadcnt_dscnt 0x0
	v_mul_f64_e32 v[2:3], s[6:7], v[21:22]
	v_mul_f64_e32 v[23:24], s[4:5], v[21:22]
	s_delay_alu instid0(VALU_DEP_2) | instskip(NEXT) | instid1(VALU_DEP_2)
	v_fma_f64 v[21:22], s[4:5], v[19:20], -v[2:3]
	v_fma_f64 v[23:24], s[6:7], v[19:20], v[23:24]
	scratch_store_b128 off, v[21:24], s42 offset:-8
	s_cbranch_scc0 .LBB212_44
; %bb.45:                               ;   in Loop: Header=BB212_43 Depth=3
	s_cmp_lt_i32 s18, 1
	s_cbranch_scc1 .LBB212_50
; %bb.46:                               ;   in Loop: Header=BB212_43 Depth=3
	s_mov_b32 s16, 0
	s_mov_b32 s41, s19
.LBB212_47:                             ;   Parent Loop BB212_4 Depth=1
                                        ;     Parent Loop BB212_40 Depth=2
                                        ;       Parent Loop BB212_43 Depth=3
                                        ; =>      This Loop Header: Depth=4
                                        ;           Child Loop BB212_48 Depth 5
	s_wait_alu 0xfffe
	s_lshl_b64 s[42:43], s[16:17], 4
	s_mov_b32 s44, s38
	s_wait_alu 0xfffe
	v_add_co_u32 v0, vcc_lo, v6, s42
	s_wait_alu 0xfffd
	v_add_co_ci_u32_e64 v1, null, s43, v7, vcc_lo
	s_mov_b32 s42, s33
	s_mov_b32 s43, s41
	flat_load_b128 v[0:3], v[0:1]
.LBB212_48:                             ;   Parent Loop BB212_4 Depth=1
                                        ;     Parent Loop BB212_40 Depth=2
                                        ;       Parent Loop BB212_43 Depth=3
                                        ;         Parent Loop BB212_47 Depth=4
                                        ; =>        This Inner Loop Header: Depth=5
	scratch_load_b128 v[19:22], off, s42 offset:-8
	s_wait_alu 0xfffe
	v_mov_b32_e32 v23, s43
	s_add_co_i32 s44, s44, -1
	s_add_co_i32 s43, s43, 16
	ds_load_b128 v[23:26], v23
	s_wait_loadcnt_dscnt 0x100
	v_mul_f64_e32 v[27:28], v[2:3], v[25:26]
	v_mul_f64_e32 v[25:26], v[0:1], v[25:26]
	s_delay_alu instid0(VALU_DEP_2) | instskip(NEXT) | instid1(VALU_DEP_2)
	v_fma_f64 v[27:28], v[0:1], v[23:24], -v[27:28]
	v_fma_f64 v[23:24], v[2:3], v[23:24], v[25:26]
	s_wait_loadcnt 0x0
	s_delay_alu instid0(VALU_DEP_2) | instskip(NEXT) | instid1(VALU_DEP_2)
	v_add_f64_e64 v[19:20], v[19:20], -v[27:28]
	v_add_f64_e64 v[21:22], v[21:22], -v[23:24]
	scratch_store_b128 off, v[19:22], s42 offset:-8
	s_add_co_i32 s42, s42, 16
	s_wait_alu 0xfffe
	s_cmp_eq_u32 s44, 0
	s_cbranch_scc0 .LBB212_48
; %bb.49:                               ;   in Loop: Header=BB212_47 Depth=4
	s_add_co_i32 s16, s16, 1
	s_addk_co_i32 s41, 0xc0
	s_wait_alu 0xfffe
	s_cmp_eq_u32 s16, s18
	s_cbranch_scc0 .LBB212_47
.LBB212_50:                             ;   in Loop: Header=BB212_43 Depth=3
	s_mov_b32 s16, 0
	s_mov_b32 s41, s39
	s_branch .LBB212_52
.LBB212_51:                             ;   in Loop: Header=BB212_52 Depth=4
	s_add_co_i32 s42, s16, s18
	s_lshl_b32 s44, s16, 4
	s_wait_alu 0xfffe
	s_mul_i32 s43, s42, 0xd0
	s_add_co_i32 s16, s16, 1
	s_wait_alu 0xfffe
	v_mov_b32_e32 v19, s43
	s_ashr_i32 s43, s42, 31
	s_add_co_i32 s41, s41, 16
	s_wait_alu 0xfffe
	s_lshl_b64 s[42:43], s[42:43], 4
	s_cmp_eq_u32 s16, s38
	ds_load_b128 v[19:22], v19
	s_wait_loadcnt_dscnt 0x0
	v_mul_f64_e32 v[23:24], v[21:22], v[2:3]
	v_mul_f64_e32 v[2:3], v[19:20], v[2:3]
	s_delay_alu instid0(VALU_DEP_2) | instskip(NEXT) | instid1(VALU_DEP_2)
	v_fma_f64 v[19:20], v[19:20], v[0:1], -v[23:24]
	v_fma_f64 v[21:22], v[21:22], v[0:1], v[2:3]
	s_wait_alu 0xfffe
	v_add_co_u32 v0, vcc_lo, v6, s42
	s_wait_alu 0xfffd
	v_add_co_ci_u32_e64 v1, null, s43, v7, vcc_lo
	scratch_store_b128 off, v[19:22], s44
	flat_store_b128 v[0:1], v[19:22]
	s_cbranch_scc1 .LBB212_42
.LBB212_52:                             ;   Parent Loop BB212_4 Depth=1
                                        ;     Parent Loop BB212_40 Depth=2
                                        ;       Parent Loop BB212_43 Depth=3
                                        ; =>      This Loop Header: Depth=4
                                        ;           Child Loop BB212_54 Depth 5
	s_wait_alu 0xfffe
	s_cmp_lg_u32 s16, 0
	s_cbranch_scc0 .LBB212_56
; %bb.53:                               ;   in Loop: Header=BB212_52 Depth=4
	s_lshl_b32 s42, s16, 4
	s_mov_b32 s43, s33
	scratch_load_b128 v[0:3], off, s42
	s_mov_b32 s44, s41
	s_mov_b32 s45, s16
.LBB212_54:                             ;   Parent Loop BB212_4 Depth=1
                                        ;     Parent Loop BB212_40 Depth=2
                                        ;       Parent Loop BB212_43 Depth=3
                                        ;         Parent Loop BB212_52 Depth=4
                                        ; =>        This Inner Loop Header: Depth=5
	scratch_load_b128 v[19:22], off, s43 offset:-8
	s_wait_alu 0xfffe
	v_mov_b32_e32 v23, s44
	s_add_co_i32 s45, s45, -1
	s_addk_co_i32 s44, 0xc0
	s_add_co_i32 s43, s43, 16
	s_wait_alu 0xfffe
	s_cmp_eq_u32 s45, 0
	ds_load_b128 v[23:26], v23
	s_wait_loadcnt_dscnt 0x0
	v_mul_f64_e32 v[27:28], v[25:26], v[21:22]
	v_mul_f64_e32 v[21:22], v[23:24], v[21:22]
	s_delay_alu instid0(VALU_DEP_2) | instskip(NEXT) | instid1(VALU_DEP_2)
	v_fma_f64 v[23:24], v[23:24], v[19:20], -v[27:28]
	v_fma_f64 v[19:20], v[25:26], v[19:20], v[21:22]
	s_delay_alu instid0(VALU_DEP_2) | instskip(NEXT) | instid1(VALU_DEP_2)
	v_add_f64_e64 v[0:1], v[0:1], -v[23:24]
	v_add_f64_e64 v[2:3], v[2:3], -v[19:20]
	scratch_store_b128 off, v[0:3], s42
	s_cbranch_scc0 .LBB212_54
; %bb.55:                               ;   in Loop: Header=BB212_52 Depth=4
	s_branch .LBB212_51
.LBB212_56:                             ;   in Loop: Header=BB212_52 Depth=4
                                        ; implicit-def: $vgpr0_vgpr1
	s_cbranch_execz .LBB212_51
; %bb.57:                               ;   in Loop: Header=BB212_52 Depth=4
	scratch_load_b128 v[0:3], off, off
	s_branch .LBB212_51
.LBB212_58:
	s_or_b32 exec_lo, exec_lo, s35
	s_and_saveexec_b32 s0, s36
	s_wait_alu 0xfffe
	s_xor_b32 s0, exec_lo, s0
.LBB212_59:
	s_endpgm
	.section	.rodata,"a",@progbits
	.p2align	6, 0x0
	.amdhsa_kernel _ZL30rocblas_trsm_small_left_deviceILi12ELi12ELb1E19rocblas_complex_numIdES1_PKPKS1_PKPS1_Ev13rocblas_fill_18rocblas_operation_17rocblas_diagonal_iiT3_T4_lilT5_lili
		.amdhsa_group_segment_fixed_size 2304
		.amdhsa_private_segment_fixed_size 208
		.amdhsa_kernarg_size 368
		.amdhsa_user_sgpr_count 2
		.amdhsa_user_sgpr_dispatch_ptr 0
		.amdhsa_user_sgpr_queue_ptr 0
		.amdhsa_user_sgpr_kernarg_segment_ptr 1
		.amdhsa_user_sgpr_dispatch_id 0
		.amdhsa_user_sgpr_private_segment_size 0
		.amdhsa_wavefront_size32 1
		.amdhsa_uses_dynamic_stack 0
		.amdhsa_enable_private_segment 1
		.amdhsa_system_sgpr_workgroup_id_x 1
		.amdhsa_system_sgpr_workgroup_id_y 0
		.amdhsa_system_sgpr_workgroup_id_z 1
		.amdhsa_system_sgpr_workgroup_info 0
		.amdhsa_system_vgpr_workitem_id 0
		.amdhsa_next_free_vgpr 29
		.amdhsa_next_free_sgpr 46
		.amdhsa_reserve_vcc 1
		.amdhsa_float_round_mode_32 0
		.amdhsa_float_round_mode_16_64 0
		.amdhsa_float_denorm_mode_32 3
		.amdhsa_float_denorm_mode_16_64 3
		.amdhsa_fp16_overflow 0
		.amdhsa_workgroup_processor_mode 1
		.amdhsa_memory_ordered 1
		.amdhsa_forward_progress 1
		.amdhsa_inst_pref_size 25
		.amdhsa_round_robin_scheduling 0
		.amdhsa_exception_fp_ieee_invalid_op 0
		.amdhsa_exception_fp_denorm_src 0
		.amdhsa_exception_fp_ieee_div_zero 0
		.amdhsa_exception_fp_ieee_overflow 0
		.amdhsa_exception_fp_ieee_underflow 0
		.amdhsa_exception_fp_ieee_inexact 0
		.amdhsa_exception_int_div_zero 0
	.end_amdhsa_kernel
	.section	.text._ZL30rocblas_trsm_small_left_deviceILi12ELi12ELb1E19rocblas_complex_numIdES1_PKPKS1_PKPS1_Ev13rocblas_fill_18rocblas_operation_17rocblas_diagonal_iiT3_T4_lilT5_lili,"axG",@progbits,_ZL30rocblas_trsm_small_left_deviceILi12ELi12ELb1E19rocblas_complex_numIdES1_PKPKS1_PKPS1_Ev13rocblas_fill_18rocblas_operation_17rocblas_diagonal_iiT3_T4_lilT5_lili,comdat
.Lfunc_end212:
	.size	_ZL30rocblas_trsm_small_left_deviceILi12ELi12ELb1E19rocblas_complex_numIdES1_PKPKS1_PKPS1_Ev13rocblas_fill_18rocblas_operation_17rocblas_diagonal_iiT3_T4_lilT5_lili, .Lfunc_end212-_ZL30rocblas_trsm_small_left_deviceILi12ELi12ELb1E19rocblas_complex_numIdES1_PKPKS1_PKPS1_Ev13rocblas_fill_18rocblas_operation_17rocblas_diagonal_iiT3_T4_lilT5_lili
                                        ; -- End function
	.set _ZL30rocblas_trsm_small_left_deviceILi12ELi12ELb1E19rocblas_complex_numIdES1_PKPKS1_PKPS1_Ev13rocblas_fill_18rocblas_operation_17rocblas_diagonal_iiT3_T4_lilT5_lili.num_vgpr, 29
	.set _ZL30rocblas_trsm_small_left_deviceILi12ELi12ELb1E19rocblas_complex_numIdES1_PKPKS1_PKPS1_Ev13rocblas_fill_18rocblas_operation_17rocblas_diagonal_iiT3_T4_lilT5_lili.num_agpr, 0
	.set _ZL30rocblas_trsm_small_left_deviceILi12ELi12ELb1E19rocblas_complex_numIdES1_PKPKS1_PKPS1_Ev13rocblas_fill_18rocblas_operation_17rocblas_diagonal_iiT3_T4_lilT5_lili.numbered_sgpr, 46
	.set _ZL30rocblas_trsm_small_left_deviceILi12ELi12ELb1E19rocblas_complex_numIdES1_PKPKS1_PKPS1_Ev13rocblas_fill_18rocblas_operation_17rocblas_diagonal_iiT3_T4_lilT5_lili.num_named_barrier, 0
	.set _ZL30rocblas_trsm_small_left_deviceILi12ELi12ELb1E19rocblas_complex_numIdES1_PKPKS1_PKPS1_Ev13rocblas_fill_18rocblas_operation_17rocblas_diagonal_iiT3_T4_lilT5_lili.private_seg_size, 208
	.set _ZL30rocblas_trsm_small_left_deviceILi12ELi12ELb1E19rocblas_complex_numIdES1_PKPKS1_PKPS1_Ev13rocblas_fill_18rocblas_operation_17rocblas_diagonal_iiT3_T4_lilT5_lili.uses_vcc, 1
	.set _ZL30rocblas_trsm_small_left_deviceILi12ELi12ELb1E19rocblas_complex_numIdES1_PKPKS1_PKPS1_Ev13rocblas_fill_18rocblas_operation_17rocblas_diagonal_iiT3_T4_lilT5_lili.uses_flat_scratch, 0
	.set _ZL30rocblas_trsm_small_left_deviceILi12ELi12ELb1E19rocblas_complex_numIdES1_PKPKS1_PKPS1_Ev13rocblas_fill_18rocblas_operation_17rocblas_diagonal_iiT3_T4_lilT5_lili.has_dyn_sized_stack, 0
	.set _ZL30rocblas_trsm_small_left_deviceILi12ELi12ELb1E19rocblas_complex_numIdES1_PKPKS1_PKPS1_Ev13rocblas_fill_18rocblas_operation_17rocblas_diagonal_iiT3_T4_lilT5_lili.has_recursion, 0
	.set _ZL30rocblas_trsm_small_left_deviceILi12ELi12ELb1E19rocblas_complex_numIdES1_PKPKS1_PKPS1_Ev13rocblas_fill_18rocblas_operation_17rocblas_diagonal_iiT3_T4_lilT5_lili.has_indirect_call, 0
	.section	.AMDGPU.csdata,"",@progbits
; Kernel info:
; codeLenInByte = 3140
; TotalNumSgprs: 48
; NumVgprs: 29
; ScratchSize: 208
; MemoryBound: 0
; FloatMode: 240
; IeeeMode: 1
; LDSByteSize: 2304 bytes/workgroup (compile time only)
; SGPRBlocks: 0
; VGPRBlocks: 3
; NumSGPRsForWavesPerEU: 48
; NumVGPRsForWavesPerEU: 29
; Occupancy: 14
; WaveLimiterHint : 1
; COMPUTE_PGM_RSRC2:SCRATCH_EN: 1
; COMPUTE_PGM_RSRC2:USER_SGPR: 2
; COMPUTE_PGM_RSRC2:TRAP_HANDLER: 0
; COMPUTE_PGM_RSRC2:TGID_X_EN: 1
; COMPUTE_PGM_RSRC2:TGID_Y_EN: 0
; COMPUTE_PGM_RSRC2:TGID_Z_EN: 1
; COMPUTE_PGM_RSRC2:TIDIG_COMP_CNT: 0
	.section	.text._ZL31rocblas_trsm_small_right_deviceI19rocblas_complex_numIdES1_PKPKS1_PKPS1_Li12EEv13rocblas_fill_18rocblas_operation_17rocblas_diagonal_iiT0_T1_lilT2_lili,"axG",@progbits,_ZL31rocblas_trsm_small_right_deviceI19rocblas_complex_numIdES1_PKPKS1_PKPS1_Li12EEv13rocblas_fill_18rocblas_operation_17rocblas_diagonal_iiT0_T1_lilT2_lili,comdat
	.globl	_ZL31rocblas_trsm_small_right_deviceI19rocblas_complex_numIdES1_PKPKS1_PKPS1_Li12EEv13rocblas_fill_18rocblas_operation_17rocblas_diagonal_iiT0_T1_lilT2_lili ; -- Begin function _ZL31rocblas_trsm_small_right_deviceI19rocblas_complex_numIdES1_PKPKS1_PKPS1_Li12EEv13rocblas_fill_18rocblas_operation_17rocblas_diagonal_iiT0_T1_lilT2_lili
	.p2align	8
	.type	_ZL31rocblas_trsm_small_right_deviceI19rocblas_complex_numIdES1_PKPKS1_PKPS1_Li12EEv13rocblas_fill_18rocblas_operation_17rocblas_diagonal_iiT0_T1_lilT2_lili,@function
_ZL31rocblas_trsm_small_right_deviceI19rocblas_complex_numIdES1_PKPKS1_PKPS1_Li12EEv13rocblas_fill_18rocblas_operation_17rocblas_diagonal_iiT0_T1_lilT2_lili: ; @_ZL31rocblas_trsm_small_right_deviceI19rocblas_complex_numIdES1_PKPKS1_PKPS1_Li12EEv13rocblas_fill_18rocblas_operation_17rocblas_diagonal_iiT0_T1_lilT2_lili
; %bb.0:
	s_load_b32 s24, s[0:1], 0x68
	s_lshr_b32 s2, ttmp7, 16
	s_wait_kmcnt 0x0
	s_cmp_ge_u32 s2, s24
	s_cbranch_scc1 .LBB213_146
; %bb.1:
	s_clause 0x6
	s_load_b32 s20, s[0:1], 0x38
	s_load_b32 s34, s[0:1], 0x58
	s_load_b128 s[16:19], s[0:1], 0x0
	s_load_b32 s25, s[0:1], 0x10
	s_load_b32 s3, s[0:1], 0x70
	s_load_b128 s[12:15], s[0:1], 0x48
	s_load_b256 s[4:11], s[0:1], 0x18
	s_mul_i32 s1, ttmp9, -12
	v_dual_mov_b32 v1, 0 :: v_dual_lshlrev_b32 v32, 4, v0
	s_mov_b32 s22, ttmp9
	v_mul_u32_u24_e32 v2, 0xc0, v0
	s_delay_alu instid0(VALU_DEP_2) | instskip(NEXT) | instid1(VALU_DEP_2)
	v_or_b32_e32 v27, 0x900, v32
	v_dual_mov_b32 v2, 0x3ff00000 :: v_dual_add_nc_u32 v39, v32, v2
	s_wait_kmcnt 0x0
	s_ashr_i32 s21, s20, 31
	s_ashr_i32 s35, s34, 31
	s_cmp_lg_u32 s16, 0x7a
	s_cselect_b32 s29, -1, 0
	s_cmp_eq_u32 s17, 0x71
	s_cselect_b32 s0, -1, 0
	s_min_i32 s26, s25, 12
	s_add_co_i32 s3, s3, -1
	s_add_co_i32 s1, s19, s1
	s_add_co_i32 s27, s26, -1
	s_cmp_ge_u32 ttmp9, s3
	s_mul_i32 s33, s26, 0xc0
	s_cselect_b32 s19, s1, 12
	s_ashr_i32 s23, ttmp9, 31
	s_cmp_eq_u32 s18, 0x84
	v_cmp_gt_i32_e32 vcc_lo, s19, v0
	s_cselect_b32 s28, -1, 0
	s_cmp_gt_i32 s25, 0
	v_cmp_gt_i32_e64 s1, s26, v0
	s_cselect_b32 s18, -1, 0
	s_cmp_lg_u32 s17, 0x6f
	v_add3_u32 v38, s33, v32, 0x840
	s_cselect_b32 s17, -1, 0
	s_cmp_lg_u32 s16, 0x79
	v_lshlrev_b32_e32 v0, 4, v0
	s_cselect_b32 s16, -1, 0
	s_or_b32 s29, s29, s17
	s_or_b32 s30, s16, s17
	s_cmp_gt_i32 s25, 3
	v_cndmask_b32_e64 v33, 0, 1, s16
	s_mul_u64 s[16:17], s[22:23], 0xc0
	s_cselect_b32 s22, -1, 0
	s_wait_alu 0xfffe
	s_and_b32 s23, vcc_lo, s18
	s_lshl_b64 s[18:19], s[10:11], 4
	s_lshl_b64 s[10:11], s[14:15], 4
	s_wait_alu 0xfffe
	v_add_co_u32 v3, s14, s18, v32
	s_delay_alu instid0(VALU_DEP_1)
	v_add_co_ci_u32_e64 v34, null, s19, 0, s14
	s_add_nc_u64 s[18:19], s[16:17], s[10:11]
	v_or_b32_e32 v35, 8, v3
	s_wait_alu 0xfffe
	v_add_co_u32 v4, s18, s18, v32
	s_wait_alu 0xf1ff
	v_add_co_ci_u32_e64 v36, null, s19, 0, s18
	s_lshl_b64 s[18:19], s[34:35], 4
	v_or_b32_e32 v37, 8, v4
	s_mul_i32 s34, s26, 0xd0
	s_lshl_b32 s35, s26, 4
	s_mov_b32 s3, 0
	s_lshl_b64 s[14:15], s[20:21], 4
	s_add_co_i32 s31, s34, 0xffffff00
	s_addk_co_i32 s33, 0xff40
	s_addk_co_i32 s34, 0xfcf0
	s_add_co_i32 s35, s35, -16
	s_branch .LBB213_3
.LBB213_2:                              ;   in Loop: Header=BB213_3 Depth=1
	s_wait_alu 0xfffe
	s_or_b32 exec_lo, exec_lo, s20
	s_add_co_i32 s2, s2, 0x10000
	s_delay_alu instid0(SALU_CYCLE_1)
	s_cmp_lt_u32 s2, s24
	s_cbranch_scc0 .LBB213_146
.LBB213_3:                              ; =>This Loop Header: Depth=1
                                        ;     Child Loop BB213_5 Depth 2
                                        ;     Child Loop BB213_10 Depth 2
                                        ;     Child Loop BB213_16 Depth 2
                                        ;       Child Loop BB213_17 Depth 3
                                        ;     Child Loop BB213_39 Depth 2
                                        ;       Child Loop BB213_40 Depth 3
                                        ;     Child Loop BB213_48 Depth 2
	;; [unrolled: 2-line block ×8, first 2 shown]
	s_lshl_b64 s[20:21], s[2:3], 3
	s_wait_alu 0xfffe
	s_add_nc_u64 s[36:37], s[12:13], s[20:21]
	global_load_b64 v[28:29], v1, s[36:37]
	s_and_saveexec_b32 s36, s1
	s_cbranch_execz .LBB213_8
; %bb.4:                                ;   in Loop: Header=BB213_3 Depth=1
	s_add_nc_u64 s[20:21], s[8:9], s[20:21]
	v_mov_b32_e32 v5, v32
	global_load_b64 v[3:4], v1, s[20:21]
	s_mov_b32 s20, s26
	s_wait_loadcnt 0x0
	v_add_co_u32 v3, vcc_lo, v3, v35
	s_wait_alu 0xfffd
	v_add_co_ci_u32_e64 v4, null, v4, v34, vcc_lo
.LBB213_5:                              ;   Parent Loop BB213_3 Depth=1
                                        ; =>  This Inner Loop Header: Depth=2
	flat_load_b128 v[6:9], v[3:4] offset:-8
	s_wait_alu 0xfffe
	v_add_co_u32 v3, vcc_lo, v3, s14
	s_wait_alu 0xfffd
	v_add_co_ci_u32_e64 v4, null, s15, v4, vcc_lo
	s_add_co_i32 s20, s20, -1
	s_wait_alu 0xfffe
	s_cmp_eq_u32 s20, 0
	s_wait_loadcnt_dscnt 0x0
	v_xor_b32_e32 v10, 0x80000000, v9
	s_delay_alu instid0(VALU_DEP_1)
	v_cndmask_b32_e64 v9, v9, v10, s0
	ds_store_b128 v5, v[6:9]
	v_add_nc_u32_e32 v5, 0xc0, v5
	s_cbranch_scc0 .LBB213_5
; %bb.6:                                ;   in Loop: Header=BB213_3 Depth=1
	s_and_b32 vcc_lo, exec_lo, s28
	s_wait_alu 0xfffe
	s_cbranch_vccz .LBB213_8
; %bb.7:                                ;   in Loop: Header=BB213_3 Depth=1
	v_dual_mov_b32 v3, v1 :: v_dual_mov_b32 v4, v1
	ds_store_b128 v39, v[1:4]
.LBB213_8:                              ;   in Loop: Header=BB213_3 Depth=1
	s_wait_alu 0xfffe
	s_or_b32 exec_lo, exec_lo, s36
	s_and_saveexec_b32 s20, s23
	s_cbranch_execz .LBB213_11
; %bb.9:                                ;   in Loop: Header=BB213_3 Depth=1
	s_wait_loadcnt 0x0
	v_add_co_u32 v3, vcc_lo, v28, v37
	s_wait_alu 0xfffd
	v_add_co_ci_u32_e64 v4, null, v29, v36, vcc_lo
	v_mov_b32_e32 v5, v27
	s_mov_b32 s21, s25
.LBB213_10:                             ;   Parent Loop BB213_3 Depth=1
                                        ; =>  This Inner Loop Header: Depth=2
	flat_load_b128 v[6:9], v[3:4] offset:-8
	s_wait_alu 0xfffe
	v_add_co_u32 v3, vcc_lo, v3, s18
	s_wait_alu 0xfffd
	v_add_co_ci_u32_e64 v4, null, s19, v4, vcc_lo
	s_add_co_i32 s21, s21, -1
	s_wait_alu 0xfffe
	s_cmp_lg_u32 s21, 0
	s_wait_loadcnt_dscnt 0x0
	v_mul_f64_e32 v[10:11], s[6:7], v[8:9]
	v_mul_f64_e32 v[12:13], s[4:5], v[8:9]
	s_delay_alu instid0(VALU_DEP_2) | instskip(NEXT) | instid1(VALU_DEP_2)
	v_fma_f64 v[8:9], s[4:5], v[6:7], -v[10:11]
	v_fma_f64 v[10:11], s[6:7], v[6:7], v[12:13]
	ds_store_b128 v5, v[8:11]
	v_add_nc_u32_e32 v5, 0xc0, v5
	s_cbranch_scc1 .LBB213_10
.LBB213_11:                             ;   in Loop: Header=BB213_3 Depth=1
	s_wait_alu 0xfffe
	s_or_b32 exec_lo, exec_lo, s20
	s_delay_alu instid0(SALU_CYCLE_1)
	s_and_b32 vcc_lo, exec_lo, s30
	s_mov_b32 s20, -1
	; wave barrier
	s_wait_loadcnt_dscnt 0x0
	global_inv scope:SCOPE_SE
	s_wait_alu 0xfffe
	s_cbranch_vccz .LBB213_111
; %bb.12:                               ;   in Loop: Header=BB213_3 Depth=1
	s_and_b32 vcc_lo, exec_lo, s29
	s_wait_alu 0xfffe
	s_cbranch_vccz .LBB213_79
; %bb.13:                               ;   in Loop: Header=BB213_3 Depth=1
	v_cmp_ne_u32_e32 vcc_lo, 1, v33
	s_cbranch_vccnz .LBB213_46
; %bb.14:                               ;   in Loop: Header=BB213_3 Depth=1
	s_and_not1_b32 vcc_lo, exec_lo, s22
	s_mov_b32 s36, 0
	s_wait_alu 0xfffe
	s_cbranch_vccnz .LBB213_36
; %bb.15:                               ;   in Loop: Header=BB213_3 Depth=1
	s_mov_b32 s20, 0
	s_mov_b32 s21, 0
.LBB213_16:                             ;   Parent Loop BB213_3 Depth=1
                                        ; =>  This Loop Header: Depth=2
                                        ;       Child Loop BB213_17 Depth 3
	s_wait_alu 0xfffe
	v_mad_co_u64_u32 v[30:31], null, 0xc0, s21, v[27:28]
	s_or_b32 s36, s21, 3
	v_mov_b32_e32 v11, v27
	s_wait_alu 0xfffe
	s_mulk_i32 s36, 0xc0
	s_cmp_eq_u32 s21, 0
	s_wait_alu 0xfffe
	v_add_nc_u32_e32 v31, s36, v27
	s_mov_b32 s36, s20
	ds_load_b128 v[19:22], v30
	ds_load_b128 v[15:18], v30 offset:192
	ds_load_b128 v[7:10], v30 offset:384
	ds_load_b128 v[3:6], v31
	s_mov_b32 s37, s21
	s_cbranch_scc1 .LBB213_18
.LBB213_17:                             ;   Parent Loop BB213_3 Depth=1
                                        ;     Parent Loop BB213_16 Depth=2
                                        ; =>    This Inner Loop Header: Depth=3
	s_wait_alu 0xfffe
	v_mov_b32_e32 v12, s36
	s_add_co_i32 s37, s37, -1
	s_addk_co_i32 s36, 0xc0
	s_wait_alu 0xfffe
	s_cmp_eq_u32 s37, 0
	ds_load_b128 v[23:26], v11
	ds_load_b128 v[40:43], v12
	ds_load_b128 v[44:47], v12 offset:16
	ds_load_b128 v[48:51], v12 offset:32
	;; [unrolled: 1-line block ×3, first 2 shown]
	v_add_nc_u32_e32 v11, 0xc0, v11
	s_wait_dscnt 0x3
	v_mul_f64_e32 v[12:13], v[25:26], v[42:43]
	v_mul_f64_e32 v[42:43], v[23:24], v[42:43]
	s_wait_dscnt 0x2
	v_mul_f64_e32 v[56:57], v[25:26], v[46:47]
	v_mul_f64_e32 v[46:47], v[23:24], v[46:47]
	;; [unrolled: 3-line block ×4, first 2 shown]
	v_fma_f64 v[12:13], v[23:24], v[40:41], -v[12:13]
	v_fma_f64 v[40:41], v[25:26], v[40:41], v[42:43]
	v_fma_f64 v[42:43], v[23:24], v[44:45], -v[56:57]
	v_fma_f64 v[44:45], v[25:26], v[44:45], v[46:47]
	;; [unrolled: 2-line block ×4, first 2 shown]
	v_add_f64_e64 v[19:20], v[19:20], -v[12:13]
	v_add_f64_e64 v[21:22], v[21:22], -v[40:41]
	;; [unrolled: 1-line block ×8, first 2 shown]
	s_cbranch_scc0 .LBB213_17
.LBB213_18:                             ;   in Loop: Header=BB213_16 Depth=2
	s_lshl_b32 s36, s21, 4
	s_mul_i32 s37, s21, 0xc0
	s_wait_alu 0xfffe
	s_add_co_i32 s37, s36, s37
	s_wait_alu 0xfffe
	v_mov_b32_e32 v11, s37
	ds_load_b128 v[23:26], v11
                                        ; implicit-def: $vgpr13_vgpr14
	s_wait_dscnt 0x0
	v_cmp_ngt_f64_e64 s38, |v[23:24]|, |v[25:26]|
	s_and_b32 vcc_lo, exec_lo, s38
	s_mov_b32 s38, -1
	s_wait_alu 0xfffe
	s_cbranch_vccz .LBB213_20
; %bb.19:                               ;   in Loop: Header=BB213_16 Depth=2
	v_div_scale_f64 v[11:12], null, v[25:26], v[25:26], v[23:24]
	v_div_scale_f64 v[42:43], vcc_lo, v[23:24], v[25:26], v[23:24]
	s_mov_b32 s38, 0
	v_rcp_f64_e32 v[13:14], v[11:12]
	s_delay_alu instid0(TRANS32_DEP_1) | instskip(NEXT) | instid1(VALU_DEP_1)
	v_fma_f64 v[40:41], -v[11:12], v[13:14], 1.0
	v_fma_f64 v[13:14], v[13:14], v[40:41], v[13:14]
	s_delay_alu instid0(VALU_DEP_1) | instskip(NEXT) | instid1(VALU_DEP_1)
	v_fma_f64 v[40:41], -v[11:12], v[13:14], 1.0
	v_fma_f64 v[13:14], v[13:14], v[40:41], v[13:14]
	s_delay_alu instid0(VALU_DEP_1) | instskip(NEXT) | instid1(VALU_DEP_1)
	v_mul_f64_e32 v[40:41], v[42:43], v[13:14]
	v_fma_f64 v[11:12], -v[11:12], v[40:41], v[42:43]
	s_wait_alu 0xfffd
	s_delay_alu instid0(VALU_DEP_1) | instskip(NEXT) | instid1(VALU_DEP_1)
	v_div_fmas_f64 v[11:12], v[11:12], v[13:14], v[40:41]
	v_div_fixup_f64 v[11:12], v[11:12], v[25:26], v[23:24]
	s_delay_alu instid0(VALU_DEP_1) | instskip(NEXT) | instid1(VALU_DEP_1)
	v_fma_f64 v[13:14], v[23:24], v[11:12], v[25:26]
	v_div_scale_f64 v[40:41], null, v[13:14], v[13:14], 1.0
	v_div_scale_f64 v[46:47], vcc_lo, 1.0, v[13:14], 1.0
	s_delay_alu instid0(VALU_DEP_2) | instskip(NEXT) | instid1(TRANS32_DEP_1)
	v_rcp_f64_e32 v[42:43], v[40:41]
	v_fma_f64 v[44:45], -v[40:41], v[42:43], 1.0
	s_delay_alu instid0(VALU_DEP_1) | instskip(NEXT) | instid1(VALU_DEP_1)
	v_fma_f64 v[42:43], v[42:43], v[44:45], v[42:43]
	v_fma_f64 v[44:45], -v[40:41], v[42:43], 1.0
	s_delay_alu instid0(VALU_DEP_1) | instskip(NEXT) | instid1(VALU_DEP_1)
	v_fma_f64 v[42:43], v[42:43], v[44:45], v[42:43]
	v_mul_f64_e32 v[44:45], v[46:47], v[42:43]
	s_delay_alu instid0(VALU_DEP_1) | instskip(SKIP_1) | instid1(VALU_DEP_1)
	v_fma_f64 v[40:41], -v[40:41], v[44:45], v[46:47]
	s_wait_alu 0xfffd
	v_div_fmas_f64 v[40:41], v[40:41], v[42:43], v[44:45]
	v_fma_f64 v[42:43], v[19:20], v[11:12], v[21:22]
	s_delay_alu instid0(VALU_DEP_2) | instskip(SKIP_1) | instid1(VALU_DEP_2)
	v_div_fixup_f64 v[13:14], v[40:41], v[13:14], 1.0
	v_fma_f64 v[40:41], v[21:22], v[11:12], -v[19:20]
	v_mul_f64_e32 v[11:12], v[42:43], v[13:14]
	s_delay_alu instid0(VALU_DEP_2)
	v_mul_f64_e32 v[13:14], v[40:41], v[13:14]
.LBB213_20:                             ;   in Loop: Header=BB213_16 Depth=2
	s_wait_alu 0xfffe
	s_and_not1_b32 vcc_lo, exec_lo, s38
	s_wait_alu 0xfffe
	s_cbranch_vccnz .LBB213_22
; %bb.21:                               ;   in Loop: Header=BB213_16 Depth=2
	v_div_scale_f64 v[11:12], null, v[23:24], v[23:24], v[25:26]
	v_div_scale_f64 v[42:43], vcc_lo, v[25:26], v[23:24], v[25:26]
	s_delay_alu instid0(VALU_DEP_2) | instskip(NEXT) | instid1(TRANS32_DEP_1)
	v_rcp_f64_e32 v[13:14], v[11:12]
	v_fma_f64 v[40:41], -v[11:12], v[13:14], 1.0
	s_delay_alu instid0(VALU_DEP_1) | instskip(NEXT) | instid1(VALU_DEP_1)
	v_fma_f64 v[13:14], v[13:14], v[40:41], v[13:14]
	v_fma_f64 v[40:41], -v[11:12], v[13:14], 1.0
	s_delay_alu instid0(VALU_DEP_1) | instskip(NEXT) | instid1(VALU_DEP_1)
	v_fma_f64 v[13:14], v[13:14], v[40:41], v[13:14]
	v_mul_f64_e32 v[40:41], v[42:43], v[13:14]
	s_delay_alu instid0(VALU_DEP_1) | instskip(SKIP_1) | instid1(VALU_DEP_1)
	v_fma_f64 v[11:12], -v[11:12], v[40:41], v[42:43]
	s_wait_alu 0xfffd
	v_div_fmas_f64 v[11:12], v[11:12], v[13:14], v[40:41]
	s_delay_alu instid0(VALU_DEP_1) | instskip(NEXT) | instid1(VALU_DEP_1)
	v_div_fixup_f64 v[11:12], v[11:12], v[23:24], v[25:26]
	v_fma_f64 v[13:14], v[25:26], v[11:12], v[23:24]
	s_delay_alu instid0(VALU_DEP_1) | instskip(SKIP_1) | instid1(VALU_DEP_2)
	v_div_scale_f64 v[23:24], null, v[13:14], v[13:14], 1.0
	v_div_scale_f64 v[42:43], vcc_lo, 1.0, v[13:14], 1.0
	v_rcp_f64_e32 v[25:26], v[23:24]
	s_delay_alu instid0(TRANS32_DEP_1) | instskip(NEXT) | instid1(VALU_DEP_1)
	v_fma_f64 v[40:41], -v[23:24], v[25:26], 1.0
	v_fma_f64 v[25:26], v[25:26], v[40:41], v[25:26]
	s_delay_alu instid0(VALU_DEP_1) | instskip(NEXT) | instid1(VALU_DEP_1)
	v_fma_f64 v[40:41], -v[23:24], v[25:26], 1.0
	v_fma_f64 v[25:26], v[25:26], v[40:41], v[25:26]
	s_delay_alu instid0(VALU_DEP_1) | instskip(NEXT) | instid1(VALU_DEP_1)
	v_mul_f64_e32 v[40:41], v[42:43], v[25:26]
	v_fma_f64 v[23:24], -v[23:24], v[40:41], v[42:43]
	s_wait_alu 0xfffd
	s_delay_alu instid0(VALU_DEP_1) | instskip(SKIP_2) | instid1(VALU_DEP_3)
	v_div_fmas_f64 v[23:24], v[23:24], v[25:26], v[40:41]
	v_fma_f64 v[25:26], v[21:22], v[11:12], v[19:20]
	v_fma_f64 v[19:20], -v[19:20], v[11:12], v[21:22]
	v_div_fixup_f64 v[13:14], v[23:24], v[13:14], 1.0
	s_delay_alu instid0(VALU_DEP_1) | instskip(NEXT) | instid1(VALU_DEP_3)
	v_mul_f64_e32 v[11:12], v[25:26], v[13:14]
	v_mul_f64_e32 v[13:14], v[19:20], v[13:14]
.LBB213_22:                             ;   in Loop: Header=BB213_16 Depth=2
	v_mov_b32_e32 v19, s37
	ds_load_b128 v[23:26], v19 offset:16
	ds_load_b128 v[19:22], v19 offset:208
	ds_store_b128 v30, v[11:14]
	s_wait_dscnt 0x2
	v_mul_f64_e32 v[40:41], v[13:14], v[25:26]
	v_mul_f64_e32 v[25:26], v[11:12], v[25:26]
	s_wait_dscnt 0x1
	v_cmp_ngt_f64_e64 s38, |v[19:20]|, |v[21:22]|
	s_delay_alu instid0(VALU_DEP_3) | instskip(NEXT) | instid1(VALU_DEP_3)
	v_fma_f64 v[40:41], v[11:12], v[23:24], -v[40:41]
	v_fma_f64 v[25:26], v[13:14], v[23:24], v[25:26]
	s_and_b32 vcc_lo, exec_lo, s38
	s_mov_b32 s38, -1
	s_delay_alu instid0(VALU_DEP_2) | instskip(NEXT) | instid1(VALU_DEP_2)
	v_add_f64_e64 v[23:24], v[15:16], -v[40:41]
	v_add_f64_e64 v[25:26], v[17:18], -v[25:26]
                                        ; implicit-def: $vgpr17_vgpr18
	s_wait_alu 0xfffe
	s_cbranch_vccz .LBB213_24
; %bb.23:                               ;   in Loop: Header=BB213_16 Depth=2
	v_div_scale_f64 v[15:16], null, v[21:22], v[21:22], v[19:20]
	v_div_scale_f64 v[42:43], vcc_lo, v[19:20], v[21:22], v[19:20]
	s_mov_b32 s38, 0
	v_rcp_f64_e32 v[17:18], v[15:16]
	s_delay_alu instid0(TRANS32_DEP_1) | instskip(NEXT) | instid1(VALU_DEP_1)
	v_fma_f64 v[40:41], -v[15:16], v[17:18], 1.0
	v_fma_f64 v[17:18], v[17:18], v[40:41], v[17:18]
	s_delay_alu instid0(VALU_DEP_1) | instskip(NEXT) | instid1(VALU_DEP_1)
	v_fma_f64 v[40:41], -v[15:16], v[17:18], 1.0
	v_fma_f64 v[17:18], v[17:18], v[40:41], v[17:18]
	s_delay_alu instid0(VALU_DEP_1) | instskip(NEXT) | instid1(VALU_DEP_1)
	v_mul_f64_e32 v[40:41], v[42:43], v[17:18]
	v_fma_f64 v[15:16], -v[15:16], v[40:41], v[42:43]
	s_wait_alu 0xfffd
	s_delay_alu instid0(VALU_DEP_1) | instskip(NEXT) | instid1(VALU_DEP_1)
	v_div_fmas_f64 v[15:16], v[15:16], v[17:18], v[40:41]
	v_div_fixup_f64 v[15:16], v[15:16], v[21:22], v[19:20]
	s_delay_alu instid0(VALU_DEP_1) | instskip(NEXT) | instid1(VALU_DEP_1)
	v_fma_f64 v[17:18], v[19:20], v[15:16], v[21:22]
	v_div_scale_f64 v[40:41], null, v[17:18], v[17:18], 1.0
	v_div_scale_f64 v[46:47], vcc_lo, 1.0, v[17:18], 1.0
	s_delay_alu instid0(VALU_DEP_2) | instskip(NEXT) | instid1(TRANS32_DEP_1)
	v_rcp_f64_e32 v[42:43], v[40:41]
	v_fma_f64 v[44:45], -v[40:41], v[42:43], 1.0
	s_delay_alu instid0(VALU_DEP_1) | instskip(NEXT) | instid1(VALU_DEP_1)
	v_fma_f64 v[42:43], v[42:43], v[44:45], v[42:43]
	v_fma_f64 v[44:45], -v[40:41], v[42:43], 1.0
	s_delay_alu instid0(VALU_DEP_1) | instskip(NEXT) | instid1(VALU_DEP_1)
	v_fma_f64 v[42:43], v[42:43], v[44:45], v[42:43]
	v_mul_f64_e32 v[44:45], v[46:47], v[42:43]
	s_delay_alu instid0(VALU_DEP_1) | instskip(SKIP_1) | instid1(VALU_DEP_1)
	v_fma_f64 v[40:41], -v[40:41], v[44:45], v[46:47]
	s_wait_alu 0xfffd
	v_div_fmas_f64 v[40:41], v[40:41], v[42:43], v[44:45]
	v_fma_f64 v[42:43], v[15:16], v[23:24], v[25:26]
	s_delay_alu instid0(VALU_DEP_2) | instskip(SKIP_1) | instid1(VALU_DEP_2)
	v_div_fixup_f64 v[17:18], v[40:41], v[17:18], 1.0
	v_fma_f64 v[40:41], v[15:16], v[25:26], -v[23:24]
	v_mul_f64_e32 v[15:16], v[42:43], v[17:18]
	s_delay_alu instid0(VALU_DEP_2)
	v_mul_f64_e32 v[17:18], v[40:41], v[17:18]
.LBB213_24:                             ;   in Loop: Header=BB213_16 Depth=2
	s_wait_alu 0xfffe
	s_and_not1_b32 vcc_lo, exec_lo, s38
	s_wait_alu 0xfffe
	s_cbranch_vccnz .LBB213_26
; %bb.25:                               ;   in Loop: Header=BB213_16 Depth=2
	v_div_scale_f64 v[15:16], null, v[19:20], v[19:20], v[21:22]
	v_div_scale_f64 v[42:43], vcc_lo, v[21:22], v[19:20], v[21:22]
	s_delay_alu instid0(VALU_DEP_2) | instskip(NEXT) | instid1(TRANS32_DEP_1)
	v_rcp_f64_e32 v[17:18], v[15:16]
	v_fma_f64 v[40:41], -v[15:16], v[17:18], 1.0
	s_delay_alu instid0(VALU_DEP_1) | instskip(NEXT) | instid1(VALU_DEP_1)
	v_fma_f64 v[17:18], v[17:18], v[40:41], v[17:18]
	v_fma_f64 v[40:41], -v[15:16], v[17:18], 1.0
	s_delay_alu instid0(VALU_DEP_1) | instskip(NEXT) | instid1(VALU_DEP_1)
	v_fma_f64 v[17:18], v[17:18], v[40:41], v[17:18]
	v_mul_f64_e32 v[40:41], v[42:43], v[17:18]
	s_delay_alu instid0(VALU_DEP_1) | instskip(SKIP_1) | instid1(VALU_DEP_1)
	v_fma_f64 v[15:16], -v[15:16], v[40:41], v[42:43]
	s_wait_alu 0xfffd
	v_div_fmas_f64 v[15:16], v[15:16], v[17:18], v[40:41]
	s_delay_alu instid0(VALU_DEP_1) | instskip(NEXT) | instid1(VALU_DEP_1)
	v_div_fixup_f64 v[15:16], v[15:16], v[19:20], v[21:22]
	v_fma_f64 v[17:18], v[21:22], v[15:16], v[19:20]
	s_delay_alu instid0(VALU_DEP_1) | instskip(SKIP_1) | instid1(VALU_DEP_2)
	v_div_scale_f64 v[19:20], null, v[17:18], v[17:18], 1.0
	v_div_scale_f64 v[42:43], vcc_lo, 1.0, v[17:18], 1.0
	v_rcp_f64_e32 v[21:22], v[19:20]
	s_delay_alu instid0(TRANS32_DEP_1) | instskip(NEXT) | instid1(VALU_DEP_1)
	v_fma_f64 v[40:41], -v[19:20], v[21:22], 1.0
	v_fma_f64 v[21:22], v[21:22], v[40:41], v[21:22]
	s_delay_alu instid0(VALU_DEP_1) | instskip(NEXT) | instid1(VALU_DEP_1)
	v_fma_f64 v[40:41], -v[19:20], v[21:22], 1.0
	v_fma_f64 v[21:22], v[21:22], v[40:41], v[21:22]
	s_delay_alu instid0(VALU_DEP_1) | instskip(NEXT) | instid1(VALU_DEP_1)
	v_mul_f64_e32 v[40:41], v[42:43], v[21:22]
	v_fma_f64 v[19:20], -v[19:20], v[40:41], v[42:43]
	s_wait_alu 0xfffd
	s_delay_alu instid0(VALU_DEP_1) | instskip(SKIP_1) | instid1(VALU_DEP_2)
	v_div_fmas_f64 v[19:20], v[19:20], v[21:22], v[40:41]
	v_fma_f64 v[21:22], v[15:16], v[25:26], v[23:24]
	v_div_fixup_f64 v[17:18], v[19:20], v[17:18], 1.0
	v_fma_f64 v[19:20], -v[15:16], v[23:24], v[25:26]
	s_delay_alu instid0(VALU_DEP_2) | instskip(NEXT) | instid1(VALU_DEP_2)
	v_mul_f64_e32 v[15:16], v[21:22], v[17:18]
	v_mul_f64_e32 v[17:18], v[19:20], v[17:18]
.LBB213_26:                             ;   in Loop: Header=BB213_16 Depth=2
	s_add_co_i32 s38, s37, 0xd0
	s_or_b32 s39, s36, 16
	s_wait_alu 0xfffe
	s_sub_co_i32 s39, s38, s39
	s_wait_alu 0xfffe
	s_add_co_i32 s39, s39, s36
	s_wait_alu 0xfffe
	v_dual_mov_b32 v19, s37 :: v_dual_mov_b32 v40, s39
	ds_load_b128 v[23:26], v19 offset:32
	ds_load_b128 v[19:22], v19 offset:416
	;; [unrolled: 1-line block ×3, first 2 shown]
	ds_store_b128 v30, v[15:18] offset:192
	s_wait_dscnt 0x3
	v_mul_f64_e32 v[44:45], v[13:14], v[25:26]
	v_mul_f64_e32 v[25:26], v[11:12], v[25:26]
	s_wait_dscnt 0x1
	v_mul_f64_e32 v[46:47], v[17:18], v[42:43]
	v_mul_f64_e32 v[42:43], v[15:16], v[42:43]
	v_cmp_ngt_f64_e64 s40, |v[19:20]|, |v[21:22]|
	v_fma_f64 v[44:45], v[11:12], v[23:24], -v[44:45]
	v_fma_f64 v[23:24], v[13:14], v[23:24], v[25:26]
	v_fma_f64 v[25:26], v[15:16], v[40:41], -v[46:47]
	v_fma_f64 v[40:41], v[17:18], v[40:41], v[42:43]
	s_and_b32 vcc_lo, exec_lo, s40
	s_mov_b32 s40, -1
	s_delay_alu instid0(VALU_DEP_4) | instskip(NEXT) | instid1(VALU_DEP_4)
	v_add_f64_e64 v[7:8], v[7:8], -v[44:45]
	v_add_f64_e64 v[9:10], v[9:10], -v[23:24]
	s_delay_alu instid0(VALU_DEP_2) | instskip(NEXT) | instid1(VALU_DEP_2)
	v_add_f64_e64 v[23:24], v[7:8], -v[25:26]
	v_add_f64_e64 v[25:26], v[9:10], -v[40:41]
                                        ; implicit-def: $vgpr9_vgpr10
	s_wait_alu 0xfffe
	s_cbranch_vccz .LBB213_28
; %bb.27:                               ;   in Loop: Header=BB213_16 Depth=2
	v_div_scale_f64 v[7:8], null, v[21:22], v[21:22], v[19:20]
	v_div_scale_f64 v[42:43], vcc_lo, v[19:20], v[21:22], v[19:20]
	s_mov_b32 s40, 0
	v_rcp_f64_e32 v[9:10], v[7:8]
	s_delay_alu instid0(TRANS32_DEP_1) | instskip(NEXT) | instid1(VALU_DEP_1)
	v_fma_f64 v[40:41], -v[7:8], v[9:10], 1.0
	v_fma_f64 v[9:10], v[9:10], v[40:41], v[9:10]
	s_delay_alu instid0(VALU_DEP_1) | instskip(NEXT) | instid1(VALU_DEP_1)
	v_fma_f64 v[40:41], -v[7:8], v[9:10], 1.0
	v_fma_f64 v[9:10], v[9:10], v[40:41], v[9:10]
	s_delay_alu instid0(VALU_DEP_1) | instskip(NEXT) | instid1(VALU_DEP_1)
	v_mul_f64_e32 v[40:41], v[42:43], v[9:10]
	v_fma_f64 v[7:8], -v[7:8], v[40:41], v[42:43]
	s_wait_alu 0xfffd
	s_delay_alu instid0(VALU_DEP_1) | instskip(NEXT) | instid1(VALU_DEP_1)
	v_div_fmas_f64 v[7:8], v[7:8], v[9:10], v[40:41]
	v_div_fixup_f64 v[7:8], v[7:8], v[21:22], v[19:20]
	s_delay_alu instid0(VALU_DEP_1) | instskip(NEXT) | instid1(VALU_DEP_1)
	v_fma_f64 v[9:10], v[19:20], v[7:8], v[21:22]
	v_div_scale_f64 v[40:41], null, v[9:10], v[9:10], 1.0
	v_div_scale_f64 v[46:47], vcc_lo, 1.0, v[9:10], 1.0
	s_delay_alu instid0(VALU_DEP_2) | instskip(NEXT) | instid1(TRANS32_DEP_1)
	v_rcp_f64_e32 v[42:43], v[40:41]
	v_fma_f64 v[44:45], -v[40:41], v[42:43], 1.0
	s_delay_alu instid0(VALU_DEP_1) | instskip(NEXT) | instid1(VALU_DEP_1)
	v_fma_f64 v[42:43], v[42:43], v[44:45], v[42:43]
	v_fma_f64 v[44:45], -v[40:41], v[42:43], 1.0
	s_delay_alu instid0(VALU_DEP_1) | instskip(NEXT) | instid1(VALU_DEP_1)
	v_fma_f64 v[42:43], v[42:43], v[44:45], v[42:43]
	v_mul_f64_e32 v[44:45], v[46:47], v[42:43]
	s_delay_alu instid0(VALU_DEP_1) | instskip(SKIP_1) | instid1(VALU_DEP_1)
	v_fma_f64 v[40:41], -v[40:41], v[44:45], v[46:47]
	s_wait_alu 0xfffd
	v_div_fmas_f64 v[40:41], v[40:41], v[42:43], v[44:45]
	v_fma_f64 v[42:43], v[7:8], v[23:24], v[25:26]
	s_delay_alu instid0(VALU_DEP_2) | instskip(SKIP_1) | instid1(VALU_DEP_2)
	v_div_fixup_f64 v[9:10], v[40:41], v[9:10], 1.0
	v_fma_f64 v[40:41], v[7:8], v[25:26], -v[23:24]
	v_mul_f64_e32 v[7:8], v[42:43], v[9:10]
	s_delay_alu instid0(VALU_DEP_2)
	v_mul_f64_e32 v[9:10], v[40:41], v[9:10]
.LBB213_28:                             ;   in Loop: Header=BB213_16 Depth=2
	s_and_not1_b32 vcc_lo, exec_lo, s40
	s_wait_alu 0xfffe
	s_cbranch_vccnz .LBB213_30
; %bb.29:                               ;   in Loop: Header=BB213_16 Depth=2
	v_div_scale_f64 v[7:8], null, v[19:20], v[19:20], v[21:22]
	v_div_scale_f64 v[42:43], vcc_lo, v[21:22], v[19:20], v[21:22]
	s_delay_alu instid0(VALU_DEP_2) | instskip(NEXT) | instid1(TRANS32_DEP_1)
	v_rcp_f64_e32 v[9:10], v[7:8]
	v_fma_f64 v[40:41], -v[7:8], v[9:10], 1.0
	s_delay_alu instid0(VALU_DEP_1) | instskip(NEXT) | instid1(VALU_DEP_1)
	v_fma_f64 v[9:10], v[9:10], v[40:41], v[9:10]
	v_fma_f64 v[40:41], -v[7:8], v[9:10], 1.0
	s_delay_alu instid0(VALU_DEP_1) | instskip(NEXT) | instid1(VALU_DEP_1)
	v_fma_f64 v[9:10], v[9:10], v[40:41], v[9:10]
	v_mul_f64_e32 v[40:41], v[42:43], v[9:10]
	s_delay_alu instid0(VALU_DEP_1) | instskip(SKIP_1) | instid1(VALU_DEP_1)
	v_fma_f64 v[7:8], -v[7:8], v[40:41], v[42:43]
	s_wait_alu 0xfffd
	v_div_fmas_f64 v[7:8], v[7:8], v[9:10], v[40:41]
	s_delay_alu instid0(VALU_DEP_1) | instskip(NEXT) | instid1(VALU_DEP_1)
	v_div_fixup_f64 v[7:8], v[7:8], v[19:20], v[21:22]
	v_fma_f64 v[9:10], v[21:22], v[7:8], v[19:20]
	s_delay_alu instid0(VALU_DEP_1) | instskip(SKIP_1) | instid1(VALU_DEP_2)
	v_div_scale_f64 v[19:20], null, v[9:10], v[9:10], 1.0
	v_div_scale_f64 v[42:43], vcc_lo, 1.0, v[9:10], 1.0
	v_rcp_f64_e32 v[21:22], v[19:20]
	s_delay_alu instid0(TRANS32_DEP_1) | instskip(NEXT) | instid1(VALU_DEP_1)
	v_fma_f64 v[40:41], -v[19:20], v[21:22], 1.0
	v_fma_f64 v[21:22], v[21:22], v[40:41], v[21:22]
	s_delay_alu instid0(VALU_DEP_1) | instskip(NEXT) | instid1(VALU_DEP_1)
	v_fma_f64 v[40:41], -v[19:20], v[21:22], 1.0
	v_fma_f64 v[21:22], v[21:22], v[40:41], v[21:22]
	s_delay_alu instid0(VALU_DEP_1) | instskip(NEXT) | instid1(VALU_DEP_1)
	v_mul_f64_e32 v[40:41], v[42:43], v[21:22]
	v_fma_f64 v[19:20], -v[19:20], v[40:41], v[42:43]
	s_wait_alu 0xfffd
	s_delay_alu instid0(VALU_DEP_1) | instskip(SKIP_1) | instid1(VALU_DEP_2)
	v_div_fmas_f64 v[19:20], v[19:20], v[21:22], v[40:41]
	v_fma_f64 v[21:22], v[7:8], v[25:26], v[23:24]
	v_div_fixup_f64 v[9:10], v[19:20], v[9:10], 1.0
	v_fma_f64 v[19:20], -v[7:8], v[23:24], v[25:26]
	s_delay_alu instid0(VALU_DEP_2) | instskip(NEXT) | instid1(VALU_DEP_2)
	v_mul_f64_e32 v[7:8], v[21:22], v[9:10]
	v_mul_f64_e32 v[9:10], v[19:20], v[9:10]
.LBB213_30:                             ;   in Loop: Header=BB213_16 Depth=2
	v_dual_mov_b32 v19, s37 :: v_dual_mov_b32 v40, s39
	s_or_b32 s37, s36, 32
	ds_load_b128 v[23:26], v19 offset:48
	ds_load_b128 v[19:22], v19 offset:624
	;; [unrolled: 1-line block ×3, first 2 shown]
	s_wait_alu 0xfffe
	s_sub_co_i32 s37, s38, s37
	ds_store_b128 v30, v[7:10] offset:384
	s_wait_alu 0xfffe
	s_add_co_i32 s36, s37, s36
	s_wait_alu 0xfffe
	v_mov_b32_e32 v44, s36
	ds_load_b128 v[44:47], v44 offset:256
	s_wait_dscnt 0x4
	v_mul_f64_e32 v[48:49], v[13:14], v[25:26]
	v_mul_f64_e32 v[25:26], v[11:12], v[25:26]
	s_wait_dscnt 0x2
	v_mul_f64_e32 v[50:51], v[17:18], v[42:43]
	v_mul_f64_e32 v[42:43], v[15:16], v[42:43]
	v_cmp_ngt_f64_e64 s36, |v[19:20]|, |v[21:22]|
	v_fma_f64 v[11:12], v[11:12], v[23:24], -v[48:49]
	v_fma_f64 v[13:14], v[13:14], v[23:24], v[25:26]
	s_wait_dscnt 0x0
	v_mul_f64_e32 v[23:24], v[9:10], v[46:47]
	v_mul_f64_e32 v[25:26], v[7:8], v[46:47]
	v_fma_f64 v[15:16], v[15:16], v[40:41], -v[50:51]
	v_fma_f64 v[17:18], v[17:18], v[40:41], v[42:43]
	s_and_b32 vcc_lo, exec_lo, s36
	s_mov_b32 s36, -1
	v_add_f64_e64 v[3:4], v[3:4], -v[11:12]
	v_add_f64_e64 v[5:6], v[5:6], -v[13:14]
	v_fma_f64 v[11:12], v[7:8], v[44:45], -v[23:24]
	v_fma_f64 v[13:14], v[9:10], v[44:45], v[25:26]
	s_delay_alu instid0(VALU_DEP_4) | instskip(NEXT) | instid1(VALU_DEP_4)
	v_add_f64_e64 v[3:4], v[3:4], -v[15:16]
	v_add_f64_e64 v[5:6], v[5:6], -v[17:18]
	s_delay_alu instid0(VALU_DEP_2) | instskip(NEXT) | instid1(VALU_DEP_2)
	v_add_f64_e64 v[11:12], v[3:4], -v[11:12]
	v_add_f64_e64 v[13:14], v[5:6], -v[13:14]
                                        ; implicit-def: $vgpr5_vgpr6
	s_wait_alu 0xfffe
	s_cbranch_vccz .LBB213_32
; %bb.31:                               ;   in Loop: Header=BB213_16 Depth=2
	v_div_scale_f64 v[3:4], null, v[21:22], v[21:22], v[19:20]
	v_div_scale_f64 v[9:10], vcc_lo, v[19:20], v[21:22], v[19:20]
	s_mov_b32 s36, 0
	v_rcp_f64_e32 v[5:6], v[3:4]
	s_delay_alu instid0(TRANS32_DEP_1) | instskip(NEXT) | instid1(VALU_DEP_1)
	v_fma_f64 v[7:8], -v[3:4], v[5:6], 1.0
	v_fma_f64 v[5:6], v[5:6], v[7:8], v[5:6]
	s_delay_alu instid0(VALU_DEP_1) | instskip(NEXT) | instid1(VALU_DEP_1)
	v_fma_f64 v[7:8], -v[3:4], v[5:6], 1.0
	v_fma_f64 v[5:6], v[5:6], v[7:8], v[5:6]
	s_delay_alu instid0(VALU_DEP_1) | instskip(NEXT) | instid1(VALU_DEP_1)
	v_mul_f64_e32 v[7:8], v[9:10], v[5:6]
	v_fma_f64 v[3:4], -v[3:4], v[7:8], v[9:10]
	s_wait_alu 0xfffd
	s_delay_alu instid0(VALU_DEP_1) | instskip(NEXT) | instid1(VALU_DEP_1)
	v_div_fmas_f64 v[3:4], v[3:4], v[5:6], v[7:8]
	v_div_fixup_f64 v[3:4], v[3:4], v[21:22], v[19:20]
	s_delay_alu instid0(VALU_DEP_1) | instskip(NEXT) | instid1(VALU_DEP_1)
	v_fma_f64 v[5:6], v[19:20], v[3:4], v[21:22]
	v_div_scale_f64 v[7:8], null, v[5:6], v[5:6], 1.0
	v_div_scale_f64 v[17:18], vcc_lo, 1.0, v[5:6], 1.0
	s_delay_alu instid0(VALU_DEP_2) | instskip(NEXT) | instid1(TRANS32_DEP_1)
	v_rcp_f64_e32 v[9:10], v[7:8]
	v_fma_f64 v[15:16], -v[7:8], v[9:10], 1.0
	s_delay_alu instid0(VALU_DEP_1) | instskip(NEXT) | instid1(VALU_DEP_1)
	v_fma_f64 v[9:10], v[9:10], v[15:16], v[9:10]
	v_fma_f64 v[15:16], -v[7:8], v[9:10], 1.0
	s_delay_alu instid0(VALU_DEP_1) | instskip(NEXT) | instid1(VALU_DEP_1)
	v_fma_f64 v[9:10], v[9:10], v[15:16], v[9:10]
	v_mul_f64_e32 v[15:16], v[17:18], v[9:10]
	s_delay_alu instid0(VALU_DEP_1) | instskip(SKIP_1) | instid1(VALU_DEP_1)
	v_fma_f64 v[7:8], -v[7:8], v[15:16], v[17:18]
	s_wait_alu 0xfffd
	v_div_fmas_f64 v[7:8], v[7:8], v[9:10], v[15:16]
	v_fma_f64 v[9:10], v[3:4], v[11:12], v[13:14]
	s_delay_alu instid0(VALU_DEP_2) | instskip(SKIP_1) | instid1(VALU_DEP_2)
	v_div_fixup_f64 v[5:6], v[7:8], v[5:6], 1.0
	v_fma_f64 v[7:8], v[3:4], v[13:14], -v[11:12]
	v_mul_f64_e32 v[3:4], v[9:10], v[5:6]
	s_delay_alu instid0(VALU_DEP_2)
	v_mul_f64_e32 v[5:6], v[7:8], v[5:6]
.LBB213_32:                             ;   in Loop: Header=BB213_16 Depth=2
	s_wait_alu 0xfffe
	s_and_not1_b32 vcc_lo, exec_lo, s36
	s_wait_alu 0xfffe
	s_cbranch_vccnz .LBB213_34
; %bb.33:                               ;   in Loop: Header=BB213_16 Depth=2
	v_div_scale_f64 v[3:4], null, v[19:20], v[19:20], v[21:22]
	v_div_scale_f64 v[9:10], vcc_lo, v[21:22], v[19:20], v[21:22]
	s_delay_alu instid0(VALU_DEP_2) | instskip(NEXT) | instid1(TRANS32_DEP_1)
	v_rcp_f64_e32 v[5:6], v[3:4]
	v_fma_f64 v[7:8], -v[3:4], v[5:6], 1.0
	s_delay_alu instid0(VALU_DEP_1) | instskip(NEXT) | instid1(VALU_DEP_1)
	v_fma_f64 v[5:6], v[5:6], v[7:8], v[5:6]
	v_fma_f64 v[7:8], -v[3:4], v[5:6], 1.0
	s_delay_alu instid0(VALU_DEP_1) | instskip(NEXT) | instid1(VALU_DEP_1)
	v_fma_f64 v[5:6], v[5:6], v[7:8], v[5:6]
	v_mul_f64_e32 v[7:8], v[9:10], v[5:6]
	s_delay_alu instid0(VALU_DEP_1) | instskip(SKIP_1) | instid1(VALU_DEP_1)
	v_fma_f64 v[3:4], -v[3:4], v[7:8], v[9:10]
	s_wait_alu 0xfffd
	v_div_fmas_f64 v[3:4], v[3:4], v[5:6], v[7:8]
	s_delay_alu instid0(VALU_DEP_1) | instskip(NEXT) | instid1(VALU_DEP_1)
	v_div_fixup_f64 v[3:4], v[3:4], v[19:20], v[21:22]
	v_fma_f64 v[5:6], v[21:22], v[3:4], v[19:20]
	s_delay_alu instid0(VALU_DEP_1) | instskip(SKIP_1) | instid1(VALU_DEP_2)
	v_div_scale_f64 v[7:8], null, v[5:6], v[5:6], 1.0
	v_div_scale_f64 v[17:18], vcc_lo, 1.0, v[5:6], 1.0
	v_rcp_f64_e32 v[9:10], v[7:8]
	s_delay_alu instid0(TRANS32_DEP_1) | instskip(NEXT) | instid1(VALU_DEP_1)
	v_fma_f64 v[15:16], -v[7:8], v[9:10], 1.0
	v_fma_f64 v[9:10], v[9:10], v[15:16], v[9:10]
	s_delay_alu instid0(VALU_DEP_1) | instskip(NEXT) | instid1(VALU_DEP_1)
	v_fma_f64 v[15:16], -v[7:8], v[9:10], 1.0
	v_fma_f64 v[9:10], v[9:10], v[15:16], v[9:10]
	s_delay_alu instid0(VALU_DEP_1) | instskip(NEXT) | instid1(VALU_DEP_1)
	v_mul_f64_e32 v[15:16], v[17:18], v[9:10]
	v_fma_f64 v[7:8], -v[7:8], v[15:16], v[17:18]
	s_wait_alu 0xfffd
	s_delay_alu instid0(VALU_DEP_1) | instskip(SKIP_1) | instid1(VALU_DEP_2)
	v_div_fmas_f64 v[7:8], v[7:8], v[9:10], v[15:16]
	v_fma_f64 v[9:10], v[3:4], v[13:14], v[11:12]
	v_div_fixup_f64 v[5:6], v[7:8], v[5:6], 1.0
	v_fma_f64 v[7:8], -v[3:4], v[11:12], v[13:14]
	s_delay_alu instid0(VALU_DEP_2) | instskip(NEXT) | instid1(VALU_DEP_2)
	v_mul_f64_e32 v[3:4], v[9:10], v[5:6]
	v_mul_f64_e32 v[5:6], v[7:8], v[5:6]
.LBB213_34:                             ;   in Loop: Header=BB213_16 Depth=2
	s_add_co_i32 s36, s21, 4
	s_add_co_i32 s21, s21, 7
	;; [unrolled: 1-line block ×3, first 2 shown]
	s_wait_alu 0xfffe
	s_cmp_ge_i32 s21, s26
	ds_store_b128 v31, v[3:6]
	s_cbranch_scc1 .LBB213_36
; %bb.35:                               ;   in Loop: Header=BB213_16 Depth=2
	s_mov_b32 s21, s36
	s_branch .LBB213_16
.LBB213_36:                             ;   in Loop: Header=BB213_3 Depth=1
	s_cmp_ge_i32 s36, s26
	s_cbranch_scc1 .LBB213_45
; %bb.37:                               ;   in Loop: Header=BB213_3 Depth=1
	s_lshl_b32 s20, s36, 4
	s_branch .LBB213_39
.LBB213_38:                             ;   in Loop: Header=BB213_39 Depth=2
	s_add_co_i32 s36, s36, 1
	s_add_co_i32 s20, s20, 16
	s_wait_alu 0xfffe
	s_cmp_ge_i32 s36, s26
	ds_store_b128 v15, v[11:14]
	s_cbranch_scc1 .LBB213_45
.LBB213_39:                             ;   Parent Loop BB213_3 Depth=1
                                        ; =>  This Loop Header: Depth=2
                                        ;       Child Loop BB213_40 Depth 3
	s_mul_i32 s21, s36, 0xc0
	v_mov_b32_e32 v7, v27
	s_wait_alu 0xfffe
	v_add_nc_u32_e32 v15, s21, v27
	s_cmp_eq_u32 s36, 0
	s_mov_b32 s37, s20
	s_mov_b32 s38, s36
	ds_load_b128 v[3:6], v15
	s_cbranch_scc1 .LBB213_41
.LBB213_40:                             ;   Parent Loop BB213_3 Depth=1
                                        ;     Parent Loop BB213_39 Depth=2
                                        ; =>    This Inner Loop Header: Depth=3
	s_wait_alu 0xfffe
	v_mov_b32_e32 v12, s37
	s_add_co_i32 s38, s38, -1
	s_addk_co_i32 s37, 0xc0
	s_wait_alu 0xfffe
	s_cmp_eq_u32 s38, 0
	ds_load_b128 v[8:11], v7
	ds_load_b128 v[16:19], v12
	v_add_nc_u32_e32 v7, 0xc0, v7
	s_wait_dscnt 0x0
	v_mul_f64_e32 v[12:13], v[18:19], v[10:11]
	v_mul_f64_e32 v[10:11], v[16:17], v[10:11]
	s_delay_alu instid0(VALU_DEP_2) | instskip(NEXT) | instid1(VALU_DEP_2)
	v_fma_f64 v[12:13], v[16:17], v[8:9], -v[12:13]
	v_fma_f64 v[8:9], v[18:19], v[8:9], v[10:11]
	s_delay_alu instid0(VALU_DEP_2) | instskip(NEXT) | instid1(VALU_DEP_2)
	v_add_f64_e64 v[3:4], v[3:4], -v[12:13]
	v_add_f64_e64 v[5:6], v[5:6], -v[8:9]
	s_cbranch_scc0 .LBB213_40
.LBB213_41:                             ;   in Loop: Header=BB213_39 Depth=2
	s_lshl_b32 s37, s36, 4
                                        ; implicit-def: $vgpr11_vgpr12
	s_wait_alu 0xfffe
	s_add_co_i32 s21, s37, s21
	s_wait_alu 0xfffe
	v_mov_b32_e32 v7, s21
	ds_load_b128 v[7:10], v7
	s_wait_dscnt 0x0
	v_cmp_ngt_f64_e64 s21, |v[7:8]|, |v[9:10]|
	s_and_b32 vcc_lo, exec_lo, s21
	s_mov_b32 s21, -1
	s_wait_alu 0xfffe
	s_cbranch_vccz .LBB213_43
; %bb.42:                               ;   in Loop: Header=BB213_39 Depth=2
	v_div_scale_f64 v[11:12], null, v[9:10], v[9:10], v[7:8]
	v_div_scale_f64 v[18:19], vcc_lo, v[7:8], v[9:10], v[7:8]
	s_mov_b32 s21, 0
	v_rcp_f64_e32 v[13:14], v[11:12]
	s_delay_alu instid0(TRANS32_DEP_1) | instskip(NEXT) | instid1(VALU_DEP_1)
	v_fma_f64 v[16:17], -v[11:12], v[13:14], 1.0
	v_fma_f64 v[13:14], v[13:14], v[16:17], v[13:14]
	s_delay_alu instid0(VALU_DEP_1) | instskip(NEXT) | instid1(VALU_DEP_1)
	v_fma_f64 v[16:17], -v[11:12], v[13:14], 1.0
	v_fma_f64 v[13:14], v[13:14], v[16:17], v[13:14]
	s_delay_alu instid0(VALU_DEP_1) | instskip(NEXT) | instid1(VALU_DEP_1)
	v_mul_f64_e32 v[16:17], v[18:19], v[13:14]
	v_fma_f64 v[11:12], -v[11:12], v[16:17], v[18:19]
	s_wait_alu 0xfffd
	s_delay_alu instid0(VALU_DEP_1) | instskip(NEXT) | instid1(VALU_DEP_1)
	v_div_fmas_f64 v[11:12], v[11:12], v[13:14], v[16:17]
	v_div_fixup_f64 v[11:12], v[11:12], v[9:10], v[7:8]
	s_delay_alu instid0(VALU_DEP_1) | instskip(NEXT) | instid1(VALU_DEP_1)
	v_fma_f64 v[13:14], v[7:8], v[11:12], v[9:10]
	v_div_scale_f64 v[16:17], null, v[13:14], v[13:14], 1.0
	v_div_scale_f64 v[22:23], vcc_lo, 1.0, v[13:14], 1.0
	s_delay_alu instid0(VALU_DEP_2) | instskip(NEXT) | instid1(TRANS32_DEP_1)
	v_rcp_f64_e32 v[18:19], v[16:17]
	v_fma_f64 v[20:21], -v[16:17], v[18:19], 1.0
	s_delay_alu instid0(VALU_DEP_1) | instskip(NEXT) | instid1(VALU_DEP_1)
	v_fma_f64 v[18:19], v[18:19], v[20:21], v[18:19]
	v_fma_f64 v[20:21], -v[16:17], v[18:19], 1.0
	s_delay_alu instid0(VALU_DEP_1) | instskip(NEXT) | instid1(VALU_DEP_1)
	v_fma_f64 v[18:19], v[18:19], v[20:21], v[18:19]
	v_mul_f64_e32 v[20:21], v[22:23], v[18:19]
	s_delay_alu instid0(VALU_DEP_1) | instskip(SKIP_1) | instid1(VALU_DEP_1)
	v_fma_f64 v[16:17], -v[16:17], v[20:21], v[22:23]
	s_wait_alu 0xfffd
	v_div_fmas_f64 v[16:17], v[16:17], v[18:19], v[20:21]
	v_fma_f64 v[18:19], v[3:4], v[11:12], v[5:6]
	s_delay_alu instid0(VALU_DEP_2) | instskip(SKIP_1) | instid1(VALU_DEP_2)
	v_div_fixup_f64 v[13:14], v[16:17], v[13:14], 1.0
	v_fma_f64 v[16:17], v[5:6], v[11:12], -v[3:4]
	v_mul_f64_e32 v[11:12], v[18:19], v[13:14]
	s_delay_alu instid0(VALU_DEP_2)
	v_mul_f64_e32 v[13:14], v[16:17], v[13:14]
.LBB213_43:                             ;   in Loop: Header=BB213_39 Depth=2
	s_wait_alu 0xfffe
	s_and_not1_b32 vcc_lo, exec_lo, s21
	s_wait_alu 0xfffe
	s_cbranch_vccnz .LBB213_38
; %bb.44:                               ;   in Loop: Header=BB213_39 Depth=2
	v_div_scale_f64 v[11:12], null, v[7:8], v[7:8], v[9:10]
	v_div_scale_f64 v[18:19], vcc_lo, v[9:10], v[7:8], v[9:10]
	s_delay_alu instid0(VALU_DEP_2) | instskip(NEXT) | instid1(TRANS32_DEP_1)
	v_rcp_f64_e32 v[13:14], v[11:12]
	v_fma_f64 v[16:17], -v[11:12], v[13:14], 1.0
	s_delay_alu instid0(VALU_DEP_1) | instskip(NEXT) | instid1(VALU_DEP_1)
	v_fma_f64 v[13:14], v[13:14], v[16:17], v[13:14]
	v_fma_f64 v[16:17], -v[11:12], v[13:14], 1.0
	s_delay_alu instid0(VALU_DEP_1) | instskip(NEXT) | instid1(VALU_DEP_1)
	v_fma_f64 v[13:14], v[13:14], v[16:17], v[13:14]
	v_mul_f64_e32 v[16:17], v[18:19], v[13:14]
	s_delay_alu instid0(VALU_DEP_1) | instskip(SKIP_1) | instid1(VALU_DEP_1)
	v_fma_f64 v[11:12], -v[11:12], v[16:17], v[18:19]
	s_wait_alu 0xfffd
	v_div_fmas_f64 v[11:12], v[11:12], v[13:14], v[16:17]
	s_delay_alu instid0(VALU_DEP_1) | instskip(NEXT) | instid1(VALU_DEP_1)
	v_div_fixup_f64 v[11:12], v[11:12], v[7:8], v[9:10]
	v_fma_f64 v[7:8], v[9:10], v[11:12], v[7:8]
	s_delay_alu instid0(VALU_DEP_1) | instskip(SKIP_1) | instid1(VALU_DEP_2)
	v_div_scale_f64 v[9:10], null, v[7:8], v[7:8], 1.0
	v_div_scale_f64 v[18:19], vcc_lo, 1.0, v[7:8], 1.0
	v_rcp_f64_e32 v[13:14], v[9:10]
	s_delay_alu instid0(TRANS32_DEP_1) | instskip(NEXT) | instid1(VALU_DEP_1)
	v_fma_f64 v[16:17], -v[9:10], v[13:14], 1.0
	v_fma_f64 v[13:14], v[13:14], v[16:17], v[13:14]
	s_delay_alu instid0(VALU_DEP_1) | instskip(NEXT) | instid1(VALU_DEP_1)
	v_fma_f64 v[16:17], -v[9:10], v[13:14], 1.0
	v_fma_f64 v[13:14], v[13:14], v[16:17], v[13:14]
	s_delay_alu instid0(VALU_DEP_1) | instskip(NEXT) | instid1(VALU_DEP_1)
	v_mul_f64_e32 v[16:17], v[18:19], v[13:14]
	v_fma_f64 v[9:10], -v[9:10], v[16:17], v[18:19]
	s_wait_alu 0xfffd
	s_delay_alu instid0(VALU_DEP_1) | instskip(SKIP_2) | instid1(VALU_DEP_3)
	v_div_fmas_f64 v[9:10], v[9:10], v[13:14], v[16:17]
	v_fma_f64 v[13:14], v[5:6], v[11:12], v[3:4]
	v_fma_f64 v[3:4], -v[3:4], v[11:12], v[5:6]
	v_div_fixup_f64 v[7:8], v[9:10], v[7:8], 1.0
	s_delay_alu instid0(VALU_DEP_1) | instskip(NEXT) | instid1(VALU_DEP_3)
	v_mul_f64_e32 v[11:12], v[13:14], v[7:8]
	v_mul_f64_e32 v[13:14], v[3:4], v[7:8]
	s_branch .LBB213_38
.LBB213_45:                             ;   in Loop: Header=BB213_3 Depth=1
	s_mov_b32 s20, 0
.LBB213_46:                             ;   in Loop: Header=BB213_3 Depth=1
	s_wait_alu 0xfffe
	s_and_b32 vcc_lo, exec_lo, s20
	s_wait_alu 0xfffe
	s_cbranch_vccz .LBB213_78
; %bb.47:                               ;   in Loop: Header=BB213_3 Depth=1
	s_mov_b32 s36, s27
	s_and_not1_b32 vcc_lo, exec_lo, s22
	s_mov_b32 s20, s31
	s_mov_b32 s21, s27
	s_wait_alu 0xfffe
	s_cbranch_vccnz .LBB213_69
.LBB213_48:                             ;   Parent Loop BB213_3 Depth=1
                                        ; =>  This Loop Header: Depth=2
                                        ;       Child Loop BB213_49 Depth 3
	s_wait_alu 0xfffe
	s_mul_i32 s37, s21, 0xc0
	s_mov_b32 s38, s27
	s_wait_alu 0xfffe
	v_add_nc_u32_e32 v41, s37, v27
	s_add_co_i32 s36, s37, 0xfffffdc0
	s_cmp_le_i32 s27, s21
	s_wait_alu 0xfffe
	v_add_nc_u32_e32 v30, s36, v27
	s_mov_b32 s36, s20
	v_dual_mov_b32 v11, v38 :: v_dual_add_nc_u32 v40, 0xffffff40, v41
	v_add_nc_u32_e32 v31, 0xfffffe80, v41
	ds_load_b128 v[19:22], v41
	ds_load_b128 v[15:18], v40
	;; [unrolled: 1-line block ×4, first 2 shown]
	s_cbranch_scc1 .LBB213_50
.LBB213_49:                             ;   Parent Loop BB213_3 Depth=1
                                        ;     Parent Loop BB213_48 Depth=2
                                        ; =>    This Inner Loop Header: Depth=3
	s_wait_alu 0xfffe
	v_mov_b32_e32 v12, s36
	s_add_co_i32 s38, s38, -1
	s_addk_co_i32 s36, 0xff40
	s_wait_alu 0xfffe
	s_cmp_le_i32 s38, s21
	ds_load_b128 v[23:26], v11
	ds_load_b128 v[42:45], v12 offset:48
	ds_load_b128 v[46:49], v12 offset:32
	ds_load_b128 v[50:53], v12 offset:16
	ds_load_b128 v[54:57], v12
	v_add_nc_u32_e32 v11, 0xffffff40, v11
	s_wait_dscnt 0x3
	v_mul_f64_e32 v[12:13], v[25:26], v[44:45]
	v_mul_f64_e32 v[44:45], v[23:24], v[44:45]
	s_wait_dscnt 0x2
	v_mul_f64_e32 v[58:59], v[25:26], v[48:49]
	v_mul_f64_e32 v[48:49], v[23:24], v[48:49]
	;; [unrolled: 3-line block ×4, first 2 shown]
	v_fma_f64 v[12:13], v[23:24], v[42:43], -v[12:13]
	v_fma_f64 v[42:43], v[25:26], v[42:43], v[44:45]
	v_fma_f64 v[44:45], v[23:24], v[46:47], -v[58:59]
	v_fma_f64 v[46:47], v[25:26], v[46:47], v[48:49]
	;; [unrolled: 2-line block ×4, first 2 shown]
	v_add_f64_e64 v[19:20], v[19:20], -v[12:13]
	v_add_f64_e64 v[21:22], v[21:22], -v[42:43]
	;; [unrolled: 1-line block ×8, first 2 shown]
	s_cbranch_scc0 .LBB213_49
.LBB213_50:                             ;   in Loop: Header=BB213_48 Depth=2
	s_add_co_i32 s36, s21, -3
; %bb.51:                               ;   in Loop: Header=BB213_48 Depth=2
	s_lshl_b32 s38, s21, 4
	s_wait_alu 0xfffe
	s_add_co_i32 s37, s38, s37
	s_wait_alu 0xfffe
	v_mov_b32_e32 v11, s37
	ds_load_b128 v[23:26], v11
                                        ; implicit-def: $vgpr13_vgpr14
	s_wait_dscnt 0x0
	v_cmp_ngt_f64_e64 s38, |v[23:24]|, |v[25:26]|
	s_and_b32 vcc_lo, exec_lo, s38
	s_mov_b32 s38, -1
	s_wait_alu 0xfffe
	s_cbranch_vccz .LBB213_53
; %bb.52:                               ;   in Loop: Header=BB213_48 Depth=2
	v_div_scale_f64 v[11:12], null, v[25:26], v[25:26], v[23:24]
	v_div_scale_f64 v[44:45], vcc_lo, v[23:24], v[25:26], v[23:24]
	s_mov_b32 s38, 0
	v_rcp_f64_e32 v[13:14], v[11:12]
	s_delay_alu instid0(TRANS32_DEP_1) | instskip(NEXT) | instid1(VALU_DEP_1)
	v_fma_f64 v[42:43], -v[11:12], v[13:14], 1.0
	v_fma_f64 v[13:14], v[13:14], v[42:43], v[13:14]
	s_delay_alu instid0(VALU_DEP_1) | instskip(NEXT) | instid1(VALU_DEP_1)
	v_fma_f64 v[42:43], -v[11:12], v[13:14], 1.0
	v_fma_f64 v[13:14], v[13:14], v[42:43], v[13:14]
	s_delay_alu instid0(VALU_DEP_1) | instskip(NEXT) | instid1(VALU_DEP_1)
	v_mul_f64_e32 v[42:43], v[44:45], v[13:14]
	v_fma_f64 v[11:12], -v[11:12], v[42:43], v[44:45]
	s_wait_alu 0xfffd
	s_delay_alu instid0(VALU_DEP_1) | instskip(NEXT) | instid1(VALU_DEP_1)
	v_div_fmas_f64 v[11:12], v[11:12], v[13:14], v[42:43]
	v_div_fixup_f64 v[11:12], v[11:12], v[25:26], v[23:24]
	s_delay_alu instid0(VALU_DEP_1) | instskip(NEXT) | instid1(VALU_DEP_1)
	v_fma_f64 v[13:14], v[23:24], v[11:12], v[25:26]
	v_div_scale_f64 v[42:43], null, v[13:14], v[13:14], 1.0
	v_div_scale_f64 v[48:49], vcc_lo, 1.0, v[13:14], 1.0
	s_delay_alu instid0(VALU_DEP_2) | instskip(NEXT) | instid1(TRANS32_DEP_1)
	v_rcp_f64_e32 v[44:45], v[42:43]
	v_fma_f64 v[46:47], -v[42:43], v[44:45], 1.0
	s_delay_alu instid0(VALU_DEP_1) | instskip(NEXT) | instid1(VALU_DEP_1)
	v_fma_f64 v[44:45], v[44:45], v[46:47], v[44:45]
	v_fma_f64 v[46:47], -v[42:43], v[44:45], 1.0
	s_delay_alu instid0(VALU_DEP_1) | instskip(NEXT) | instid1(VALU_DEP_1)
	v_fma_f64 v[44:45], v[44:45], v[46:47], v[44:45]
	v_mul_f64_e32 v[46:47], v[48:49], v[44:45]
	s_delay_alu instid0(VALU_DEP_1) | instskip(SKIP_1) | instid1(VALU_DEP_1)
	v_fma_f64 v[42:43], -v[42:43], v[46:47], v[48:49]
	s_wait_alu 0xfffd
	v_div_fmas_f64 v[42:43], v[42:43], v[44:45], v[46:47]
	v_fma_f64 v[44:45], v[19:20], v[11:12], v[21:22]
	s_delay_alu instid0(VALU_DEP_2) | instskip(SKIP_1) | instid1(VALU_DEP_2)
	v_div_fixup_f64 v[13:14], v[42:43], v[13:14], 1.0
	v_fma_f64 v[42:43], v[21:22], v[11:12], -v[19:20]
	v_mul_f64_e32 v[11:12], v[44:45], v[13:14]
	s_delay_alu instid0(VALU_DEP_2)
	v_mul_f64_e32 v[13:14], v[42:43], v[13:14]
.LBB213_53:                             ;   in Loop: Header=BB213_48 Depth=2
	s_wait_alu 0xfffe
	s_and_not1_b32 vcc_lo, exec_lo, s38
	s_wait_alu 0xfffe
	s_cbranch_vccnz .LBB213_55
; %bb.54:                               ;   in Loop: Header=BB213_48 Depth=2
	v_div_scale_f64 v[11:12], null, v[23:24], v[23:24], v[25:26]
	v_div_scale_f64 v[44:45], vcc_lo, v[25:26], v[23:24], v[25:26]
	s_delay_alu instid0(VALU_DEP_2) | instskip(NEXT) | instid1(TRANS32_DEP_1)
	v_rcp_f64_e32 v[13:14], v[11:12]
	v_fma_f64 v[42:43], -v[11:12], v[13:14], 1.0
	s_delay_alu instid0(VALU_DEP_1) | instskip(NEXT) | instid1(VALU_DEP_1)
	v_fma_f64 v[13:14], v[13:14], v[42:43], v[13:14]
	v_fma_f64 v[42:43], -v[11:12], v[13:14], 1.0
	s_delay_alu instid0(VALU_DEP_1) | instskip(NEXT) | instid1(VALU_DEP_1)
	v_fma_f64 v[13:14], v[13:14], v[42:43], v[13:14]
	v_mul_f64_e32 v[42:43], v[44:45], v[13:14]
	s_delay_alu instid0(VALU_DEP_1) | instskip(SKIP_1) | instid1(VALU_DEP_1)
	v_fma_f64 v[11:12], -v[11:12], v[42:43], v[44:45]
	s_wait_alu 0xfffd
	v_div_fmas_f64 v[11:12], v[11:12], v[13:14], v[42:43]
	s_delay_alu instid0(VALU_DEP_1) | instskip(NEXT) | instid1(VALU_DEP_1)
	v_div_fixup_f64 v[11:12], v[11:12], v[23:24], v[25:26]
	v_fma_f64 v[13:14], v[25:26], v[11:12], v[23:24]
	s_delay_alu instid0(VALU_DEP_1) | instskip(SKIP_1) | instid1(VALU_DEP_2)
	v_div_scale_f64 v[23:24], null, v[13:14], v[13:14], 1.0
	v_div_scale_f64 v[44:45], vcc_lo, 1.0, v[13:14], 1.0
	v_rcp_f64_e32 v[25:26], v[23:24]
	s_delay_alu instid0(TRANS32_DEP_1) | instskip(NEXT) | instid1(VALU_DEP_1)
	v_fma_f64 v[42:43], -v[23:24], v[25:26], 1.0
	v_fma_f64 v[25:26], v[25:26], v[42:43], v[25:26]
	s_delay_alu instid0(VALU_DEP_1) | instskip(NEXT) | instid1(VALU_DEP_1)
	v_fma_f64 v[42:43], -v[23:24], v[25:26], 1.0
	v_fma_f64 v[25:26], v[25:26], v[42:43], v[25:26]
	s_delay_alu instid0(VALU_DEP_1) | instskip(NEXT) | instid1(VALU_DEP_1)
	v_mul_f64_e32 v[42:43], v[44:45], v[25:26]
	v_fma_f64 v[23:24], -v[23:24], v[42:43], v[44:45]
	s_wait_alu 0xfffd
	s_delay_alu instid0(VALU_DEP_1) | instskip(SKIP_2) | instid1(VALU_DEP_3)
	v_div_fmas_f64 v[23:24], v[23:24], v[25:26], v[42:43]
	v_fma_f64 v[25:26], v[21:22], v[11:12], v[19:20]
	v_fma_f64 v[19:20], -v[19:20], v[11:12], v[21:22]
	v_div_fixup_f64 v[13:14], v[23:24], v[13:14], 1.0
	s_delay_alu instid0(VALU_DEP_1) | instskip(NEXT) | instid1(VALU_DEP_3)
	v_mul_f64_e32 v[11:12], v[25:26], v[13:14]
	v_mul_f64_e32 v[13:14], v[19:20], v[13:14]
.LBB213_55:                             ;   in Loop: Header=BB213_48 Depth=2
	s_add_co_i32 s38, s37, -16
	s_add_co_i32 s39, s37, 0xffffff30
	s_wait_alu 0xfffe
	v_mov_b32_e32 v19, s38
	ds_store_b128 v41, v[11:14]
	ds_load_b128 v[23:26], v19
	v_mov_b32_e32 v19, s39
	ds_load_b128 v[19:22], v19
	s_wait_dscnt 0x1
	v_mul_f64_e32 v[42:43], v[13:14], v[25:26]
	v_mul_f64_e32 v[25:26], v[11:12], v[25:26]
	s_wait_dscnt 0x0
	v_cmp_ngt_f64_e64 s38, |v[19:20]|, |v[21:22]|
	s_delay_alu instid0(VALU_DEP_3) | instskip(NEXT) | instid1(VALU_DEP_3)
	v_fma_f64 v[42:43], v[11:12], v[23:24], -v[42:43]
	v_fma_f64 v[25:26], v[13:14], v[23:24], v[25:26]
	s_and_b32 vcc_lo, exec_lo, s38
	s_mov_b32 s38, -1
	s_delay_alu instid0(VALU_DEP_2) | instskip(NEXT) | instid1(VALU_DEP_2)
	v_add_f64_e64 v[23:24], v[15:16], -v[42:43]
	v_add_f64_e64 v[25:26], v[17:18], -v[25:26]
                                        ; implicit-def: $vgpr17_vgpr18
	s_wait_alu 0xfffe
	s_cbranch_vccz .LBB213_57
; %bb.56:                               ;   in Loop: Header=BB213_48 Depth=2
	v_div_scale_f64 v[15:16], null, v[21:22], v[21:22], v[19:20]
	v_div_scale_f64 v[43:44], vcc_lo, v[19:20], v[21:22], v[19:20]
	s_mov_b32 s38, 0
	v_rcp_f64_e32 v[17:18], v[15:16]
	s_delay_alu instid0(TRANS32_DEP_1) | instskip(NEXT) | instid1(VALU_DEP_1)
	v_fma_f64 v[41:42], -v[15:16], v[17:18], 1.0
	v_fma_f64 v[17:18], v[17:18], v[41:42], v[17:18]
	s_delay_alu instid0(VALU_DEP_1) | instskip(NEXT) | instid1(VALU_DEP_1)
	v_fma_f64 v[41:42], -v[15:16], v[17:18], 1.0
	v_fma_f64 v[17:18], v[17:18], v[41:42], v[17:18]
	s_delay_alu instid0(VALU_DEP_1) | instskip(NEXT) | instid1(VALU_DEP_1)
	v_mul_f64_e32 v[41:42], v[43:44], v[17:18]
	v_fma_f64 v[15:16], -v[15:16], v[41:42], v[43:44]
	s_wait_alu 0xfffd
	s_delay_alu instid0(VALU_DEP_1) | instskip(NEXT) | instid1(VALU_DEP_1)
	v_div_fmas_f64 v[15:16], v[15:16], v[17:18], v[41:42]
	v_div_fixup_f64 v[15:16], v[15:16], v[21:22], v[19:20]
	s_delay_alu instid0(VALU_DEP_1) | instskip(NEXT) | instid1(VALU_DEP_1)
	v_fma_f64 v[17:18], v[19:20], v[15:16], v[21:22]
	v_div_scale_f64 v[41:42], null, v[17:18], v[17:18], 1.0
	v_div_scale_f64 v[47:48], vcc_lo, 1.0, v[17:18], 1.0
	s_delay_alu instid0(VALU_DEP_2) | instskip(NEXT) | instid1(TRANS32_DEP_1)
	v_rcp_f64_e32 v[43:44], v[41:42]
	v_fma_f64 v[45:46], -v[41:42], v[43:44], 1.0
	s_delay_alu instid0(VALU_DEP_1) | instskip(NEXT) | instid1(VALU_DEP_1)
	v_fma_f64 v[43:44], v[43:44], v[45:46], v[43:44]
	v_fma_f64 v[45:46], -v[41:42], v[43:44], 1.0
	s_delay_alu instid0(VALU_DEP_1) | instskip(NEXT) | instid1(VALU_DEP_1)
	v_fma_f64 v[43:44], v[43:44], v[45:46], v[43:44]
	v_mul_f64_e32 v[45:46], v[47:48], v[43:44]
	s_delay_alu instid0(VALU_DEP_1) | instskip(SKIP_1) | instid1(VALU_DEP_1)
	v_fma_f64 v[41:42], -v[41:42], v[45:46], v[47:48]
	s_wait_alu 0xfffd
	v_div_fmas_f64 v[41:42], v[41:42], v[43:44], v[45:46]
	v_fma_f64 v[43:44], v[15:16], v[23:24], v[25:26]
	s_delay_alu instid0(VALU_DEP_2) | instskip(SKIP_1) | instid1(VALU_DEP_2)
	v_div_fixup_f64 v[17:18], v[41:42], v[17:18], 1.0
	v_fma_f64 v[41:42], v[15:16], v[25:26], -v[23:24]
	v_mul_f64_e32 v[15:16], v[43:44], v[17:18]
	s_delay_alu instid0(VALU_DEP_2)
	v_mul_f64_e32 v[17:18], v[41:42], v[17:18]
.LBB213_57:                             ;   in Loop: Header=BB213_48 Depth=2
	s_wait_alu 0xfffe
	s_and_not1_b32 vcc_lo, exec_lo, s38
	s_wait_alu 0xfffe
	s_cbranch_vccnz .LBB213_59
; %bb.58:                               ;   in Loop: Header=BB213_48 Depth=2
	v_div_scale_f64 v[15:16], null, v[19:20], v[19:20], v[21:22]
	v_div_scale_f64 v[43:44], vcc_lo, v[21:22], v[19:20], v[21:22]
	s_delay_alu instid0(VALU_DEP_2) | instskip(NEXT) | instid1(TRANS32_DEP_1)
	v_rcp_f64_e32 v[17:18], v[15:16]
	v_fma_f64 v[41:42], -v[15:16], v[17:18], 1.0
	s_delay_alu instid0(VALU_DEP_1) | instskip(NEXT) | instid1(VALU_DEP_1)
	v_fma_f64 v[17:18], v[17:18], v[41:42], v[17:18]
	v_fma_f64 v[41:42], -v[15:16], v[17:18], 1.0
	s_delay_alu instid0(VALU_DEP_1) | instskip(NEXT) | instid1(VALU_DEP_1)
	v_fma_f64 v[17:18], v[17:18], v[41:42], v[17:18]
	v_mul_f64_e32 v[41:42], v[43:44], v[17:18]
	s_delay_alu instid0(VALU_DEP_1) | instskip(SKIP_1) | instid1(VALU_DEP_1)
	v_fma_f64 v[15:16], -v[15:16], v[41:42], v[43:44]
	s_wait_alu 0xfffd
	v_div_fmas_f64 v[15:16], v[15:16], v[17:18], v[41:42]
	s_delay_alu instid0(VALU_DEP_1) | instskip(NEXT) | instid1(VALU_DEP_1)
	v_div_fixup_f64 v[15:16], v[15:16], v[19:20], v[21:22]
	v_fma_f64 v[17:18], v[21:22], v[15:16], v[19:20]
	s_delay_alu instid0(VALU_DEP_1) | instskip(SKIP_1) | instid1(VALU_DEP_2)
	v_div_scale_f64 v[19:20], null, v[17:18], v[17:18], 1.0
	v_div_scale_f64 v[43:44], vcc_lo, 1.0, v[17:18], 1.0
	v_rcp_f64_e32 v[21:22], v[19:20]
	s_delay_alu instid0(TRANS32_DEP_1) | instskip(NEXT) | instid1(VALU_DEP_1)
	v_fma_f64 v[41:42], -v[19:20], v[21:22], 1.0
	v_fma_f64 v[21:22], v[21:22], v[41:42], v[21:22]
	s_delay_alu instid0(VALU_DEP_1) | instskip(NEXT) | instid1(VALU_DEP_1)
	v_fma_f64 v[41:42], -v[19:20], v[21:22], 1.0
	v_fma_f64 v[21:22], v[21:22], v[41:42], v[21:22]
	s_delay_alu instid0(VALU_DEP_1) | instskip(NEXT) | instid1(VALU_DEP_1)
	v_mul_f64_e32 v[41:42], v[43:44], v[21:22]
	v_fma_f64 v[19:20], -v[19:20], v[41:42], v[43:44]
	s_wait_alu 0xfffd
	s_delay_alu instid0(VALU_DEP_1) | instskip(SKIP_1) | instid1(VALU_DEP_2)
	v_div_fmas_f64 v[19:20], v[19:20], v[21:22], v[41:42]
	v_fma_f64 v[21:22], v[15:16], v[25:26], v[23:24]
	v_div_fixup_f64 v[17:18], v[19:20], v[17:18], 1.0
	v_fma_f64 v[19:20], -v[15:16], v[23:24], v[25:26]
	s_delay_alu instid0(VALU_DEP_2) | instskip(NEXT) | instid1(VALU_DEP_2)
	v_mul_f64_e32 v[15:16], v[21:22], v[17:18]
	v_mul_f64_e32 v[17:18], v[19:20], v[17:18]
.LBB213_59:                             ;   in Loop: Header=BB213_48 Depth=2
	s_sub_co_i32 s38, s37, 32
	s_add_co_i32 s40, s21, -2
	s_wait_alu 0xfffe
	v_mov_b32_e32 v19, s38
	s_add_co_i32 s38, s21, -1
	ds_store_b128 v40, v[15:18]
	s_wait_alu 0xfffe
	s_lshl_b32 s41, s38, 4
	s_lshl_b32 s38, s40, 4
	ds_load_b128 v[19:22], v19
	s_sub_co_i32 s40, s39, s41
	s_wait_alu 0xfffe
	s_add_co_i32 s39, s40, s38
	s_wait_alu 0xfffe
	v_mov_b32_e32 v23, s39
	s_add_co_i32 s39, s37, 0xfffffe60
	ds_load_b128 v[23:26], v23
	s_wait_dscnt 0x1
	v_mul_f64_e32 v[41:42], v[13:14], v[21:22]
	v_mul_f64_e32 v[21:22], v[11:12], v[21:22]
	s_wait_dscnt 0x0
	v_mul_f64_e32 v[43:44], v[17:18], v[25:26]
	v_mul_f64_e32 v[25:26], v[15:16], v[25:26]
	s_delay_alu instid0(VALU_DEP_4) | instskip(NEXT) | instid1(VALU_DEP_4)
	v_fma_f64 v[41:42], v[11:12], v[19:20], -v[41:42]
	v_fma_f64 v[19:20], v[13:14], v[19:20], v[21:22]
	s_delay_alu instid0(VALU_DEP_4) | instskip(NEXT) | instid1(VALU_DEP_4)
	v_fma_f64 v[43:44], v[15:16], v[23:24], -v[43:44]
	v_fma_f64 v[25:26], v[17:18], v[23:24], v[25:26]
	s_delay_alu instid0(VALU_DEP_4) | instskip(NEXT) | instid1(VALU_DEP_4)
	v_add_f64_e64 v[7:8], v[7:8], -v[41:42]
	v_add_f64_e64 v[9:10], v[9:10], -v[19:20]
	s_wait_alu 0xfffe
	v_mov_b32_e32 v19, s39
	ds_load_b128 v[19:22], v19
	s_wait_dscnt 0x0
	v_cmp_ngt_f64_e64 s41, |v[19:20]|, |v[21:22]|
	v_add_f64_e64 v[23:24], v[7:8], -v[43:44]
	v_add_f64_e64 v[25:26], v[9:10], -v[25:26]
                                        ; implicit-def: $vgpr9_vgpr10
	s_and_b32 vcc_lo, exec_lo, s41
	s_mov_b32 s41, -1
	s_wait_alu 0xfffe
	s_cbranch_vccz .LBB213_61
; %bb.60:                               ;   in Loop: Header=BB213_48 Depth=2
	v_div_scale_f64 v[7:8], null, v[21:22], v[21:22], v[19:20]
	v_div_scale_f64 v[42:43], vcc_lo, v[19:20], v[21:22], v[19:20]
	s_mov_b32 s41, 0
	v_rcp_f64_e32 v[9:10], v[7:8]
	s_delay_alu instid0(TRANS32_DEP_1) | instskip(NEXT) | instid1(VALU_DEP_1)
	v_fma_f64 v[40:41], -v[7:8], v[9:10], 1.0
	v_fma_f64 v[9:10], v[9:10], v[40:41], v[9:10]
	s_delay_alu instid0(VALU_DEP_1) | instskip(NEXT) | instid1(VALU_DEP_1)
	v_fma_f64 v[40:41], -v[7:8], v[9:10], 1.0
	v_fma_f64 v[9:10], v[9:10], v[40:41], v[9:10]
	s_delay_alu instid0(VALU_DEP_1) | instskip(NEXT) | instid1(VALU_DEP_1)
	v_mul_f64_e32 v[40:41], v[42:43], v[9:10]
	v_fma_f64 v[7:8], -v[7:8], v[40:41], v[42:43]
	s_wait_alu 0xfffd
	s_delay_alu instid0(VALU_DEP_1) | instskip(NEXT) | instid1(VALU_DEP_1)
	v_div_fmas_f64 v[7:8], v[7:8], v[9:10], v[40:41]
	v_div_fixup_f64 v[7:8], v[7:8], v[21:22], v[19:20]
	s_delay_alu instid0(VALU_DEP_1) | instskip(NEXT) | instid1(VALU_DEP_1)
	v_fma_f64 v[9:10], v[19:20], v[7:8], v[21:22]
	v_div_scale_f64 v[40:41], null, v[9:10], v[9:10], 1.0
	v_div_scale_f64 v[46:47], vcc_lo, 1.0, v[9:10], 1.0
	s_delay_alu instid0(VALU_DEP_2) | instskip(NEXT) | instid1(TRANS32_DEP_1)
	v_rcp_f64_e32 v[42:43], v[40:41]
	v_fma_f64 v[44:45], -v[40:41], v[42:43], 1.0
	s_delay_alu instid0(VALU_DEP_1) | instskip(NEXT) | instid1(VALU_DEP_1)
	v_fma_f64 v[42:43], v[42:43], v[44:45], v[42:43]
	v_fma_f64 v[44:45], -v[40:41], v[42:43], 1.0
	s_delay_alu instid0(VALU_DEP_1) | instskip(NEXT) | instid1(VALU_DEP_1)
	v_fma_f64 v[42:43], v[42:43], v[44:45], v[42:43]
	v_mul_f64_e32 v[44:45], v[46:47], v[42:43]
	s_delay_alu instid0(VALU_DEP_1) | instskip(SKIP_1) | instid1(VALU_DEP_1)
	v_fma_f64 v[40:41], -v[40:41], v[44:45], v[46:47]
	s_wait_alu 0xfffd
	v_div_fmas_f64 v[40:41], v[40:41], v[42:43], v[44:45]
	v_fma_f64 v[42:43], v[7:8], v[23:24], v[25:26]
	s_delay_alu instid0(VALU_DEP_2) | instskip(SKIP_1) | instid1(VALU_DEP_2)
	v_div_fixup_f64 v[9:10], v[40:41], v[9:10], 1.0
	v_fma_f64 v[40:41], v[7:8], v[25:26], -v[23:24]
	v_mul_f64_e32 v[7:8], v[42:43], v[9:10]
	s_delay_alu instid0(VALU_DEP_2)
	v_mul_f64_e32 v[9:10], v[40:41], v[9:10]
.LBB213_61:                             ;   in Loop: Header=BB213_48 Depth=2
	s_and_not1_b32 vcc_lo, exec_lo, s41
	s_wait_alu 0xfffe
	s_cbranch_vccnz .LBB213_63
; %bb.62:                               ;   in Loop: Header=BB213_48 Depth=2
	v_div_scale_f64 v[7:8], null, v[19:20], v[19:20], v[21:22]
	v_div_scale_f64 v[42:43], vcc_lo, v[21:22], v[19:20], v[21:22]
	s_delay_alu instid0(VALU_DEP_2) | instskip(NEXT) | instid1(TRANS32_DEP_1)
	v_rcp_f64_e32 v[9:10], v[7:8]
	v_fma_f64 v[40:41], -v[7:8], v[9:10], 1.0
	s_delay_alu instid0(VALU_DEP_1) | instskip(NEXT) | instid1(VALU_DEP_1)
	v_fma_f64 v[9:10], v[9:10], v[40:41], v[9:10]
	v_fma_f64 v[40:41], -v[7:8], v[9:10], 1.0
	s_delay_alu instid0(VALU_DEP_1) | instskip(NEXT) | instid1(VALU_DEP_1)
	v_fma_f64 v[9:10], v[9:10], v[40:41], v[9:10]
	v_mul_f64_e32 v[40:41], v[42:43], v[9:10]
	s_delay_alu instid0(VALU_DEP_1) | instskip(SKIP_1) | instid1(VALU_DEP_1)
	v_fma_f64 v[7:8], -v[7:8], v[40:41], v[42:43]
	s_wait_alu 0xfffd
	v_div_fmas_f64 v[7:8], v[7:8], v[9:10], v[40:41]
	s_delay_alu instid0(VALU_DEP_1) | instskip(NEXT) | instid1(VALU_DEP_1)
	v_div_fixup_f64 v[7:8], v[7:8], v[19:20], v[21:22]
	v_fma_f64 v[9:10], v[21:22], v[7:8], v[19:20]
	s_delay_alu instid0(VALU_DEP_1) | instskip(SKIP_1) | instid1(VALU_DEP_2)
	v_div_scale_f64 v[19:20], null, v[9:10], v[9:10], 1.0
	v_div_scale_f64 v[42:43], vcc_lo, 1.0, v[9:10], 1.0
	v_rcp_f64_e32 v[21:22], v[19:20]
	s_delay_alu instid0(TRANS32_DEP_1) | instskip(NEXT) | instid1(VALU_DEP_1)
	v_fma_f64 v[40:41], -v[19:20], v[21:22], 1.0
	v_fma_f64 v[21:22], v[21:22], v[40:41], v[21:22]
	s_delay_alu instid0(VALU_DEP_1) | instskip(NEXT) | instid1(VALU_DEP_1)
	v_fma_f64 v[40:41], -v[19:20], v[21:22], 1.0
	v_fma_f64 v[21:22], v[21:22], v[40:41], v[21:22]
	s_delay_alu instid0(VALU_DEP_1) | instskip(NEXT) | instid1(VALU_DEP_1)
	v_mul_f64_e32 v[40:41], v[42:43], v[21:22]
	v_fma_f64 v[19:20], -v[19:20], v[40:41], v[42:43]
	s_wait_alu 0xfffd
	s_delay_alu instid0(VALU_DEP_1) | instskip(SKIP_1) | instid1(VALU_DEP_2)
	v_div_fmas_f64 v[19:20], v[19:20], v[21:22], v[40:41]
	v_fma_f64 v[21:22], v[7:8], v[25:26], v[23:24]
	v_div_fixup_f64 v[9:10], v[19:20], v[9:10], 1.0
	v_fma_f64 v[19:20], -v[7:8], v[23:24], v[25:26]
	s_delay_alu instid0(VALU_DEP_2) | instskip(NEXT) | instid1(VALU_DEP_2)
	v_mul_f64_e32 v[7:8], v[21:22], v[9:10]
	v_mul_f64_e32 v[9:10], v[19:20], v[9:10]
.LBB213_63:                             ;   in Loop: Header=BB213_48 Depth=2
	s_sub_co_i32 s37, s37, 48
	s_lshl_b32 s36, s36, 4
	s_wait_alu 0xfffe
	v_mov_b32_e32 v19, s37
	s_add_co_i32 s37, s40, s36
	ds_store_b128 v31, v[7:10]
	s_wait_alu 0xfffe
	v_mov_b32_e32 v23, s37
	s_sub_co_i32 s37, s39, s38
	ds_load_b128 v[19:22], v19
	s_wait_alu 0xfffe
	s_add_co_i32 s36, s37, s36
	ds_load_b128 v[23:26], v23
	s_wait_dscnt 0x1
	v_mul_f64_e32 v[40:41], v[13:14], v[21:22]
	v_mul_f64_e32 v[21:22], v[11:12], v[21:22]
	s_delay_alu instid0(VALU_DEP_2) | instskip(SKIP_2) | instid1(VALU_DEP_3)
	v_fma_f64 v[40:41], v[11:12], v[19:20], -v[40:41]
	s_wait_alu 0xfffe
	v_mov_b32_e32 v11, s36
	v_fma_f64 v[44:45], v[13:14], v[19:20], v[21:22]
	s_add_co_i32 s36, s39, 0xffffff30
	ds_load_b128 v[19:22], v11
	s_wait_dscnt 0x1
	v_mul_f64_e32 v[42:43], v[17:18], v[25:26]
	v_mul_f64_e32 v[25:26], v[15:16], v[25:26]
	s_wait_alu 0xfffe
	v_mov_b32_e32 v11, s36
	ds_load_b128 v[11:14], v11
	s_wait_dscnt 0x1
	v_mul_f64_e32 v[46:47], v[9:10], v[21:22]
	v_mul_f64_e32 v[21:22], v[7:8], v[21:22]
	s_wait_dscnt 0x0
	v_cmp_ngt_f64_e64 s36, |v[11:12]|, |v[13:14]|
	v_add_f64_e64 v[3:4], v[3:4], -v[40:41]
	v_add_f64_e64 v[5:6], v[5:6], -v[44:45]
	v_fma_f64 v[15:16], v[15:16], v[23:24], -v[42:43]
	v_fma_f64 v[17:18], v[17:18], v[23:24], v[25:26]
	v_fma_f64 v[23:24], v[7:8], v[19:20], -v[46:47]
	v_fma_f64 v[19:20], v[9:10], v[19:20], v[21:22]
	s_and_b32 vcc_lo, exec_lo, s36
	s_mov_b32 s36, -1
	s_delay_alu instid0(VALU_DEP_4) | instskip(NEXT) | instid1(VALU_DEP_4)
	v_add_f64_e64 v[3:4], v[3:4], -v[15:16]
	v_add_f64_e64 v[5:6], v[5:6], -v[17:18]
	s_delay_alu instid0(VALU_DEP_2) | instskip(NEXT) | instid1(VALU_DEP_2)
	v_add_f64_e64 v[15:16], v[3:4], -v[23:24]
	v_add_f64_e64 v[17:18], v[5:6], -v[19:20]
                                        ; implicit-def: $vgpr5_vgpr6
	s_wait_alu 0xfffe
	s_cbranch_vccz .LBB213_65
; %bb.64:                               ;   in Loop: Header=BB213_48 Depth=2
	v_div_scale_f64 v[3:4], null, v[13:14], v[13:14], v[11:12]
	v_div_scale_f64 v[9:10], vcc_lo, v[11:12], v[13:14], v[11:12]
	s_mov_b32 s36, 0
	v_rcp_f64_e32 v[5:6], v[3:4]
	s_delay_alu instid0(TRANS32_DEP_1) | instskip(NEXT) | instid1(VALU_DEP_1)
	v_fma_f64 v[7:8], -v[3:4], v[5:6], 1.0
	v_fma_f64 v[5:6], v[5:6], v[7:8], v[5:6]
	s_delay_alu instid0(VALU_DEP_1) | instskip(NEXT) | instid1(VALU_DEP_1)
	v_fma_f64 v[7:8], -v[3:4], v[5:6], 1.0
	v_fma_f64 v[5:6], v[5:6], v[7:8], v[5:6]
	s_delay_alu instid0(VALU_DEP_1) | instskip(NEXT) | instid1(VALU_DEP_1)
	v_mul_f64_e32 v[7:8], v[9:10], v[5:6]
	v_fma_f64 v[3:4], -v[3:4], v[7:8], v[9:10]
	s_wait_alu 0xfffd
	s_delay_alu instid0(VALU_DEP_1) | instskip(NEXT) | instid1(VALU_DEP_1)
	v_div_fmas_f64 v[3:4], v[3:4], v[5:6], v[7:8]
	v_div_fixup_f64 v[3:4], v[3:4], v[13:14], v[11:12]
	s_delay_alu instid0(VALU_DEP_1) | instskip(NEXT) | instid1(VALU_DEP_1)
	v_fma_f64 v[5:6], v[11:12], v[3:4], v[13:14]
	v_div_scale_f64 v[7:8], null, v[5:6], v[5:6], 1.0
	v_div_scale_f64 v[21:22], vcc_lo, 1.0, v[5:6], 1.0
	s_delay_alu instid0(VALU_DEP_2) | instskip(NEXT) | instid1(TRANS32_DEP_1)
	v_rcp_f64_e32 v[9:10], v[7:8]
	v_fma_f64 v[19:20], -v[7:8], v[9:10], 1.0
	s_delay_alu instid0(VALU_DEP_1) | instskip(NEXT) | instid1(VALU_DEP_1)
	v_fma_f64 v[9:10], v[9:10], v[19:20], v[9:10]
	v_fma_f64 v[19:20], -v[7:8], v[9:10], 1.0
	s_delay_alu instid0(VALU_DEP_1) | instskip(NEXT) | instid1(VALU_DEP_1)
	v_fma_f64 v[9:10], v[9:10], v[19:20], v[9:10]
	v_mul_f64_e32 v[19:20], v[21:22], v[9:10]
	s_delay_alu instid0(VALU_DEP_1) | instskip(SKIP_1) | instid1(VALU_DEP_1)
	v_fma_f64 v[7:8], -v[7:8], v[19:20], v[21:22]
	s_wait_alu 0xfffd
	v_div_fmas_f64 v[7:8], v[7:8], v[9:10], v[19:20]
	v_fma_f64 v[9:10], v[3:4], v[15:16], v[17:18]
	s_delay_alu instid0(VALU_DEP_2) | instskip(SKIP_1) | instid1(VALU_DEP_2)
	v_div_fixup_f64 v[5:6], v[7:8], v[5:6], 1.0
	v_fma_f64 v[7:8], v[3:4], v[17:18], -v[15:16]
	v_mul_f64_e32 v[3:4], v[9:10], v[5:6]
	s_delay_alu instid0(VALU_DEP_2)
	v_mul_f64_e32 v[5:6], v[7:8], v[5:6]
.LBB213_65:                             ;   in Loop: Header=BB213_48 Depth=2
	s_wait_alu 0xfffe
	s_and_not1_b32 vcc_lo, exec_lo, s36
	s_wait_alu 0xfffe
	s_cbranch_vccnz .LBB213_67
; %bb.66:                               ;   in Loop: Header=BB213_48 Depth=2
	v_div_scale_f64 v[3:4], null, v[11:12], v[11:12], v[13:14]
	v_div_scale_f64 v[9:10], vcc_lo, v[13:14], v[11:12], v[13:14]
	s_delay_alu instid0(VALU_DEP_2) | instskip(NEXT) | instid1(TRANS32_DEP_1)
	v_rcp_f64_e32 v[5:6], v[3:4]
	v_fma_f64 v[7:8], -v[3:4], v[5:6], 1.0
	s_delay_alu instid0(VALU_DEP_1) | instskip(NEXT) | instid1(VALU_DEP_1)
	v_fma_f64 v[5:6], v[5:6], v[7:8], v[5:6]
	v_fma_f64 v[7:8], -v[3:4], v[5:6], 1.0
	s_delay_alu instid0(VALU_DEP_1) | instskip(NEXT) | instid1(VALU_DEP_1)
	v_fma_f64 v[5:6], v[5:6], v[7:8], v[5:6]
	v_mul_f64_e32 v[7:8], v[9:10], v[5:6]
	s_delay_alu instid0(VALU_DEP_1) | instskip(SKIP_1) | instid1(VALU_DEP_1)
	v_fma_f64 v[3:4], -v[3:4], v[7:8], v[9:10]
	s_wait_alu 0xfffd
	v_div_fmas_f64 v[3:4], v[3:4], v[5:6], v[7:8]
	s_delay_alu instid0(VALU_DEP_1) | instskip(NEXT) | instid1(VALU_DEP_1)
	v_div_fixup_f64 v[3:4], v[3:4], v[11:12], v[13:14]
	v_fma_f64 v[5:6], v[13:14], v[3:4], v[11:12]
	s_delay_alu instid0(VALU_DEP_1) | instskip(SKIP_1) | instid1(VALU_DEP_2)
	v_div_scale_f64 v[7:8], null, v[5:6], v[5:6], 1.0
	v_div_scale_f64 v[13:14], vcc_lo, 1.0, v[5:6], 1.0
	v_rcp_f64_e32 v[9:10], v[7:8]
	s_delay_alu instid0(TRANS32_DEP_1) | instskip(NEXT) | instid1(VALU_DEP_1)
	v_fma_f64 v[11:12], -v[7:8], v[9:10], 1.0
	v_fma_f64 v[9:10], v[9:10], v[11:12], v[9:10]
	s_delay_alu instid0(VALU_DEP_1) | instskip(NEXT) | instid1(VALU_DEP_1)
	v_fma_f64 v[11:12], -v[7:8], v[9:10], 1.0
	v_fma_f64 v[9:10], v[9:10], v[11:12], v[9:10]
	s_delay_alu instid0(VALU_DEP_1) | instskip(NEXT) | instid1(VALU_DEP_1)
	v_mul_f64_e32 v[11:12], v[13:14], v[9:10]
	v_fma_f64 v[7:8], -v[7:8], v[11:12], v[13:14]
	s_wait_alu 0xfffd
	s_delay_alu instid0(VALU_DEP_1) | instskip(SKIP_1) | instid1(VALU_DEP_2)
	v_div_fmas_f64 v[7:8], v[7:8], v[9:10], v[11:12]
	v_fma_f64 v[9:10], v[3:4], v[17:18], v[15:16]
	v_div_fixup_f64 v[5:6], v[7:8], v[5:6], 1.0
	v_fma_f64 v[7:8], -v[3:4], v[15:16], v[17:18]
	s_delay_alu instid0(VALU_DEP_2) | instskip(NEXT) | instid1(VALU_DEP_2)
	v_mul_f64_e32 v[3:4], v[9:10], v[5:6]
	v_mul_f64_e32 v[5:6], v[7:8], v[5:6]
.LBB213_67:                             ;   in Loop: Header=BB213_48 Depth=2
	s_add_co_i32 s36, s21, -4
	s_sub_co_i32 s20, s20, 64
	s_cmp_lt_i32 s21, 7
	ds_store_b128 v30, v[3:6]
	s_cbranch_scc1 .LBB213_69
; %bb.68:                               ;   in Loop: Header=BB213_48 Depth=2
	s_wait_alu 0xfffe
	s_mov_b32 s21, s36
	s_branch .LBB213_48
.LBB213_69:                             ;   in Loop: Header=BB213_3 Depth=1
	s_wait_alu 0xfffe
	s_cmp_lt_i32 s36, 0
	s_cbranch_scc1 .LBB213_78
; %bb.70:                               ;   in Loop: Header=BB213_3 Depth=1
	s_lshl_b32 s20, s36, 4
	s_wait_alu 0xfffe
	s_add_co_i32 s20, s33, s20
	s_branch .LBB213_72
.LBB213_71:                             ;   in Loop: Header=BB213_72 Depth=2
	s_add_co_i32 s21, s36, -1
	s_add_co_i32 s20, s20, -16
	s_cmp_lt_i32 s36, 1
	s_wait_alu 0xfffe
	s_mov_b32 s36, s21
	ds_store_b128 v15, v[11:14]
	s_cbranch_scc1 .LBB213_78
.LBB213_72:                             ;   Parent Loop BB213_3 Depth=1
                                        ; =>  This Loop Header: Depth=2
                                        ;       Child Loop BB213_73 Depth 3
	s_wait_alu 0xfffe
	s_mul_i32 s21, s36, 0xc0
	v_mov_b32_e32 v7, v38
	s_wait_alu 0xfffe
	v_add_nc_u32_e32 v15, s21, v27
	s_cmp_le_i32 s27, s36
	s_mov_b32 s37, s20
	s_mov_b32 s38, s27
	ds_load_b128 v[3:6], v15
	s_cbranch_scc1 .LBB213_74
.LBB213_73:                             ;   Parent Loop BB213_3 Depth=1
                                        ;     Parent Loop BB213_72 Depth=2
                                        ; =>    This Inner Loop Header: Depth=3
	s_wait_alu 0xfffe
	v_mov_b32_e32 v12, s37
	s_add_co_i32 s38, s38, -1
	s_addk_co_i32 s37, 0xff40
	s_wait_alu 0xfffe
	s_cmp_le_i32 s38, s36
	ds_load_b128 v[8:11], v7
	ds_load_b128 v[16:19], v12
	v_add_nc_u32_e32 v7, 0xffffff40, v7
	s_wait_dscnt 0x0
	v_mul_f64_e32 v[12:13], v[18:19], v[10:11]
	v_mul_f64_e32 v[10:11], v[16:17], v[10:11]
	s_delay_alu instid0(VALU_DEP_2) | instskip(NEXT) | instid1(VALU_DEP_2)
	v_fma_f64 v[12:13], v[16:17], v[8:9], -v[12:13]
	v_fma_f64 v[8:9], v[18:19], v[8:9], v[10:11]
	s_delay_alu instid0(VALU_DEP_2) | instskip(NEXT) | instid1(VALU_DEP_2)
	v_add_f64_e64 v[3:4], v[3:4], -v[12:13]
	v_add_f64_e64 v[5:6], v[5:6], -v[8:9]
	s_cbranch_scc0 .LBB213_73
.LBB213_74:                             ;   in Loop: Header=BB213_72 Depth=2
	s_lshl_b32 s37, s36, 4
                                        ; implicit-def: $vgpr11_vgpr12
	s_wait_alu 0xfffe
	s_add_co_i32 s21, s37, s21
	s_wait_alu 0xfffe
	v_mov_b32_e32 v7, s21
	ds_load_b128 v[7:10], v7
	s_wait_dscnt 0x0
	v_cmp_ngt_f64_e64 s21, |v[7:8]|, |v[9:10]|
	s_and_b32 vcc_lo, exec_lo, s21
	s_mov_b32 s21, -1
	s_wait_alu 0xfffe
	s_cbranch_vccz .LBB213_76
; %bb.75:                               ;   in Loop: Header=BB213_72 Depth=2
	v_div_scale_f64 v[11:12], null, v[9:10], v[9:10], v[7:8]
	v_div_scale_f64 v[18:19], vcc_lo, v[7:8], v[9:10], v[7:8]
	s_mov_b32 s21, 0
	v_rcp_f64_e32 v[13:14], v[11:12]
	s_delay_alu instid0(TRANS32_DEP_1) | instskip(NEXT) | instid1(VALU_DEP_1)
	v_fma_f64 v[16:17], -v[11:12], v[13:14], 1.0
	v_fma_f64 v[13:14], v[13:14], v[16:17], v[13:14]
	s_delay_alu instid0(VALU_DEP_1) | instskip(NEXT) | instid1(VALU_DEP_1)
	v_fma_f64 v[16:17], -v[11:12], v[13:14], 1.0
	v_fma_f64 v[13:14], v[13:14], v[16:17], v[13:14]
	s_delay_alu instid0(VALU_DEP_1) | instskip(NEXT) | instid1(VALU_DEP_1)
	v_mul_f64_e32 v[16:17], v[18:19], v[13:14]
	v_fma_f64 v[11:12], -v[11:12], v[16:17], v[18:19]
	s_wait_alu 0xfffd
	s_delay_alu instid0(VALU_DEP_1) | instskip(NEXT) | instid1(VALU_DEP_1)
	v_div_fmas_f64 v[11:12], v[11:12], v[13:14], v[16:17]
	v_div_fixup_f64 v[11:12], v[11:12], v[9:10], v[7:8]
	s_delay_alu instid0(VALU_DEP_1) | instskip(NEXT) | instid1(VALU_DEP_1)
	v_fma_f64 v[13:14], v[7:8], v[11:12], v[9:10]
	v_div_scale_f64 v[16:17], null, v[13:14], v[13:14], 1.0
	v_div_scale_f64 v[22:23], vcc_lo, 1.0, v[13:14], 1.0
	s_delay_alu instid0(VALU_DEP_2) | instskip(NEXT) | instid1(TRANS32_DEP_1)
	v_rcp_f64_e32 v[18:19], v[16:17]
	v_fma_f64 v[20:21], -v[16:17], v[18:19], 1.0
	s_delay_alu instid0(VALU_DEP_1) | instskip(NEXT) | instid1(VALU_DEP_1)
	v_fma_f64 v[18:19], v[18:19], v[20:21], v[18:19]
	v_fma_f64 v[20:21], -v[16:17], v[18:19], 1.0
	s_delay_alu instid0(VALU_DEP_1) | instskip(NEXT) | instid1(VALU_DEP_1)
	v_fma_f64 v[18:19], v[18:19], v[20:21], v[18:19]
	v_mul_f64_e32 v[20:21], v[22:23], v[18:19]
	s_delay_alu instid0(VALU_DEP_1) | instskip(SKIP_1) | instid1(VALU_DEP_1)
	v_fma_f64 v[16:17], -v[16:17], v[20:21], v[22:23]
	s_wait_alu 0xfffd
	v_div_fmas_f64 v[16:17], v[16:17], v[18:19], v[20:21]
	v_fma_f64 v[18:19], v[3:4], v[11:12], v[5:6]
	s_delay_alu instid0(VALU_DEP_2) | instskip(SKIP_1) | instid1(VALU_DEP_2)
	v_div_fixup_f64 v[13:14], v[16:17], v[13:14], 1.0
	v_fma_f64 v[16:17], v[5:6], v[11:12], -v[3:4]
	v_mul_f64_e32 v[11:12], v[18:19], v[13:14]
	s_delay_alu instid0(VALU_DEP_2)
	v_mul_f64_e32 v[13:14], v[16:17], v[13:14]
.LBB213_76:                             ;   in Loop: Header=BB213_72 Depth=2
	s_wait_alu 0xfffe
	s_and_not1_b32 vcc_lo, exec_lo, s21
	s_wait_alu 0xfffe
	s_cbranch_vccnz .LBB213_71
; %bb.77:                               ;   in Loop: Header=BB213_72 Depth=2
	v_div_scale_f64 v[11:12], null, v[7:8], v[7:8], v[9:10]
	v_div_scale_f64 v[18:19], vcc_lo, v[9:10], v[7:8], v[9:10]
	s_delay_alu instid0(VALU_DEP_2) | instskip(NEXT) | instid1(TRANS32_DEP_1)
	v_rcp_f64_e32 v[13:14], v[11:12]
	v_fma_f64 v[16:17], -v[11:12], v[13:14], 1.0
	s_delay_alu instid0(VALU_DEP_1) | instskip(NEXT) | instid1(VALU_DEP_1)
	v_fma_f64 v[13:14], v[13:14], v[16:17], v[13:14]
	v_fma_f64 v[16:17], -v[11:12], v[13:14], 1.0
	s_delay_alu instid0(VALU_DEP_1) | instskip(NEXT) | instid1(VALU_DEP_1)
	v_fma_f64 v[13:14], v[13:14], v[16:17], v[13:14]
	v_mul_f64_e32 v[16:17], v[18:19], v[13:14]
	s_delay_alu instid0(VALU_DEP_1) | instskip(SKIP_1) | instid1(VALU_DEP_1)
	v_fma_f64 v[11:12], -v[11:12], v[16:17], v[18:19]
	s_wait_alu 0xfffd
	v_div_fmas_f64 v[11:12], v[11:12], v[13:14], v[16:17]
	s_delay_alu instid0(VALU_DEP_1) | instskip(NEXT) | instid1(VALU_DEP_1)
	v_div_fixup_f64 v[11:12], v[11:12], v[7:8], v[9:10]
	v_fma_f64 v[7:8], v[9:10], v[11:12], v[7:8]
	s_delay_alu instid0(VALU_DEP_1) | instskip(SKIP_1) | instid1(VALU_DEP_2)
	v_div_scale_f64 v[9:10], null, v[7:8], v[7:8], 1.0
	v_div_scale_f64 v[18:19], vcc_lo, 1.0, v[7:8], 1.0
	v_rcp_f64_e32 v[13:14], v[9:10]
	s_delay_alu instid0(TRANS32_DEP_1) | instskip(NEXT) | instid1(VALU_DEP_1)
	v_fma_f64 v[16:17], -v[9:10], v[13:14], 1.0
	v_fma_f64 v[13:14], v[13:14], v[16:17], v[13:14]
	s_delay_alu instid0(VALU_DEP_1) | instskip(NEXT) | instid1(VALU_DEP_1)
	v_fma_f64 v[16:17], -v[9:10], v[13:14], 1.0
	v_fma_f64 v[13:14], v[13:14], v[16:17], v[13:14]
	s_delay_alu instid0(VALU_DEP_1) | instskip(NEXT) | instid1(VALU_DEP_1)
	v_mul_f64_e32 v[16:17], v[18:19], v[13:14]
	v_fma_f64 v[9:10], -v[9:10], v[16:17], v[18:19]
	s_wait_alu 0xfffd
	s_delay_alu instid0(VALU_DEP_1) | instskip(SKIP_2) | instid1(VALU_DEP_3)
	v_div_fmas_f64 v[9:10], v[9:10], v[13:14], v[16:17]
	v_fma_f64 v[13:14], v[5:6], v[11:12], v[3:4]
	v_fma_f64 v[3:4], -v[3:4], v[11:12], v[5:6]
	v_div_fixup_f64 v[7:8], v[9:10], v[7:8], 1.0
	s_delay_alu instid0(VALU_DEP_1) | instskip(NEXT) | instid1(VALU_DEP_3)
	v_mul_f64_e32 v[11:12], v[13:14], v[7:8]
	v_mul_f64_e32 v[13:14], v[3:4], v[7:8]
	s_branch .LBB213_71
.LBB213_78:                             ;   in Loop: Header=BB213_3 Depth=1
	s_mov_b32 s20, 0
.LBB213_79:                             ;   in Loop: Header=BB213_3 Depth=1
	s_wait_alu 0xfffe
	s_and_not1_b32 vcc_lo, exec_lo, s20
	s_wait_alu 0xfffe
	s_cbranch_vccnz .LBB213_110
; %bb.80:                               ;   in Loop: Header=BB213_3 Depth=1
	s_mov_b32 s36, s27
	s_and_not1_b32 vcc_lo, exec_lo, s22
	s_mov_b32 s20, s34
	s_mov_b32 s21, s27
	s_wait_alu 0xfffe
	s_cbranch_vccnz .LBB213_101
.LBB213_81:                             ;   Parent Loop BB213_3 Depth=1
                                        ; =>  This Loop Header: Depth=2
                                        ;       Child Loop BB213_82 Depth 3
	s_wait_alu 0xfffe
	s_mul_i32 s36, s21, 12
	s_cmp_le_i32 s27, s21
	s_wait_alu 0xfffe
	v_lshl_add_u32 v41, s36, 4, v27
	s_mov_b32 s37, s20
	s_mov_b32 s38, s27
	s_delay_alu instid0(VALU_DEP_1)
	v_dual_mov_b32 v11, v38 :: v_dual_add_nc_u32 v40, 0xffffff40, v41
	v_add_nc_u32_e32 v31, 0xfffffe80, v41
	v_add_nc_u32_e32 v30, 0xfffffdc0, v41
	ds_load_b128 v[19:22], v41
	ds_load_b128 v[15:18], v40
	;; [unrolled: 1-line block ×4, first 2 shown]
	s_cbranch_scc1 .LBB213_83
.LBB213_82:                             ;   Parent Loop BB213_3 Depth=1
                                        ;     Parent Loop BB213_81 Depth=2
                                        ; =>    This Inner Loop Header: Depth=3
	s_wait_alu 0xfffe
	v_mov_b32_e32 v12, s37
	s_add_co_i32 s38, s38, -1
	s_add_co_i32 s37, s37, -16
	s_wait_alu 0xfffe
	s_cmp_le_i32 s38, s21
	ds_load_b128 v[23:26], v11
	ds_load_b128 v[42:45], v12 offset:576
	ds_load_b128 v[46:49], v12 offset:384
	;; [unrolled: 1-line block ×3, first 2 shown]
	ds_load_b128 v[54:57], v12
	v_add_nc_u32_e32 v11, 0xffffff40, v11
	s_wait_dscnt 0x3
	v_mul_f64_e32 v[12:13], v[25:26], v[44:45]
	v_mul_f64_e32 v[44:45], v[23:24], v[44:45]
	s_wait_dscnt 0x2
	v_mul_f64_e32 v[58:59], v[25:26], v[48:49]
	v_mul_f64_e32 v[48:49], v[23:24], v[48:49]
	;; [unrolled: 3-line block ×4, first 2 shown]
	v_fma_f64 v[12:13], v[23:24], v[42:43], -v[12:13]
	v_fma_f64 v[42:43], v[25:26], v[42:43], v[44:45]
	v_fma_f64 v[44:45], v[23:24], v[46:47], -v[58:59]
	v_fma_f64 v[46:47], v[25:26], v[46:47], v[48:49]
	;; [unrolled: 2-line block ×4, first 2 shown]
	v_add_f64_e64 v[19:20], v[19:20], -v[12:13]
	v_add_f64_e64 v[21:22], v[21:22], -v[42:43]
	;; [unrolled: 1-line block ×8, first 2 shown]
	s_cbranch_scc0 .LBB213_82
.LBB213_83:                             ;   in Loop: Header=BB213_81 Depth=2
	s_mul_i32 s37, s21, 0xd0
	s_wait_alu 0xfffe
	v_mov_b32_e32 v11, s37
	ds_load_b128 v[23:26], v11
                                        ; implicit-def: $vgpr13_vgpr14
	s_wait_dscnt 0x0
	v_cmp_ngt_f64_e64 s37, |v[23:24]|, |v[25:26]|
	s_and_b32 vcc_lo, exec_lo, s37
	s_mov_b32 s37, -1
	s_wait_alu 0xfffe
	s_cbranch_vccz .LBB213_85
; %bb.84:                               ;   in Loop: Header=BB213_81 Depth=2
	v_div_scale_f64 v[11:12], null, v[25:26], v[25:26], v[23:24]
	v_div_scale_f64 v[44:45], vcc_lo, v[23:24], v[25:26], v[23:24]
	s_mov_b32 s37, 0
	v_rcp_f64_e32 v[13:14], v[11:12]
	s_delay_alu instid0(TRANS32_DEP_1) | instskip(NEXT) | instid1(VALU_DEP_1)
	v_fma_f64 v[42:43], -v[11:12], v[13:14], 1.0
	v_fma_f64 v[13:14], v[13:14], v[42:43], v[13:14]
	s_delay_alu instid0(VALU_DEP_1) | instskip(NEXT) | instid1(VALU_DEP_1)
	v_fma_f64 v[42:43], -v[11:12], v[13:14], 1.0
	v_fma_f64 v[13:14], v[13:14], v[42:43], v[13:14]
	s_delay_alu instid0(VALU_DEP_1) | instskip(NEXT) | instid1(VALU_DEP_1)
	v_mul_f64_e32 v[42:43], v[44:45], v[13:14]
	v_fma_f64 v[11:12], -v[11:12], v[42:43], v[44:45]
	s_wait_alu 0xfffd
	s_delay_alu instid0(VALU_DEP_1) | instskip(NEXT) | instid1(VALU_DEP_1)
	v_div_fmas_f64 v[11:12], v[11:12], v[13:14], v[42:43]
	v_div_fixup_f64 v[11:12], v[11:12], v[25:26], v[23:24]
	s_delay_alu instid0(VALU_DEP_1) | instskip(NEXT) | instid1(VALU_DEP_1)
	v_fma_f64 v[13:14], v[23:24], v[11:12], v[25:26]
	v_div_scale_f64 v[42:43], null, v[13:14], v[13:14], 1.0
	v_div_scale_f64 v[48:49], vcc_lo, 1.0, v[13:14], 1.0
	s_delay_alu instid0(VALU_DEP_2) | instskip(NEXT) | instid1(TRANS32_DEP_1)
	v_rcp_f64_e32 v[44:45], v[42:43]
	v_fma_f64 v[46:47], -v[42:43], v[44:45], 1.0
	s_delay_alu instid0(VALU_DEP_1) | instskip(NEXT) | instid1(VALU_DEP_1)
	v_fma_f64 v[44:45], v[44:45], v[46:47], v[44:45]
	v_fma_f64 v[46:47], -v[42:43], v[44:45], 1.0
	s_delay_alu instid0(VALU_DEP_1) | instskip(NEXT) | instid1(VALU_DEP_1)
	v_fma_f64 v[44:45], v[44:45], v[46:47], v[44:45]
	v_mul_f64_e32 v[46:47], v[48:49], v[44:45]
	s_delay_alu instid0(VALU_DEP_1) | instskip(SKIP_1) | instid1(VALU_DEP_1)
	v_fma_f64 v[42:43], -v[42:43], v[46:47], v[48:49]
	s_wait_alu 0xfffd
	v_div_fmas_f64 v[42:43], v[42:43], v[44:45], v[46:47]
	v_fma_f64 v[44:45], v[19:20], v[11:12], v[21:22]
	s_delay_alu instid0(VALU_DEP_2) | instskip(SKIP_1) | instid1(VALU_DEP_2)
	v_div_fixup_f64 v[13:14], v[42:43], v[13:14], 1.0
	v_fma_f64 v[42:43], v[21:22], v[11:12], -v[19:20]
	v_mul_f64_e32 v[11:12], v[44:45], v[13:14]
	s_delay_alu instid0(VALU_DEP_2)
	v_mul_f64_e32 v[13:14], v[42:43], v[13:14]
.LBB213_85:                             ;   in Loop: Header=BB213_81 Depth=2
	s_wait_alu 0xfffe
	s_and_not1_b32 vcc_lo, exec_lo, s37
	s_wait_alu 0xfffe
	s_cbranch_vccnz .LBB213_87
; %bb.86:                               ;   in Loop: Header=BB213_81 Depth=2
	v_div_scale_f64 v[11:12], null, v[23:24], v[23:24], v[25:26]
	v_div_scale_f64 v[44:45], vcc_lo, v[25:26], v[23:24], v[25:26]
	s_delay_alu instid0(VALU_DEP_2) | instskip(NEXT) | instid1(TRANS32_DEP_1)
	v_rcp_f64_e32 v[13:14], v[11:12]
	v_fma_f64 v[42:43], -v[11:12], v[13:14], 1.0
	s_delay_alu instid0(VALU_DEP_1) | instskip(NEXT) | instid1(VALU_DEP_1)
	v_fma_f64 v[13:14], v[13:14], v[42:43], v[13:14]
	v_fma_f64 v[42:43], -v[11:12], v[13:14], 1.0
	s_delay_alu instid0(VALU_DEP_1) | instskip(NEXT) | instid1(VALU_DEP_1)
	v_fma_f64 v[13:14], v[13:14], v[42:43], v[13:14]
	v_mul_f64_e32 v[42:43], v[44:45], v[13:14]
	s_delay_alu instid0(VALU_DEP_1) | instskip(SKIP_1) | instid1(VALU_DEP_1)
	v_fma_f64 v[11:12], -v[11:12], v[42:43], v[44:45]
	s_wait_alu 0xfffd
	v_div_fmas_f64 v[11:12], v[11:12], v[13:14], v[42:43]
	s_delay_alu instid0(VALU_DEP_1) | instskip(NEXT) | instid1(VALU_DEP_1)
	v_div_fixup_f64 v[11:12], v[11:12], v[23:24], v[25:26]
	v_fma_f64 v[13:14], v[25:26], v[11:12], v[23:24]
	s_delay_alu instid0(VALU_DEP_1) | instskip(SKIP_1) | instid1(VALU_DEP_2)
	v_div_scale_f64 v[23:24], null, v[13:14], v[13:14], 1.0
	v_div_scale_f64 v[44:45], vcc_lo, 1.0, v[13:14], 1.0
	v_rcp_f64_e32 v[25:26], v[23:24]
	s_delay_alu instid0(TRANS32_DEP_1) | instskip(NEXT) | instid1(VALU_DEP_1)
	v_fma_f64 v[42:43], -v[23:24], v[25:26], 1.0
	v_fma_f64 v[25:26], v[25:26], v[42:43], v[25:26]
	s_delay_alu instid0(VALU_DEP_1) | instskip(NEXT) | instid1(VALU_DEP_1)
	v_fma_f64 v[42:43], -v[23:24], v[25:26], 1.0
	v_fma_f64 v[25:26], v[25:26], v[42:43], v[25:26]
	s_delay_alu instid0(VALU_DEP_1) | instskip(NEXT) | instid1(VALU_DEP_1)
	v_mul_f64_e32 v[42:43], v[44:45], v[25:26]
	v_fma_f64 v[23:24], -v[23:24], v[42:43], v[44:45]
	s_wait_alu 0xfffd
	s_delay_alu instid0(VALU_DEP_1) | instskip(SKIP_2) | instid1(VALU_DEP_3)
	v_div_fmas_f64 v[23:24], v[23:24], v[25:26], v[42:43]
	v_fma_f64 v[25:26], v[21:22], v[11:12], v[19:20]
	v_fma_f64 v[19:20], -v[19:20], v[11:12], v[21:22]
	v_div_fixup_f64 v[13:14], v[23:24], v[13:14], 1.0
	s_delay_alu instid0(VALU_DEP_1) | instskip(NEXT) | instid1(VALU_DEP_3)
	v_mul_f64_e32 v[11:12], v[25:26], v[13:14]
	v_mul_f64_e32 v[13:14], v[19:20], v[13:14]
.LBB213_87:                             ;   in Loop: Header=BB213_81 Depth=2
	s_lshl_b32 s37, s36, 4
	s_lshl_b32 s36, s21, 4
	s_wait_alu 0xfffe
	s_addk_co_i32 s37, 0xff40
	ds_store_b128 v41, v[11:14]
	s_wait_alu 0xfffe
	s_add_co_i32 s38, s37, s36
	s_wait_alu 0xfffe
	v_mov_b32_e32 v19, s38
	s_add_co_i32 s38, s38, -16
	ds_load_b128 v[23:26], v19
	s_wait_alu 0xfffe
	v_mov_b32_e32 v19, s38
	ds_load_b128 v[19:22], v19
	s_wait_dscnt 0x1
	v_mul_f64_e32 v[42:43], v[13:14], v[25:26]
	v_mul_f64_e32 v[25:26], v[11:12], v[25:26]
	s_wait_dscnt 0x0
	v_cmp_ngt_f64_e64 s38, |v[19:20]|, |v[21:22]|
	s_delay_alu instid0(VALU_DEP_3) | instskip(NEXT) | instid1(VALU_DEP_3)
	v_fma_f64 v[42:43], v[11:12], v[23:24], -v[42:43]
	v_fma_f64 v[25:26], v[13:14], v[23:24], v[25:26]
	s_and_b32 vcc_lo, exec_lo, s38
	s_mov_b32 s38, -1
	s_delay_alu instid0(VALU_DEP_2) | instskip(NEXT) | instid1(VALU_DEP_2)
	v_add_f64_e64 v[23:24], v[15:16], -v[42:43]
	v_add_f64_e64 v[25:26], v[17:18], -v[25:26]
                                        ; implicit-def: $vgpr17_vgpr18
	s_wait_alu 0xfffe
	s_cbranch_vccz .LBB213_89
; %bb.88:                               ;   in Loop: Header=BB213_81 Depth=2
	v_div_scale_f64 v[15:16], null, v[21:22], v[21:22], v[19:20]
	v_div_scale_f64 v[43:44], vcc_lo, v[19:20], v[21:22], v[19:20]
	s_mov_b32 s38, 0
	v_rcp_f64_e32 v[17:18], v[15:16]
	s_delay_alu instid0(TRANS32_DEP_1) | instskip(NEXT) | instid1(VALU_DEP_1)
	v_fma_f64 v[41:42], -v[15:16], v[17:18], 1.0
	v_fma_f64 v[17:18], v[17:18], v[41:42], v[17:18]
	s_delay_alu instid0(VALU_DEP_1) | instskip(NEXT) | instid1(VALU_DEP_1)
	v_fma_f64 v[41:42], -v[15:16], v[17:18], 1.0
	v_fma_f64 v[17:18], v[17:18], v[41:42], v[17:18]
	s_delay_alu instid0(VALU_DEP_1) | instskip(NEXT) | instid1(VALU_DEP_1)
	v_mul_f64_e32 v[41:42], v[43:44], v[17:18]
	v_fma_f64 v[15:16], -v[15:16], v[41:42], v[43:44]
	s_wait_alu 0xfffd
	s_delay_alu instid0(VALU_DEP_1) | instskip(NEXT) | instid1(VALU_DEP_1)
	v_div_fmas_f64 v[15:16], v[15:16], v[17:18], v[41:42]
	v_div_fixup_f64 v[15:16], v[15:16], v[21:22], v[19:20]
	s_delay_alu instid0(VALU_DEP_1) | instskip(NEXT) | instid1(VALU_DEP_1)
	v_fma_f64 v[17:18], v[19:20], v[15:16], v[21:22]
	v_div_scale_f64 v[41:42], null, v[17:18], v[17:18], 1.0
	v_div_scale_f64 v[47:48], vcc_lo, 1.0, v[17:18], 1.0
	s_delay_alu instid0(VALU_DEP_2) | instskip(NEXT) | instid1(TRANS32_DEP_1)
	v_rcp_f64_e32 v[43:44], v[41:42]
	v_fma_f64 v[45:46], -v[41:42], v[43:44], 1.0
	s_delay_alu instid0(VALU_DEP_1) | instskip(NEXT) | instid1(VALU_DEP_1)
	v_fma_f64 v[43:44], v[43:44], v[45:46], v[43:44]
	v_fma_f64 v[45:46], -v[41:42], v[43:44], 1.0
	s_delay_alu instid0(VALU_DEP_1) | instskip(NEXT) | instid1(VALU_DEP_1)
	v_fma_f64 v[43:44], v[43:44], v[45:46], v[43:44]
	v_mul_f64_e32 v[45:46], v[47:48], v[43:44]
	s_delay_alu instid0(VALU_DEP_1) | instskip(SKIP_1) | instid1(VALU_DEP_1)
	v_fma_f64 v[41:42], -v[41:42], v[45:46], v[47:48]
	s_wait_alu 0xfffd
	v_div_fmas_f64 v[41:42], v[41:42], v[43:44], v[45:46]
	v_fma_f64 v[43:44], v[15:16], v[23:24], v[25:26]
	s_delay_alu instid0(VALU_DEP_2) | instskip(SKIP_1) | instid1(VALU_DEP_2)
	v_div_fixup_f64 v[17:18], v[41:42], v[17:18], 1.0
	v_fma_f64 v[41:42], v[15:16], v[25:26], -v[23:24]
	v_mul_f64_e32 v[15:16], v[43:44], v[17:18]
	s_delay_alu instid0(VALU_DEP_2)
	v_mul_f64_e32 v[17:18], v[41:42], v[17:18]
.LBB213_89:                             ;   in Loop: Header=BB213_81 Depth=2
	s_wait_alu 0xfffe
	s_and_not1_b32 vcc_lo, exec_lo, s38
	s_wait_alu 0xfffe
	s_cbranch_vccnz .LBB213_91
; %bb.90:                               ;   in Loop: Header=BB213_81 Depth=2
	v_div_scale_f64 v[15:16], null, v[19:20], v[19:20], v[21:22]
	v_div_scale_f64 v[43:44], vcc_lo, v[21:22], v[19:20], v[21:22]
	s_delay_alu instid0(VALU_DEP_2) | instskip(NEXT) | instid1(TRANS32_DEP_1)
	v_rcp_f64_e32 v[17:18], v[15:16]
	v_fma_f64 v[41:42], -v[15:16], v[17:18], 1.0
	s_delay_alu instid0(VALU_DEP_1) | instskip(NEXT) | instid1(VALU_DEP_1)
	v_fma_f64 v[17:18], v[17:18], v[41:42], v[17:18]
	v_fma_f64 v[41:42], -v[15:16], v[17:18], 1.0
	s_delay_alu instid0(VALU_DEP_1) | instskip(NEXT) | instid1(VALU_DEP_1)
	v_fma_f64 v[17:18], v[17:18], v[41:42], v[17:18]
	v_mul_f64_e32 v[41:42], v[43:44], v[17:18]
	s_delay_alu instid0(VALU_DEP_1) | instskip(SKIP_1) | instid1(VALU_DEP_1)
	v_fma_f64 v[15:16], -v[15:16], v[41:42], v[43:44]
	s_wait_alu 0xfffd
	v_div_fmas_f64 v[15:16], v[15:16], v[17:18], v[41:42]
	s_delay_alu instid0(VALU_DEP_1) | instskip(NEXT) | instid1(VALU_DEP_1)
	v_div_fixup_f64 v[15:16], v[15:16], v[19:20], v[21:22]
	v_fma_f64 v[17:18], v[21:22], v[15:16], v[19:20]
	s_delay_alu instid0(VALU_DEP_1) | instskip(SKIP_1) | instid1(VALU_DEP_2)
	v_div_scale_f64 v[19:20], null, v[17:18], v[17:18], 1.0
	v_div_scale_f64 v[43:44], vcc_lo, 1.0, v[17:18], 1.0
	v_rcp_f64_e32 v[21:22], v[19:20]
	s_delay_alu instid0(TRANS32_DEP_1) | instskip(NEXT) | instid1(VALU_DEP_1)
	v_fma_f64 v[41:42], -v[19:20], v[21:22], 1.0
	v_fma_f64 v[21:22], v[21:22], v[41:42], v[21:22]
	s_delay_alu instid0(VALU_DEP_1) | instskip(NEXT) | instid1(VALU_DEP_1)
	v_fma_f64 v[41:42], -v[19:20], v[21:22], 1.0
	v_fma_f64 v[21:22], v[21:22], v[41:42], v[21:22]
	s_delay_alu instid0(VALU_DEP_1) | instskip(NEXT) | instid1(VALU_DEP_1)
	v_mul_f64_e32 v[41:42], v[43:44], v[21:22]
	v_fma_f64 v[19:20], -v[19:20], v[41:42], v[43:44]
	s_wait_alu 0xfffd
	s_delay_alu instid0(VALU_DEP_1) | instskip(SKIP_1) | instid1(VALU_DEP_2)
	v_div_fmas_f64 v[19:20], v[19:20], v[21:22], v[41:42]
	v_fma_f64 v[21:22], v[15:16], v[25:26], v[23:24]
	v_div_fixup_f64 v[17:18], v[19:20], v[17:18], 1.0
	v_fma_f64 v[19:20], -v[15:16], v[23:24], v[25:26]
	s_delay_alu instid0(VALU_DEP_2) | instskip(NEXT) | instid1(VALU_DEP_2)
	v_mul_f64_e32 v[15:16], v[21:22], v[17:18]
	v_mul_f64_e32 v[17:18], v[19:20], v[17:18]
.LBB213_91:                             ;   in Loop: Header=BB213_81 Depth=2
	s_addk_co_i32 s37, 0xff40
	ds_store_b128 v40, v[15:18]
	s_wait_alu 0xfffe
	s_add_co_i32 s36, s37, s36
	s_wait_alu 0xfffe
	v_mov_b32_e32 v19, s36
	s_add_co_i32 s37, s36, -16
	s_wait_alu 0xfffe
	v_mov_b32_e32 v23, s37
	s_sub_co_i32 s37, s36, 32
	ds_load_b128 v[19:22], v19
	ds_load_b128 v[23:26], v23
	s_wait_dscnt 0x1
	v_mul_f64_e32 v[41:42], v[13:14], v[21:22]
	v_mul_f64_e32 v[21:22], v[11:12], v[21:22]
	s_wait_dscnt 0x0
	v_mul_f64_e32 v[43:44], v[17:18], v[25:26]
	v_mul_f64_e32 v[25:26], v[15:16], v[25:26]
	s_delay_alu instid0(VALU_DEP_4) | instskip(NEXT) | instid1(VALU_DEP_4)
	v_fma_f64 v[41:42], v[11:12], v[19:20], -v[41:42]
	v_fma_f64 v[19:20], v[13:14], v[19:20], v[21:22]
	s_delay_alu instid0(VALU_DEP_4) | instskip(NEXT) | instid1(VALU_DEP_4)
	v_fma_f64 v[43:44], v[15:16], v[23:24], -v[43:44]
	v_fma_f64 v[25:26], v[17:18], v[23:24], v[25:26]
	s_delay_alu instid0(VALU_DEP_4) | instskip(NEXT) | instid1(VALU_DEP_4)
	v_add_f64_e64 v[7:8], v[7:8], -v[41:42]
	v_add_f64_e64 v[9:10], v[9:10], -v[19:20]
	s_wait_alu 0xfffe
	v_mov_b32_e32 v19, s37
	ds_load_b128 v[19:22], v19
	s_wait_dscnt 0x0
	v_cmp_ngt_f64_e64 s37, |v[19:20]|, |v[21:22]|
	v_add_f64_e64 v[23:24], v[7:8], -v[43:44]
	v_add_f64_e64 v[25:26], v[9:10], -v[25:26]
                                        ; implicit-def: $vgpr9_vgpr10
	s_and_b32 vcc_lo, exec_lo, s37
	s_mov_b32 s37, -1
	s_wait_alu 0xfffe
	s_cbranch_vccz .LBB213_93
; %bb.92:                               ;   in Loop: Header=BB213_81 Depth=2
	v_div_scale_f64 v[7:8], null, v[21:22], v[21:22], v[19:20]
	v_div_scale_f64 v[42:43], vcc_lo, v[19:20], v[21:22], v[19:20]
	s_mov_b32 s37, 0
	v_rcp_f64_e32 v[9:10], v[7:8]
	s_delay_alu instid0(TRANS32_DEP_1) | instskip(NEXT) | instid1(VALU_DEP_1)
	v_fma_f64 v[40:41], -v[7:8], v[9:10], 1.0
	v_fma_f64 v[9:10], v[9:10], v[40:41], v[9:10]
	s_delay_alu instid0(VALU_DEP_1) | instskip(NEXT) | instid1(VALU_DEP_1)
	v_fma_f64 v[40:41], -v[7:8], v[9:10], 1.0
	v_fma_f64 v[9:10], v[9:10], v[40:41], v[9:10]
	s_delay_alu instid0(VALU_DEP_1) | instskip(NEXT) | instid1(VALU_DEP_1)
	v_mul_f64_e32 v[40:41], v[42:43], v[9:10]
	v_fma_f64 v[7:8], -v[7:8], v[40:41], v[42:43]
	s_wait_alu 0xfffd
	s_delay_alu instid0(VALU_DEP_1) | instskip(NEXT) | instid1(VALU_DEP_1)
	v_div_fmas_f64 v[7:8], v[7:8], v[9:10], v[40:41]
	v_div_fixup_f64 v[7:8], v[7:8], v[21:22], v[19:20]
	s_delay_alu instid0(VALU_DEP_1) | instskip(NEXT) | instid1(VALU_DEP_1)
	v_fma_f64 v[9:10], v[19:20], v[7:8], v[21:22]
	v_div_scale_f64 v[40:41], null, v[9:10], v[9:10], 1.0
	v_div_scale_f64 v[46:47], vcc_lo, 1.0, v[9:10], 1.0
	s_delay_alu instid0(VALU_DEP_2) | instskip(NEXT) | instid1(TRANS32_DEP_1)
	v_rcp_f64_e32 v[42:43], v[40:41]
	v_fma_f64 v[44:45], -v[40:41], v[42:43], 1.0
	s_delay_alu instid0(VALU_DEP_1) | instskip(NEXT) | instid1(VALU_DEP_1)
	v_fma_f64 v[42:43], v[42:43], v[44:45], v[42:43]
	v_fma_f64 v[44:45], -v[40:41], v[42:43], 1.0
	s_delay_alu instid0(VALU_DEP_1) | instskip(NEXT) | instid1(VALU_DEP_1)
	v_fma_f64 v[42:43], v[42:43], v[44:45], v[42:43]
	v_mul_f64_e32 v[44:45], v[46:47], v[42:43]
	s_delay_alu instid0(VALU_DEP_1) | instskip(SKIP_1) | instid1(VALU_DEP_1)
	v_fma_f64 v[40:41], -v[40:41], v[44:45], v[46:47]
	s_wait_alu 0xfffd
	v_div_fmas_f64 v[40:41], v[40:41], v[42:43], v[44:45]
	v_fma_f64 v[42:43], v[7:8], v[23:24], v[25:26]
	s_delay_alu instid0(VALU_DEP_2) | instskip(SKIP_1) | instid1(VALU_DEP_2)
	v_div_fixup_f64 v[9:10], v[40:41], v[9:10], 1.0
	v_fma_f64 v[40:41], v[7:8], v[25:26], -v[23:24]
	v_mul_f64_e32 v[7:8], v[42:43], v[9:10]
	s_delay_alu instid0(VALU_DEP_2)
	v_mul_f64_e32 v[9:10], v[40:41], v[9:10]
.LBB213_93:                             ;   in Loop: Header=BB213_81 Depth=2
	s_wait_alu 0xfffe
	s_and_not1_b32 vcc_lo, exec_lo, s37
	s_wait_alu 0xfffe
	s_cbranch_vccnz .LBB213_95
; %bb.94:                               ;   in Loop: Header=BB213_81 Depth=2
	v_div_scale_f64 v[7:8], null, v[19:20], v[19:20], v[21:22]
	v_div_scale_f64 v[42:43], vcc_lo, v[21:22], v[19:20], v[21:22]
	s_delay_alu instid0(VALU_DEP_2) | instskip(NEXT) | instid1(TRANS32_DEP_1)
	v_rcp_f64_e32 v[9:10], v[7:8]
	v_fma_f64 v[40:41], -v[7:8], v[9:10], 1.0
	s_delay_alu instid0(VALU_DEP_1) | instskip(NEXT) | instid1(VALU_DEP_1)
	v_fma_f64 v[9:10], v[9:10], v[40:41], v[9:10]
	v_fma_f64 v[40:41], -v[7:8], v[9:10], 1.0
	s_delay_alu instid0(VALU_DEP_1) | instskip(NEXT) | instid1(VALU_DEP_1)
	v_fma_f64 v[9:10], v[9:10], v[40:41], v[9:10]
	v_mul_f64_e32 v[40:41], v[42:43], v[9:10]
	s_delay_alu instid0(VALU_DEP_1) | instskip(SKIP_1) | instid1(VALU_DEP_1)
	v_fma_f64 v[7:8], -v[7:8], v[40:41], v[42:43]
	s_wait_alu 0xfffd
	v_div_fmas_f64 v[7:8], v[7:8], v[9:10], v[40:41]
	s_delay_alu instid0(VALU_DEP_1) | instskip(NEXT) | instid1(VALU_DEP_1)
	v_div_fixup_f64 v[7:8], v[7:8], v[19:20], v[21:22]
	v_fma_f64 v[9:10], v[21:22], v[7:8], v[19:20]
	s_delay_alu instid0(VALU_DEP_1) | instskip(SKIP_1) | instid1(VALU_DEP_2)
	v_div_scale_f64 v[19:20], null, v[9:10], v[9:10], 1.0
	v_div_scale_f64 v[42:43], vcc_lo, 1.0, v[9:10], 1.0
	v_rcp_f64_e32 v[21:22], v[19:20]
	s_delay_alu instid0(TRANS32_DEP_1) | instskip(NEXT) | instid1(VALU_DEP_1)
	v_fma_f64 v[40:41], -v[19:20], v[21:22], 1.0
	v_fma_f64 v[21:22], v[21:22], v[40:41], v[21:22]
	s_delay_alu instid0(VALU_DEP_1) | instskip(NEXT) | instid1(VALU_DEP_1)
	v_fma_f64 v[40:41], -v[19:20], v[21:22], 1.0
	v_fma_f64 v[21:22], v[21:22], v[40:41], v[21:22]
	s_delay_alu instid0(VALU_DEP_1) | instskip(NEXT) | instid1(VALU_DEP_1)
	v_mul_f64_e32 v[40:41], v[42:43], v[21:22]
	v_fma_f64 v[19:20], -v[19:20], v[40:41], v[42:43]
	s_wait_alu 0xfffd
	s_delay_alu instid0(VALU_DEP_1) | instskip(SKIP_1) | instid1(VALU_DEP_2)
	v_div_fmas_f64 v[19:20], v[19:20], v[21:22], v[40:41]
	v_fma_f64 v[21:22], v[7:8], v[25:26], v[23:24]
	v_div_fixup_f64 v[9:10], v[19:20], v[9:10], 1.0
	v_fma_f64 v[19:20], -v[7:8], v[23:24], v[25:26]
	s_delay_alu instid0(VALU_DEP_2) | instskip(NEXT) | instid1(VALU_DEP_2)
	v_mul_f64_e32 v[7:8], v[21:22], v[9:10]
	v_mul_f64_e32 v[9:10], v[19:20], v[9:10]
.LBB213_95:                             ;   in Loop: Header=BB213_81 Depth=2
	s_add_co_i32 s37, s36, 0xffffff40
	ds_store_b128 v31, v[7:10]
	s_wait_alu 0xfffe
	v_mov_b32_e32 v19, s37
	s_add_co_i32 s37, s36, 0xffffff30
	s_wait_alu 0xfffe
	v_mov_b32_e32 v23, s37
	s_add_co_i32 s37, s36, 0xffffff20
	ds_load_b128 v[19:22], v19
	s_addk_co_i32 s36, 0xff10
	ds_load_b128 v[23:26], v23
	s_wait_dscnt 0x1
	v_mul_f64_e32 v[40:41], v[13:14], v[21:22]
	v_mul_f64_e32 v[21:22], v[11:12], v[21:22]
	s_delay_alu instid0(VALU_DEP_2) | instskip(SKIP_2) | instid1(VALU_DEP_3)
	v_fma_f64 v[40:41], v[11:12], v[19:20], -v[40:41]
	s_wait_alu 0xfffe
	v_mov_b32_e32 v11, s37
	v_fma_f64 v[44:45], v[13:14], v[19:20], v[21:22]
	ds_load_b128 v[19:22], v11
	s_wait_dscnt 0x1
	v_mul_f64_e32 v[42:43], v[17:18], v[25:26]
	v_mul_f64_e32 v[25:26], v[15:16], v[25:26]
	v_mov_b32_e32 v11, s36
	ds_load_b128 v[11:14], v11
	s_wait_dscnt 0x1
	v_mul_f64_e32 v[46:47], v[9:10], v[21:22]
	v_mul_f64_e32 v[21:22], v[7:8], v[21:22]
	s_wait_dscnt 0x0
	v_cmp_ngt_f64_e64 s36, |v[11:12]|, |v[13:14]|
	v_add_f64_e64 v[3:4], v[3:4], -v[40:41]
	v_add_f64_e64 v[5:6], v[5:6], -v[44:45]
	v_fma_f64 v[15:16], v[15:16], v[23:24], -v[42:43]
	v_fma_f64 v[17:18], v[17:18], v[23:24], v[25:26]
	v_fma_f64 v[23:24], v[7:8], v[19:20], -v[46:47]
	v_fma_f64 v[19:20], v[9:10], v[19:20], v[21:22]
	s_and_b32 vcc_lo, exec_lo, s36
	s_mov_b32 s36, -1
	s_delay_alu instid0(VALU_DEP_4) | instskip(NEXT) | instid1(VALU_DEP_4)
	v_add_f64_e64 v[3:4], v[3:4], -v[15:16]
	v_add_f64_e64 v[5:6], v[5:6], -v[17:18]
	s_delay_alu instid0(VALU_DEP_2) | instskip(NEXT) | instid1(VALU_DEP_2)
	v_add_f64_e64 v[15:16], v[3:4], -v[23:24]
	v_add_f64_e64 v[17:18], v[5:6], -v[19:20]
                                        ; implicit-def: $vgpr5_vgpr6
	s_wait_alu 0xfffe
	s_cbranch_vccz .LBB213_97
; %bb.96:                               ;   in Loop: Header=BB213_81 Depth=2
	v_div_scale_f64 v[3:4], null, v[13:14], v[13:14], v[11:12]
	v_div_scale_f64 v[9:10], vcc_lo, v[11:12], v[13:14], v[11:12]
	s_mov_b32 s36, 0
	v_rcp_f64_e32 v[5:6], v[3:4]
	s_delay_alu instid0(TRANS32_DEP_1) | instskip(NEXT) | instid1(VALU_DEP_1)
	v_fma_f64 v[7:8], -v[3:4], v[5:6], 1.0
	v_fma_f64 v[5:6], v[5:6], v[7:8], v[5:6]
	s_delay_alu instid0(VALU_DEP_1) | instskip(NEXT) | instid1(VALU_DEP_1)
	v_fma_f64 v[7:8], -v[3:4], v[5:6], 1.0
	v_fma_f64 v[5:6], v[5:6], v[7:8], v[5:6]
	s_delay_alu instid0(VALU_DEP_1) | instskip(NEXT) | instid1(VALU_DEP_1)
	v_mul_f64_e32 v[7:8], v[9:10], v[5:6]
	v_fma_f64 v[3:4], -v[3:4], v[7:8], v[9:10]
	s_wait_alu 0xfffd
	s_delay_alu instid0(VALU_DEP_1) | instskip(NEXT) | instid1(VALU_DEP_1)
	v_div_fmas_f64 v[3:4], v[3:4], v[5:6], v[7:8]
	v_div_fixup_f64 v[3:4], v[3:4], v[13:14], v[11:12]
	s_delay_alu instid0(VALU_DEP_1) | instskip(NEXT) | instid1(VALU_DEP_1)
	v_fma_f64 v[5:6], v[11:12], v[3:4], v[13:14]
	v_div_scale_f64 v[7:8], null, v[5:6], v[5:6], 1.0
	v_div_scale_f64 v[21:22], vcc_lo, 1.0, v[5:6], 1.0
	s_delay_alu instid0(VALU_DEP_2) | instskip(NEXT) | instid1(TRANS32_DEP_1)
	v_rcp_f64_e32 v[9:10], v[7:8]
	v_fma_f64 v[19:20], -v[7:8], v[9:10], 1.0
	s_delay_alu instid0(VALU_DEP_1) | instskip(NEXT) | instid1(VALU_DEP_1)
	v_fma_f64 v[9:10], v[9:10], v[19:20], v[9:10]
	v_fma_f64 v[19:20], -v[7:8], v[9:10], 1.0
	s_delay_alu instid0(VALU_DEP_1) | instskip(NEXT) | instid1(VALU_DEP_1)
	v_fma_f64 v[9:10], v[9:10], v[19:20], v[9:10]
	v_mul_f64_e32 v[19:20], v[21:22], v[9:10]
	s_delay_alu instid0(VALU_DEP_1) | instskip(SKIP_1) | instid1(VALU_DEP_1)
	v_fma_f64 v[7:8], -v[7:8], v[19:20], v[21:22]
	s_wait_alu 0xfffd
	v_div_fmas_f64 v[7:8], v[7:8], v[9:10], v[19:20]
	v_fma_f64 v[9:10], v[3:4], v[15:16], v[17:18]
	s_delay_alu instid0(VALU_DEP_2) | instskip(SKIP_1) | instid1(VALU_DEP_2)
	v_div_fixup_f64 v[5:6], v[7:8], v[5:6], 1.0
	v_fma_f64 v[7:8], v[3:4], v[17:18], -v[15:16]
	v_mul_f64_e32 v[3:4], v[9:10], v[5:6]
	s_delay_alu instid0(VALU_DEP_2)
	v_mul_f64_e32 v[5:6], v[7:8], v[5:6]
.LBB213_97:                             ;   in Loop: Header=BB213_81 Depth=2
	s_wait_alu 0xfffe
	s_and_not1_b32 vcc_lo, exec_lo, s36
	s_wait_alu 0xfffe
	s_cbranch_vccnz .LBB213_99
; %bb.98:                               ;   in Loop: Header=BB213_81 Depth=2
	v_div_scale_f64 v[3:4], null, v[11:12], v[11:12], v[13:14]
	v_div_scale_f64 v[9:10], vcc_lo, v[13:14], v[11:12], v[13:14]
	s_delay_alu instid0(VALU_DEP_2) | instskip(NEXT) | instid1(TRANS32_DEP_1)
	v_rcp_f64_e32 v[5:6], v[3:4]
	v_fma_f64 v[7:8], -v[3:4], v[5:6], 1.0
	s_delay_alu instid0(VALU_DEP_1) | instskip(NEXT) | instid1(VALU_DEP_1)
	v_fma_f64 v[5:6], v[5:6], v[7:8], v[5:6]
	v_fma_f64 v[7:8], -v[3:4], v[5:6], 1.0
	s_delay_alu instid0(VALU_DEP_1) | instskip(NEXT) | instid1(VALU_DEP_1)
	v_fma_f64 v[5:6], v[5:6], v[7:8], v[5:6]
	v_mul_f64_e32 v[7:8], v[9:10], v[5:6]
	s_delay_alu instid0(VALU_DEP_1) | instskip(SKIP_1) | instid1(VALU_DEP_1)
	v_fma_f64 v[3:4], -v[3:4], v[7:8], v[9:10]
	s_wait_alu 0xfffd
	v_div_fmas_f64 v[3:4], v[3:4], v[5:6], v[7:8]
	s_delay_alu instid0(VALU_DEP_1) | instskip(NEXT) | instid1(VALU_DEP_1)
	v_div_fixup_f64 v[3:4], v[3:4], v[11:12], v[13:14]
	v_fma_f64 v[5:6], v[13:14], v[3:4], v[11:12]
	s_delay_alu instid0(VALU_DEP_1) | instskip(SKIP_1) | instid1(VALU_DEP_2)
	v_div_scale_f64 v[7:8], null, v[5:6], v[5:6], 1.0
	v_div_scale_f64 v[13:14], vcc_lo, 1.0, v[5:6], 1.0
	v_rcp_f64_e32 v[9:10], v[7:8]
	s_delay_alu instid0(TRANS32_DEP_1) | instskip(NEXT) | instid1(VALU_DEP_1)
	v_fma_f64 v[11:12], -v[7:8], v[9:10], 1.0
	v_fma_f64 v[9:10], v[9:10], v[11:12], v[9:10]
	s_delay_alu instid0(VALU_DEP_1) | instskip(NEXT) | instid1(VALU_DEP_1)
	v_fma_f64 v[11:12], -v[7:8], v[9:10], 1.0
	v_fma_f64 v[9:10], v[9:10], v[11:12], v[9:10]
	s_delay_alu instid0(VALU_DEP_1) | instskip(NEXT) | instid1(VALU_DEP_1)
	v_mul_f64_e32 v[11:12], v[13:14], v[9:10]
	v_fma_f64 v[7:8], -v[7:8], v[11:12], v[13:14]
	s_wait_alu 0xfffd
	s_delay_alu instid0(VALU_DEP_1) | instskip(SKIP_1) | instid1(VALU_DEP_2)
	v_div_fmas_f64 v[7:8], v[7:8], v[9:10], v[11:12]
	v_fma_f64 v[9:10], v[3:4], v[17:18], v[15:16]
	v_div_fixup_f64 v[5:6], v[7:8], v[5:6], 1.0
	v_fma_f64 v[7:8], -v[3:4], v[15:16], v[17:18]
	s_delay_alu instid0(VALU_DEP_2) | instskip(NEXT) | instid1(VALU_DEP_2)
	v_mul_f64_e32 v[3:4], v[9:10], v[5:6]
	v_mul_f64_e32 v[5:6], v[7:8], v[5:6]
.LBB213_99:                             ;   in Loop: Header=BB213_81 Depth=2
	s_add_co_i32 s36, s21, -4
	s_addk_co_i32 s20, 0xfd00
	s_cmp_lt_i32 s21, 7
	ds_store_b128 v30, v[3:6]
	s_cbranch_scc1 .LBB213_101
; %bb.100:                              ;   in Loop: Header=BB213_81 Depth=2
	s_wait_alu 0xfffe
	s_mov_b32 s21, s36
	s_branch .LBB213_81
.LBB213_101:                            ;   in Loop: Header=BB213_3 Depth=1
	s_wait_alu 0xfffe
	s_cmp_lt_i32 s36, 0
	s_cbranch_scc1 .LBB213_110
; %bb.102:                              ;   in Loop: Header=BB213_3 Depth=1
	s_mul_i32 s20, s36, 0xc0
	s_wait_alu 0xfffe
	s_add_co_i32 s20, s35, s20
	s_branch .LBB213_104
.LBB213_103:                            ;   in Loop: Header=BB213_104 Depth=2
	v_sub_co_u32 v3, s21, s36, 1
	s_and_b32 vcc_lo, exec_lo, s21
	s_addk_co_i32 s20, 0xff40
	ds_store_b128 v15, v[11:14]
	v_readfirstlane_b32 s36, v3
	s_wait_alu 0xfffe
	s_cbranch_vccnz .LBB213_110
.LBB213_104:                            ;   Parent Loop BB213_3 Depth=1
                                        ; =>  This Loop Header: Depth=2
                                        ;       Child Loop BB213_105 Depth 3
	s_wait_alu 0xf1ff
	v_mad_co_u64_u32 v[15:16], null, 0xc0, s36, v[27:28]
	v_mov_b32_e32 v7, v38
	s_cmp_le_i32 s27, s36
	s_wait_alu 0xfffe
	s_mov_b32 s21, s20
	s_mov_b32 s37, s27
	ds_load_b128 v[3:6], v15
	s_cbranch_scc1 .LBB213_106
.LBB213_105:                            ;   Parent Loop BB213_3 Depth=1
                                        ;     Parent Loop BB213_104 Depth=2
                                        ; =>    This Inner Loop Header: Depth=3
	s_wait_alu 0xfffe
	v_mov_b32_e32 v12, s21
	s_add_co_i32 s37, s37, -1
	s_add_co_i32 s21, s21, -16
	s_wait_alu 0xfffe
	s_cmp_le_u32 s37, s36
	ds_load_b128 v[8:11], v7
	ds_load_b128 v[16:19], v12
	v_add_nc_u32_e32 v7, 0xffffff40, v7
	s_wait_dscnt 0x0
	v_mul_f64_e32 v[12:13], v[18:19], v[10:11]
	v_mul_f64_e32 v[10:11], v[16:17], v[10:11]
	s_delay_alu instid0(VALU_DEP_2) | instskip(NEXT) | instid1(VALU_DEP_2)
	v_fma_f64 v[12:13], v[16:17], v[8:9], -v[12:13]
	v_fma_f64 v[8:9], v[18:19], v[8:9], v[10:11]
	s_delay_alu instid0(VALU_DEP_2) | instskip(NEXT) | instid1(VALU_DEP_2)
	v_add_f64_e64 v[3:4], v[3:4], -v[12:13]
	v_add_f64_e64 v[5:6], v[5:6], -v[8:9]
	s_cbranch_scc0 .LBB213_105
.LBB213_106:                            ;   in Loop: Header=BB213_104 Depth=2
	s_mul_i32 s21, s36, 0xd0
                                        ; implicit-def: $vgpr11_vgpr12
	s_wait_alu 0xfffe
	v_mov_b32_e32 v7, s21
	ds_load_b128 v[7:10], v7
	s_wait_dscnt 0x0
	v_cmp_ngt_f64_e64 s21, |v[7:8]|, |v[9:10]|
	s_and_b32 vcc_lo, exec_lo, s21
	s_mov_b32 s21, -1
	s_wait_alu 0xfffe
	s_cbranch_vccz .LBB213_108
; %bb.107:                              ;   in Loop: Header=BB213_104 Depth=2
	v_div_scale_f64 v[11:12], null, v[9:10], v[9:10], v[7:8]
	v_div_scale_f64 v[18:19], vcc_lo, v[7:8], v[9:10], v[7:8]
	s_mov_b32 s21, 0
	v_rcp_f64_e32 v[13:14], v[11:12]
	s_delay_alu instid0(TRANS32_DEP_1) | instskip(NEXT) | instid1(VALU_DEP_1)
	v_fma_f64 v[16:17], -v[11:12], v[13:14], 1.0
	v_fma_f64 v[13:14], v[13:14], v[16:17], v[13:14]
	s_delay_alu instid0(VALU_DEP_1) | instskip(NEXT) | instid1(VALU_DEP_1)
	v_fma_f64 v[16:17], -v[11:12], v[13:14], 1.0
	v_fma_f64 v[13:14], v[13:14], v[16:17], v[13:14]
	s_delay_alu instid0(VALU_DEP_1) | instskip(NEXT) | instid1(VALU_DEP_1)
	v_mul_f64_e32 v[16:17], v[18:19], v[13:14]
	v_fma_f64 v[11:12], -v[11:12], v[16:17], v[18:19]
	s_wait_alu 0xfffd
	s_delay_alu instid0(VALU_DEP_1) | instskip(NEXT) | instid1(VALU_DEP_1)
	v_div_fmas_f64 v[11:12], v[11:12], v[13:14], v[16:17]
	v_div_fixup_f64 v[11:12], v[11:12], v[9:10], v[7:8]
	s_delay_alu instid0(VALU_DEP_1) | instskip(NEXT) | instid1(VALU_DEP_1)
	v_fma_f64 v[13:14], v[7:8], v[11:12], v[9:10]
	v_div_scale_f64 v[16:17], null, v[13:14], v[13:14], 1.0
	v_div_scale_f64 v[22:23], vcc_lo, 1.0, v[13:14], 1.0
	s_delay_alu instid0(VALU_DEP_2) | instskip(NEXT) | instid1(TRANS32_DEP_1)
	v_rcp_f64_e32 v[18:19], v[16:17]
	v_fma_f64 v[20:21], -v[16:17], v[18:19], 1.0
	s_delay_alu instid0(VALU_DEP_1) | instskip(NEXT) | instid1(VALU_DEP_1)
	v_fma_f64 v[18:19], v[18:19], v[20:21], v[18:19]
	v_fma_f64 v[20:21], -v[16:17], v[18:19], 1.0
	s_delay_alu instid0(VALU_DEP_1) | instskip(NEXT) | instid1(VALU_DEP_1)
	v_fma_f64 v[18:19], v[18:19], v[20:21], v[18:19]
	v_mul_f64_e32 v[20:21], v[22:23], v[18:19]
	s_delay_alu instid0(VALU_DEP_1) | instskip(SKIP_1) | instid1(VALU_DEP_1)
	v_fma_f64 v[16:17], -v[16:17], v[20:21], v[22:23]
	s_wait_alu 0xfffd
	v_div_fmas_f64 v[16:17], v[16:17], v[18:19], v[20:21]
	v_fma_f64 v[18:19], v[3:4], v[11:12], v[5:6]
	s_delay_alu instid0(VALU_DEP_2) | instskip(SKIP_1) | instid1(VALU_DEP_2)
	v_div_fixup_f64 v[13:14], v[16:17], v[13:14], 1.0
	v_fma_f64 v[16:17], v[5:6], v[11:12], -v[3:4]
	v_mul_f64_e32 v[11:12], v[18:19], v[13:14]
	s_delay_alu instid0(VALU_DEP_2)
	v_mul_f64_e32 v[13:14], v[16:17], v[13:14]
.LBB213_108:                            ;   in Loop: Header=BB213_104 Depth=2
	s_wait_alu 0xfffe
	s_and_not1_b32 vcc_lo, exec_lo, s21
	s_wait_alu 0xfffe
	s_cbranch_vccnz .LBB213_103
; %bb.109:                              ;   in Loop: Header=BB213_104 Depth=2
	v_div_scale_f64 v[11:12], null, v[7:8], v[7:8], v[9:10]
	v_div_scale_f64 v[18:19], vcc_lo, v[9:10], v[7:8], v[9:10]
	s_delay_alu instid0(VALU_DEP_2) | instskip(NEXT) | instid1(TRANS32_DEP_1)
	v_rcp_f64_e32 v[13:14], v[11:12]
	v_fma_f64 v[16:17], -v[11:12], v[13:14], 1.0
	s_delay_alu instid0(VALU_DEP_1) | instskip(NEXT) | instid1(VALU_DEP_1)
	v_fma_f64 v[13:14], v[13:14], v[16:17], v[13:14]
	v_fma_f64 v[16:17], -v[11:12], v[13:14], 1.0
	s_delay_alu instid0(VALU_DEP_1) | instskip(NEXT) | instid1(VALU_DEP_1)
	v_fma_f64 v[13:14], v[13:14], v[16:17], v[13:14]
	v_mul_f64_e32 v[16:17], v[18:19], v[13:14]
	s_delay_alu instid0(VALU_DEP_1) | instskip(SKIP_1) | instid1(VALU_DEP_1)
	v_fma_f64 v[11:12], -v[11:12], v[16:17], v[18:19]
	s_wait_alu 0xfffd
	v_div_fmas_f64 v[11:12], v[11:12], v[13:14], v[16:17]
	s_delay_alu instid0(VALU_DEP_1) | instskip(NEXT) | instid1(VALU_DEP_1)
	v_div_fixup_f64 v[11:12], v[11:12], v[7:8], v[9:10]
	v_fma_f64 v[7:8], v[9:10], v[11:12], v[7:8]
	s_delay_alu instid0(VALU_DEP_1) | instskip(SKIP_1) | instid1(VALU_DEP_2)
	v_div_scale_f64 v[9:10], null, v[7:8], v[7:8], 1.0
	v_div_scale_f64 v[18:19], vcc_lo, 1.0, v[7:8], 1.0
	v_rcp_f64_e32 v[13:14], v[9:10]
	s_delay_alu instid0(TRANS32_DEP_1) | instskip(NEXT) | instid1(VALU_DEP_1)
	v_fma_f64 v[16:17], -v[9:10], v[13:14], 1.0
	v_fma_f64 v[13:14], v[13:14], v[16:17], v[13:14]
	s_delay_alu instid0(VALU_DEP_1) | instskip(NEXT) | instid1(VALU_DEP_1)
	v_fma_f64 v[16:17], -v[9:10], v[13:14], 1.0
	v_fma_f64 v[13:14], v[13:14], v[16:17], v[13:14]
	s_delay_alu instid0(VALU_DEP_1) | instskip(NEXT) | instid1(VALU_DEP_1)
	v_mul_f64_e32 v[16:17], v[18:19], v[13:14]
	v_fma_f64 v[9:10], -v[9:10], v[16:17], v[18:19]
	s_wait_alu 0xfffd
	s_delay_alu instid0(VALU_DEP_1) | instskip(SKIP_2) | instid1(VALU_DEP_3)
	v_div_fmas_f64 v[9:10], v[9:10], v[13:14], v[16:17]
	v_fma_f64 v[13:14], v[5:6], v[11:12], v[3:4]
	v_fma_f64 v[3:4], -v[3:4], v[11:12], v[5:6]
	v_div_fixup_f64 v[7:8], v[9:10], v[7:8], 1.0
	s_delay_alu instid0(VALU_DEP_1) | instskip(NEXT) | instid1(VALU_DEP_3)
	v_mul_f64_e32 v[11:12], v[13:14], v[7:8]
	v_mul_f64_e32 v[13:14], v[3:4], v[7:8]
	s_branch .LBB213_103
.LBB213_110:                            ;   in Loop: Header=BB213_3 Depth=1
	s_mov_b32 s20, 0
.LBB213_111:                            ;   in Loop: Header=BB213_3 Depth=1
	s_wait_alu 0xfffe
	s_and_not1_b32 vcc_lo, exec_lo, s20
	s_wait_alu 0xfffe
	s_cbranch_vccnz .LBB213_143
; %bb.112:                              ;   in Loop: Header=BB213_3 Depth=1
	s_and_not1_b32 vcc_lo, exec_lo, s22
	s_mov_b32 s36, 0
	s_wait_alu 0xfffe
	s_cbranch_vccnz .LBB213_134
; %bb.113:                              ;   in Loop: Header=BB213_3 Depth=1
	s_mov_b32 s20, 0
	s_mov_b32 s21, 0
.LBB213_114:                            ;   Parent Loop BB213_3 Depth=1
                                        ; =>  This Loop Header: Depth=2
                                        ;       Child Loop BB213_115 Depth 3
	s_wait_alu 0xfffe
	s_mul_i32 s36, s21, 12
	v_mov_b32_e32 v11, v27
	s_wait_alu 0xfffe
	v_lshl_add_u32 v30, s36, 4, v27
	s_cmp_eq_u32 s21, 0
	s_mov_b32 s37, s20
	s_mov_b32 s38, s21
	ds_load_b128 v[19:22], v30
	ds_load_b128 v[15:18], v30 offset:192
	ds_load_b128 v[7:10], v30 offset:384
	;; [unrolled: 1-line block ×3, first 2 shown]
	s_cbranch_scc1 .LBB213_116
.LBB213_115:                            ;   Parent Loop BB213_3 Depth=1
                                        ;     Parent Loop BB213_114 Depth=2
                                        ; =>    This Inner Loop Header: Depth=3
	s_wait_alu 0xfffe
	v_mov_b32_e32 v12, s37
	s_add_co_i32 s38, s38, -1
	s_add_co_i32 s37, s37, 16
	s_wait_alu 0xfffe
	s_cmp_eq_u32 s38, 0
	ds_load_b128 v[23:26], v11
	ds_load_b128 v[40:43], v12
	ds_load_b128 v[44:47], v12 offset:192
	ds_load_b128 v[48:51], v12 offset:384
	;; [unrolled: 1-line block ×3, first 2 shown]
	v_add_nc_u32_e32 v11, 0xc0, v11
	s_wait_dscnt 0x3
	v_mul_f64_e32 v[12:13], v[25:26], v[42:43]
	v_mul_f64_e32 v[42:43], v[23:24], v[42:43]
	s_wait_dscnt 0x2
	v_mul_f64_e32 v[56:57], v[25:26], v[46:47]
	v_mul_f64_e32 v[46:47], v[23:24], v[46:47]
	;; [unrolled: 3-line block ×4, first 2 shown]
	v_fma_f64 v[12:13], v[23:24], v[40:41], -v[12:13]
	v_fma_f64 v[40:41], v[25:26], v[40:41], v[42:43]
	v_fma_f64 v[42:43], v[23:24], v[44:45], -v[56:57]
	v_fma_f64 v[44:45], v[25:26], v[44:45], v[46:47]
	;; [unrolled: 2-line block ×4, first 2 shown]
	v_add_f64_e64 v[19:20], v[19:20], -v[12:13]
	v_add_f64_e64 v[21:22], v[21:22], -v[40:41]
	v_add_f64_e64 v[15:16], v[15:16], -v[42:43]
	v_add_f64_e64 v[17:18], v[17:18], -v[44:45]
	v_add_f64_e64 v[7:8], v[7:8], -v[46:47]
	v_add_f64_e64 v[9:10], v[9:10], -v[48:49]
	v_add_f64_e64 v[3:4], v[3:4], -v[23:24]
	v_add_f64_e64 v[5:6], v[5:6], -v[25:26]
	s_cbranch_scc0 .LBB213_115
.LBB213_116:                            ;   in Loop: Header=BB213_114 Depth=2
	s_mul_i32 s37, s21, 0xd0
	s_wait_alu 0xfffe
	v_mov_b32_e32 v11, s37
	ds_load_b128 v[23:26], v11
                                        ; implicit-def: $vgpr13_vgpr14
	s_wait_dscnt 0x0
	v_cmp_ngt_f64_e64 s37, |v[23:24]|, |v[25:26]|
	s_and_b32 vcc_lo, exec_lo, s37
	s_mov_b32 s37, -1
	s_wait_alu 0xfffe
	s_cbranch_vccz .LBB213_118
; %bb.117:                              ;   in Loop: Header=BB213_114 Depth=2
	v_div_scale_f64 v[11:12], null, v[25:26], v[25:26], v[23:24]
	v_div_scale_f64 v[42:43], vcc_lo, v[23:24], v[25:26], v[23:24]
	s_mov_b32 s37, 0
	v_rcp_f64_e32 v[13:14], v[11:12]
	s_delay_alu instid0(TRANS32_DEP_1) | instskip(NEXT) | instid1(VALU_DEP_1)
	v_fma_f64 v[40:41], -v[11:12], v[13:14], 1.0
	v_fma_f64 v[13:14], v[13:14], v[40:41], v[13:14]
	s_delay_alu instid0(VALU_DEP_1) | instskip(NEXT) | instid1(VALU_DEP_1)
	v_fma_f64 v[40:41], -v[11:12], v[13:14], 1.0
	v_fma_f64 v[13:14], v[13:14], v[40:41], v[13:14]
	s_delay_alu instid0(VALU_DEP_1) | instskip(NEXT) | instid1(VALU_DEP_1)
	v_mul_f64_e32 v[40:41], v[42:43], v[13:14]
	v_fma_f64 v[11:12], -v[11:12], v[40:41], v[42:43]
	s_wait_alu 0xfffd
	s_delay_alu instid0(VALU_DEP_1) | instskip(NEXT) | instid1(VALU_DEP_1)
	v_div_fmas_f64 v[11:12], v[11:12], v[13:14], v[40:41]
	v_div_fixup_f64 v[11:12], v[11:12], v[25:26], v[23:24]
	s_delay_alu instid0(VALU_DEP_1) | instskip(NEXT) | instid1(VALU_DEP_1)
	v_fma_f64 v[13:14], v[23:24], v[11:12], v[25:26]
	v_div_scale_f64 v[40:41], null, v[13:14], v[13:14], 1.0
	v_div_scale_f64 v[46:47], vcc_lo, 1.0, v[13:14], 1.0
	s_delay_alu instid0(VALU_DEP_2) | instskip(NEXT) | instid1(TRANS32_DEP_1)
	v_rcp_f64_e32 v[42:43], v[40:41]
	v_fma_f64 v[44:45], -v[40:41], v[42:43], 1.0
	s_delay_alu instid0(VALU_DEP_1) | instskip(NEXT) | instid1(VALU_DEP_1)
	v_fma_f64 v[42:43], v[42:43], v[44:45], v[42:43]
	v_fma_f64 v[44:45], -v[40:41], v[42:43], 1.0
	s_delay_alu instid0(VALU_DEP_1) | instskip(NEXT) | instid1(VALU_DEP_1)
	v_fma_f64 v[42:43], v[42:43], v[44:45], v[42:43]
	v_mul_f64_e32 v[44:45], v[46:47], v[42:43]
	s_delay_alu instid0(VALU_DEP_1) | instskip(SKIP_1) | instid1(VALU_DEP_1)
	v_fma_f64 v[40:41], -v[40:41], v[44:45], v[46:47]
	s_wait_alu 0xfffd
	v_div_fmas_f64 v[40:41], v[40:41], v[42:43], v[44:45]
	v_fma_f64 v[42:43], v[19:20], v[11:12], v[21:22]
	s_delay_alu instid0(VALU_DEP_2) | instskip(SKIP_1) | instid1(VALU_DEP_2)
	v_div_fixup_f64 v[13:14], v[40:41], v[13:14], 1.0
	v_fma_f64 v[40:41], v[21:22], v[11:12], -v[19:20]
	v_mul_f64_e32 v[11:12], v[42:43], v[13:14]
	s_delay_alu instid0(VALU_DEP_2)
	v_mul_f64_e32 v[13:14], v[40:41], v[13:14]
.LBB213_118:                            ;   in Loop: Header=BB213_114 Depth=2
	s_wait_alu 0xfffe
	s_and_not1_b32 vcc_lo, exec_lo, s37
	s_wait_alu 0xfffe
	s_cbranch_vccnz .LBB213_120
; %bb.119:                              ;   in Loop: Header=BB213_114 Depth=2
	v_div_scale_f64 v[11:12], null, v[23:24], v[23:24], v[25:26]
	v_div_scale_f64 v[42:43], vcc_lo, v[25:26], v[23:24], v[25:26]
	s_delay_alu instid0(VALU_DEP_2) | instskip(NEXT) | instid1(TRANS32_DEP_1)
	v_rcp_f64_e32 v[13:14], v[11:12]
	v_fma_f64 v[40:41], -v[11:12], v[13:14], 1.0
	s_delay_alu instid0(VALU_DEP_1) | instskip(NEXT) | instid1(VALU_DEP_1)
	v_fma_f64 v[13:14], v[13:14], v[40:41], v[13:14]
	v_fma_f64 v[40:41], -v[11:12], v[13:14], 1.0
	s_delay_alu instid0(VALU_DEP_1) | instskip(NEXT) | instid1(VALU_DEP_1)
	v_fma_f64 v[13:14], v[13:14], v[40:41], v[13:14]
	v_mul_f64_e32 v[40:41], v[42:43], v[13:14]
	s_delay_alu instid0(VALU_DEP_1) | instskip(SKIP_1) | instid1(VALU_DEP_1)
	v_fma_f64 v[11:12], -v[11:12], v[40:41], v[42:43]
	s_wait_alu 0xfffd
	v_div_fmas_f64 v[11:12], v[11:12], v[13:14], v[40:41]
	s_delay_alu instid0(VALU_DEP_1) | instskip(NEXT) | instid1(VALU_DEP_1)
	v_div_fixup_f64 v[11:12], v[11:12], v[23:24], v[25:26]
	v_fma_f64 v[13:14], v[25:26], v[11:12], v[23:24]
	s_delay_alu instid0(VALU_DEP_1) | instskip(SKIP_1) | instid1(VALU_DEP_2)
	v_div_scale_f64 v[23:24], null, v[13:14], v[13:14], 1.0
	v_div_scale_f64 v[42:43], vcc_lo, 1.0, v[13:14], 1.0
	v_rcp_f64_e32 v[25:26], v[23:24]
	s_delay_alu instid0(TRANS32_DEP_1) | instskip(NEXT) | instid1(VALU_DEP_1)
	v_fma_f64 v[40:41], -v[23:24], v[25:26], 1.0
	v_fma_f64 v[25:26], v[25:26], v[40:41], v[25:26]
	s_delay_alu instid0(VALU_DEP_1) | instskip(NEXT) | instid1(VALU_DEP_1)
	v_fma_f64 v[40:41], -v[23:24], v[25:26], 1.0
	v_fma_f64 v[25:26], v[25:26], v[40:41], v[25:26]
	s_delay_alu instid0(VALU_DEP_1) | instskip(NEXT) | instid1(VALU_DEP_1)
	v_mul_f64_e32 v[40:41], v[42:43], v[25:26]
	v_fma_f64 v[23:24], -v[23:24], v[40:41], v[42:43]
	s_wait_alu 0xfffd
	s_delay_alu instid0(VALU_DEP_1) | instskip(SKIP_2) | instid1(VALU_DEP_3)
	v_div_fmas_f64 v[23:24], v[23:24], v[25:26], v[40:41]
	v_fma_f64 v[25:26], v[21:22], v[11:12], v[19:20]
	v_fma_f64 v[19:20], -v[19:20], v[11:12], v[21:22]
	v_div_fixup_f64 v[13:14], v[23:24], v[13:14], 1.0
	s_delay_alu instid0(VALU_DEP_1) | instskip(NEXT) | instid1(VALU_DEP_3)
	v_mul_f64_e32 v[11:12], v[25:26], v[13:14]
	v_mul_f64_e32 v[13:14], v[19:20], v[13:14]
.LBB213_120:                            ;   in Loop: Header=BB213_114 Depth=2
	s_lshl_b32 s37, s36, 4
	s_lshl_b32 s36, s21, 4
	s_wait_alu 0xfffe
	s_addk_co_i32 s37, 0xc0
	s_wait_alu 0xfffe
	s_add_co_i32 s38, s37, s36
	s_wait_alu 0xfffe
	v_mov_b32_e32 v19, s38
	ds_load_b128 v[23:26], v19
	ds_load_b128 v[19:22], v19 offset:16
	ds_store_b128 v30, v[11:14]
	s_wait_dscnt 0x2
	v_mul_f64_e32 v[40:41], v[13:14], v[25:26]
	v_mul_f64_e32 v[25:26], v[11:12], v[25:26]
	s_wait_dscnt 0x1
	v_cmp_ngt_f64_e64 s38, |v[19:20]|, |v[21:22]|
	s_delay_alu instid0(VALU_DEP_3) | instskip(NEXT) | instid1(VALU_DEP_3)
	v_fma_f64 v[40:41], v[11:12], v[23:24], -v[40:41]
	v_fma_f64 v[25:26], v[13:14], v[23:24], v[25:26]
	s_and_b32 vcc_lo, exec_lo, s38
	s_mov_b32 s38, -1
	s_delay_alu instid0(VALU_DEP_2) | instskip(NEXT) | instid1(VALU_DEP_2)
	v_add_f64_e64 v[23:24], v[15:16], -v[40:41]
	v_add_f64_e64 v[25:26], v[17:18], -v[25:26]
                                        ; implicit-def: $vgpr17_vgpr18
	s_wait_alu 0xfffe
	s_cbranch_vccz .LBB213_122
; %bb.121:                              ;   in Loop: Header=BB213_114 Depth=2
	v_div_scale_f64 v[15:16], null, v[21:22], v[21:22], v[19:20]
	v_div_scale_f64 v[42:43], vcc_lo, v[19:20], v[21:22], v[19:20]
	s_mov_b32 s38, 0
	v_rcp_f64_e32 v[17:18], v[15:16]
	s_delay_alu instid0(TRANS32_DEP_1) | instskip(NEXT) | instid1(VALU_DEP_1)
	v_fma_f64 v[40:41], -v[15:16], v[17:18], 1.0
	v_fma_f64 v[17:18], v[17:18], v[40:41], v[17:18]
	s_delay_alu instid0(VALU_DEP_1) | instskip(NEXT) | instid1(VALU_DEP_1)
	v_fma_f64 v[40:41], -v[15:16], v[17:18], 1.0
	v_fma_f64 v[17:18], v[17:18], v[40:41], v[17:18]
	s_delay_alu instid0(VALU_DEP_1) | instskip(NEXT) | instid1(VALU_DEP_1)
	v_mul_f64_e32 v[40:41], v[42:43], v[17:18]
	v_fma_f64 v[15:16], -v[15:16], v[40:41], v[42:43]
	s_wait_alu 0xfffd
	s_delay_alu instid0(VALU_DEP_1) | instskip(NEXT) | instid1(VALU_DEP_1)
	v_div_fmas_f64 v[15:16], v[15:16], v[17:18], v[40:41]
	v_div_fixup_f64 v[15:16], v[15:16], v[21:22], v[19:20]
	s_delay_alu instid0(VALU_DEP_1) | instskip(NEXT) | instid1(VALU_DEP_1)
	v_fma_f64 v[17:18], v[19:20], v[15:16], v[21:22]
	v_div_scale_f64 v[40:41], null, v[17:18], v[17:18], 1.0
	v_div_scale_f64 v[46:47], vcc_lo, 1.0, v[17:18], 1.0
	s_delay_alu instid0(VALU_DEP_2) | instskip(NEXT) | instid1(TRANS32_DEP_1)
	v_rcp_f64_e32 v[42:43], v[40:41]
	v_fma_f64 v[44:45], -v[40:41], v[42:43], 1.0
	s_delay_alu instid0(VALU_DEP_1) | instskip(NEXT) | instid1(VALU_DEP_1)
	v_fma_f64 v[42:43], v[42:43], v[44:45], v[42:43]
	v_fma_f64 v[44:45], -v[40:41], v[42:43], 1.0
	s_delay_alu instid0(VALU_DEP_1) | instskip(NEXT) | instid1(VALU_DEP_1)
	v_fma_f64 v[42:43], v[42:43], v[44:45], v[42:43]
	v_mul_f64_e32 v[44:45], v[46:47], v[42:43]
	s_delay_alu instid0(VALU_DEP_1) | instskip(SKIP_1) | instid1(VALU_DEP_1)
	v_fma_f64 v[40:41], -v[40:41], v[44:45], v[46:47]
	s_wait_alu 0xfffd
	v_div_fmas_f64 v[40:41], v[40:41], v[42:43], v[44:45]
	v_fma_f64 v[42:43], v[15:16], v[23:24], v[25:26]
	s_delay_alu instid0(VALU_DEP_2) | instskip(SKIP_1) | instid1(VALU_DEP_2)
	v_div_fixup_f64 v[17:18], v[40:41], v[17:18], 1.0
	v_fma_f64 v[40:41], v[15:16], v[25:26], -v[23:24]
	v_mul_f64_e32 v[15:16], v[42:43], v[17:18]
	s_delay_alu instid0(VALU_DEP_2)
	v_mul_f64_e32 v[17:18], v[40:41], v[17:18]
.LBB213_122:                            ;   in Loop: Header=BB213_114 Depth=2
	s_wait_alu 0xfffe
	s_and_not1_b32 vcc_lo, exec_lo, s38
	s_wait_alu 0xfffe
	s_cbranch_vccnz .LBB213_124
; %bb.123:                              ;   in Loop: Header=BB213_114 Depth=2
	v_div_scale_f64 v[15:16], null, v[19:20], v[19:20], v[21:22]
	v_div_scale_f64 v[42:43], vcc_lo, v[21:22], v[19:20], v[21:22]
	s_delay_alu instid0(VALU_DEP_2) | instskip(NEXT) | instid1(TRANS32_DEP_1)
	v_rcp_f64_e32 v[17:18], v[15:16]
	v_fma_f64 v[40:41], -v[15:16], v[17:18], 1.0
	s_delay_alu instid0(VALU_DEP_1) | instskip(NEXT) | instid1(VALU_DEP_1)
	v_fma_f64 v[17:18], v[17:18], v[40:41], v[17:18]
	v_fma_f64 v[40:41], -v[15:16], v[17:18], 1.0
	s_delay_alu instid0(VALU_DEP_1) | instskip(NEXT) | instid1(VALU_DEP_1)
	v_fma_f64 v[17:18], v[17:18], v[40:41], v[17:18]
	v_mul_f64_e32 v[40:41], v[42:43], v[17:18]
	s_delay_alu instid0(VALU_DEP_1) | instskip(SKIP_1) | instid1(VALU_DEP_1)
	v_fma_f64 v[15:16], -v[15:16], v[40:41], v[42:43]
	s_wait_alu 0xfffd
	v_div_fmas_f64 v[15:16], v[15:16], v[17:18], v[40:41]
	s_delay_alu instid0(VALU_DEP_1) | instskip(NEXT) | instid1(VALU_DEP_1)
	v_div_fixup_f64 v[15:16], v[15:16], v[19:20], v[21:22]
	v_fma_f64 v[17:18], v[21:22], v[15:16], v[19:20]
	s_delay_alu instid0(VALU_DEP_1) | instskip(SKIP_1) | instid1(VALU_DEP_2)
	v_div_scale_f64 v[19:20], null, v[17:18], v[17:18], 1.0
	v_div_scale_f64 v[42:43], vcc_lo, 1.0, v[17:18], 1.0
	v_rcp_f64_e32 v[21:22], v[19:20]
	s_delay_alu instid0(TRANS32_DEP_1) | instskip(NEXT) | instid1(VALU_DEP_1)
	v_fma_f64 v[40:41], -v[19:20], v[21:22], 1.0
	v_fma_f64 v[21:22], v[21:22], v[40:41], v[21:22]
	s_delay_alu instid0(VALU_DEP_1) | instskip(NEXT) | instid1(VALU_DEP_1)
	v_fma_f64 v[40:41], -v[19:20], v[21:22], 1.0
	v_fma_f64 v[21:22], v[21:22], v[40:41], v[21:22]
	s_delay_alu instid0(VALU_DEP_1) | instskip(NEXT) | instid1(VALU_DEP_1)
	v_mul_f64_e32 v[40:41], v[42:43], v[21:22]
	v_fma_f64 v[19:20], -v[19:20], v[40:41], v[42:43]
	s_wait_alu 0xfffd
	s_delay_alu instid0(VALU_DEP_1) | instskip(SKIP_1) | instid1(VALU_DEP_2)
	v_div_fmas_f64 v[19:20], v[19:20], v[21:22], v[40:41]
	v_fma_f64 v[21:22], v[15:16], v[25:26], v[23:24]
	v_div_fixup_f64 v[17:18], v[19:20], v[17:18], 1.0
	v_fma_f64 v[19:20], -v[15:16], v[23:24], v[25:26]
	s_delay_alu instid0(VALU_DEP_2) | instskip(NEXT) | instid1(VALU_DEP_2)
	v_mul_f64_e32 v[15:16], v[21:22], v[17:18]
	v_mul_f64_e32 v[17:18], v[19:20], v[17:18]
.LBB213_124:                            ;   in Loop: Header=BB213_114 Depth=2
	s_addk_co_i32 s37, 0xc0
	s_wait_alu 0xfffe
	s_add_co_i32 s36, s37, s36
	s_wait_alu 0xfffe
	v_mov_b32_e32 v31, s36
	ds_load_b128 v[19:22], v31
	ds_load_b128 v[23:26], v31 offset:16
	ds_store_b128 v30, v[15:18] offset:192
	s_wait_dscnt 0x2
	v_mul_f64_e32 v[40:41], v[13:14], v[21:22]
	v_mul_f64_e32 v[21:22], v[11:12], v[21:22]
	s_wait_dscnt 0x1
	v_mul_f64_e32 v[42:43], v[17:18], v[25:26]
	v_mul_f64_e32 v[25:26], v[15:16], v[25:26]
	s_delay_alu instid0(VALU_DEP_4) | instskip(NEXT) | instid1(VALU_DEP_4)
	v_fma_f64 v[40:41], v[11:12], v[19:20], -v[40:41]
	v_fma_f64 v[19:20], v[13:14], v[19:20], v[21:22]
	s_delay_alu instid0(VALU_DEP_4) | instskip(NEXT) | instid1(VALU_DEP_4)
	v_fma_f64 v[21:22], v[15:16], v[23:24], -v[42:43]
	v_fma_f64 v[25:26], v[17:18], v[23:24], v[25:26]
	s_delay_alu instid0(VALU_DEP_4) | instskip(NEXT) | instid1(VALU_DEP_4)
	v_add_f64_e64 v[23:24], v[7:8], -v[40:41]
	v_add_f64_e64 v[19:20], v[9:10], -v[19:20]
	ds_load_b128 v[7:10], v31 offset:32
	s_wait_dscnt 0x0
	v_cmp_ngt_f64_e64 s37, |v[7:8]|, |v[9:10]|
	v_add_f64_e64 v[23:24], v[23:24], -v[21:22]
	v_add_f64_e64 v[25:26], v[19:20], -v[25:26]
                                        ; implicit-def: $vgpr21_vgpr22
	s_and_b32 vcc_lo, exec_lo, s37
	s_mov_b32 s37, -1
	s_wait_alu 0xfffe
	s_cbranch_vccz .LBB213_126
; %bb.125:                              ;   in Loop: Header=BB213_114 Depth=2
	v_div_scale_f64 v[19:20], null, v[9:10], v[9:10], v[7:8]
	v_div_scale_f64 v[42:43], vcc_lo, v[7:8], v[9:10], v[7:8]
	s_mov_b32 s37, 0
	v_rcp_f64_e32 v[21:22], v[19:20]
	s_delay_alu instid0(TRANS32_DEP_1) | instskip(NEXT) | instid1(VALU_DEP_1)
	v_fma_f64 v[40:41], -v[19:20], v[21:22], 1.0
	v_fma_f64 v[21:22], v[21:22], v[40:41], v[21:22]
	s_delay_alu instid0(VALU_DEP_1) | instskip(NEXT) | instid1(VALU_DEP_1)
	v_fma_f64 v[40:41], -v[19:20], v[21:22], 1.0
	v_fma_f64 v[21:22], v[21:22], v[40:41], v[21:22]
	s_delay_alu instid0(VALU_DEP_1) | instskip(NEXT) | instid1(VALU_DEP_1)
	v_mul_f64_e32 v[40:41], v[42:43], v[21:22]
	v_fma_f64 v[19:20], -v[19:20], v[40:41], v[42:43]
	s_wait_alu 0xfffd
	s_delay_alu instid0(VALU_DEP_1) | instskip(NEXT) | instid1(VALU_DEP_1)
	v_div_fmas_f64 v[19:20], v[19:20], v[21:22], v[40:41]
	v_div_fixup_f64 v[19:20], v[19:20], v[9:10], v[7:8]
	s_delay_alu instid0(VALU_DEP_1) | instskip(NEXT) | instid1(VALU_DEP_1)
	v_fma_f64 v[21:22], v[7:8], v[19:20], v[9:10]
	v_div_scale_f64 v[40:41], null, v[21:22], v[21:22], 1.0
	v_div_scale_f64 v[46:47], vcc_lo, 1.0, v[21:22], 1.0
	s_delay_alu instid0(VALU_DEP_2) | instskip(NEXT) | instid1(TRANS32_DEP_1)
	v_rcp_f64_e32 v[42:43], v[40:41]
	v_fma_f64 v[44:45], -v[40:41], v[42:43], 1.0
	s_delay_alu instid0(VALU_DEP_1) | instskip(NEXT) | instid1(VALU_DEP_1)
	v_fma_f64 v[42:43], v[42:43], v[44:45], v[42:43]
	v_fma_f64 v[44:45], -v[40:41], v[42:43], 1.0
	s_delay_alu instid0(VALU_DEP_1) | instskip(NEXT) | instid1(VALU_DEP_1)
	v_fma_f64 v[42:43], v[42:43], v[44:45], v[42:43]
	v_mul_f64_e32 v[44:45], v[46:47], v[42:43]
	s_delay_alu instid0(VALU_DEP_1) | instskip(SKIP_1) | instid1(VALU_DEP_1)
	v_fma_f64 v[40:41], -v[40:41], v[44:45], v[46:47]
	s_wait_alu 0xfffd
	v_div_fmas_f64 v[40:41], v[40:41], v[42:43], v[44:45]
	v_fma_f64 v[42:43], v[19:20], v[23:24], v[25:26]
	s_delay_alu instid0(VALU_DEP_2) | instskip(SKIP_1) | instid1(VALU_DEP_2)
	v_div_fixup_f64 v[21:22], v[40:41], v[21:22], 1.0
	v_fma_f64 v[40:41], v[19:20], v[25:26], -v[23:24]
	v_mul_f64_e32 v[19:20], v[42:43], v[21:22]
	s_delay_alu instid0(VALU_DEP_2)
	v_mul_f64_e32 v[21:22], v[40:41], v[21:22]
.LBB213_126:                            ;   in Loop: Header=BB213_114 Depth=2
	s_wait_alu 0xfffe
	s_and_not1_b32 vcc_lo, exec_lo, s37
	s_wait_alu 0xfffe
	s_cbranch_vccnz .LBB213_128
; %bb.127:                              ;   in Loop: Header=BB213_114 Depth=2
	v_div_scale_f64 v[19:20], null, v[7:8], v[7:8], v[9:10]
	v_div_scale_f64 v[42:43], vcc_lo, v[9:10], v[7:8], v[9:10]
	s_delay_alu instid0(VALU_DEP_2) | instskip(NEXT) | instid1(TRANS32_DEP_1)
	v_rcp_f64_e32 v[21:22], v[19:20]
	v_fma_f64 v[40:41], -v[19:20], v[21:22], 1.0
	s_delay_alu instid0(VALU_DEP_1) | instskip(NEXT) | instid1(VALU_DEP_1)
	v_fma_f64 v[21:22], v[21:22], v[40:41], v[21:22]
	v_fma_f64 v[40:41], -v[19:20], v[21:22], 1.0
	s_delay_alu instid0(VALU_DEP_1) | instskip(NEXT) | instid1(VALU_DEP_1)
	v_fma_f64 v[21:22], v[21:22], v[40:41], v[21:22]
	v_mul_f64_e32 v[40:41], v[42:43], v[21:22]
	s_delay_alu instid0(VALU_DEP_1) | instskip(SKIP_1) | instid1(VALU_DEP_1)
	v_fma_f64 v[19:20], -v[19:20], v[40:41], v[42:43]
	s_wait_alu 0xfffd
	v_div_fmas_f64 v[19:20], v[19:20], v[21:22], v[40:41]
	s_delay_alu instid0(VALU_DEP_1) | instskip(NEXT) | instid1(VALU_DEP_1)
	v_div_fixup_f64 v[19:20], v[19:20], v[7:8], v[9:10]
	v_fma_f64 v[7:8], v[9:10], v[19:20], v[7:8]
	s_delay_alu instid0(VALU_DEP_1) | instskip(SKIP_1) | instid1(VALU_DEP_2)
	v_div_scale_f64 v[9:10], null, v[7:8], v[7:8], 1.0
	v_div_scale_f64 v[42:43], vcc_lo, 1.0, v[7:8], 1.0
	v_rcp_f64_e32 v[21:22], v[9:10]
	s_delay_alu instid0(TRANS32_DEP_1) | instskip(NEXT) | instid1(VALU_DEP_1)
	v_fma_f64 v[40:41], -v[9:10], v[21:22], 1.0
	v_fma_f64 v[21:22], v[21:22], v[40:41], v[21:22]
	s_delay_alu instid0(VALU_DEP_1) | instskip(NEXT) | instid1(VALU_DEP_1)
	v_fma_f64 v[40:41], -v[9:10], v[21:22], 1.0
	v_fma_f64 v[21:22], v[21:22], v[40:41], v[21:22]
	s_delay_alu instid0(VALU_DEP_1) | instskip(NEXT) | instid1(VALU_DEP_1)
	v_mul_f64_e32 v[40:41], v[42:43], v[21:22]
	v_fma_f64 v[9:10], -v[9:10], v[40:41], v[42:43]
	s_wait_alu 0xfffd
	s_delay_alu instid0(VALU_DEP_1) | instskip(SKIP_1) | instid1(VALU_DEP_2)
	v_div_fmas_f64 v[9:10], v[9:10], v[21:22], v[40:41]
	v_fma_f64 v[21:22], v[19:20], v[25:26], v[23:24]
	v_div_fixup_f64 v[7:8], v[9:10], v[7:8], 1.0
	v_fma_f64 v[9:10], -v[19:20], v[23:24], v[25:26]
	s_delay_alu instid0(VALU_DEP_2) | instskip(NEXT) | instid1(VALU_DEP_2)
	v_mul_f64_e32 v[19:20], v[21:22], v[7:8]
	v_mul_f64_e32 v[21:22], v[9:10], v[7:8]
.LBB213_128:                            ;   in Loop: Header=BB213_114 Depth=2
	v_mov_b32_e32 v31, s36
	ds_load_b128 v[7:10], v31 offset:192
	ds_load_b128 v[23:26], v31 offset:208
	s_wait_dscnt 0x1
	v_mul_f64_e32 v[40:41], v[13:14], v[9:10]
	v_mul_f64_e32 v[9:10], v[11:12], v[9:10]
	s_wait_dscnt 0x0
	v_mul_f64_e32 v[42:43], v[17:18], v[25:26]
	v_mul_f64_e32 v[25:26], v[15:16], v[25:26]
	s_delay_alu instid0(VALU_DEP_4) | instskip(NEXT) | instid1(VALU_DEP_4)
	v_fma_f64 v[40:41], v[11:12], v[7:8], -v[40:41]
	v_fma_f64 v[44:45], v[13:14], v[7:8], v[9:10]
	ds_load_b128 v[11:14], v31 offset:224
	ds_load_b128 v[7:10], v31 offset:240
	v_fma_f64 v[15:16], v[15:16], v[23:24], -v[42:43]
	v_fma_f64 v[17:18], v[17:18], v[23:24], v[25:26]
	ds_store_b128 v30, v[19:22] offset:384
	s_wait_dscnt 0x2
	v_mul_f64_e32 v[46:47], v[21:22], v[13:14]
	v_mul_f64_e32 v[13:14], v[19:20], v[13:14]
	s_wait_dscnt 0x1
	v_cmp_ngt_f64_e64 s36, |v[7:8]|, |v[9:10]|
	v_add_f64_e64 v[3:4], v[3:4], -v[40:41]
	v_add_f64_e64 v[5:6], v[5:6], -v[44:45]
	v_fma_f64 v[23:24], v[19:20], v[11:12], -v[46:47]
	v_fma_f64 v[13:14], v[21:22], v[11:12], v[13:14]
	s_and_b32 vcc_lo, exec_lo, s36
	s_mov_b32 s36, -1
	s_delay_alu instid0(VALU_DEP_4) | instskip(NEXT) | instid1(VALU_DEP_4)
	v_add_f64_e64 v[3:4], v[3:4], -v[15:16]
	v_add_f64_e64 v[5:6], v[5:6], -v[17:18]
	s_delay_alu instid0(VALU_DEP_2) | instskip(NEXT) | instid1(VALU_DEP_2)
	v_add_f64_e64 v[11:12], v[3:4], -v[23:24]
	v_add_f64_e64 v[13:14], v[5:6], -v[13:14]
                                        ; implicit-def: $vgpr5_vgpr6
	s_wait_alu 0xfffe
	s_cbranch_vccz .LBB213_130
; %bb.129:                              ;   in Loop: Header=BB213_114 Depth=2
	v_div_scale_f64 v[3:4], null, v[9:10], v[9:10], v[7:8]
	v_div_scale_f64 v[17:18], vcc_lo, v[7:8], v[9:10], v[7:8]
	s_mov_b32 s36, 0
	v_rcp_f64_e32 v[5:6], v[3:4]
	s_delay_alu instid0(TRANS32_DEP_1) | instskip(NEXT) | instid1(VALU_DEP_1)
	v_fma_f64 v[15:16], -v[3:4], v[5:6], 1.0
	v_fma_f64 v[5:6], v[5:6], v[15:16], v[5:6]
	s_delay_alu instid0(VALU_DEP_1) | instskip(NEXT) | instid1(VALU_DEP_1)
	v_fma_f64 v[15:16], -v[3:4], v[5:6], 1.0
	v_fma_f64 v[5:6], v[5:6], v[15:16], v[5:6]
	s_delay_alu instid0(VALU_DEP_1) | instskip(NEXT) | instid1(VALU_DEP_1)
	v_mul_f64_e32 v[15:16], v[17:18], v[5:6]
	v_fma_f64 v[3:4], -v[3:4], v[15:16], v[17:18]
	s_wait_alu 0xfffd
	s_delay_alu instid0(VALU_DEP_1) | instskip(NEXT) | instid1(VALU_DEP_1)
	v_div_fmas_f64 v[3:4], v[3:4], v[5:6], v[15:16]
	v_div_fixup_f64 v[3:4], v[3:4], v[9:10], v[7:8]
	s_delay_alu instid0(VALU_DEP_1) | instskip(NEXT) | instid1(VALU_DEP_1)
	v_fma_f64 v[5:6], v[7:8], v[3:4], v[9:10]
	v_div_scale_f64 v[15:16], null, v[5:6], v[5:6], 1.0
	v_div_scale_f64 v[21:22], vcc_lo, 1.0, v[5:6], 1.0
	s_delay_alu instid0(VALU_DEP_2) | instskip(NEXT) | instid1(TRANS32_DEP_1)
	v_rcp_f64_e32 v[17:18], v[15:16]
	v_fma_f64 v[19:20], -v[15:16], v[17:18], 1.0
	s_delay_alu instid0(VALU_DEP_1) | instskip(NEXT) | instid1(VALU_DEP_1)
	v_fma_f64 v[17:18], v[17:18], v[19:20], v[17:18]
	v_fma_f64 v[19:20], -v[15:16], v[17:18], 1.0
	s_delay_alu instid0(VALU_DEP_1) | instskip(NEXT) | instid1(VALU_DEP_1)
	v_fma_f64 v[17:18], v[17:18], v[19:20], v[17:18]
	v_mul_f64_e32 v[19:20], v[21:22], v[17:18]
	s_delay_alu instid0(VALU_DEP_1) | instskip(SKIP_1) | instid1(VALU_DEP_1)
	v_fma_f64 v[15:16], -v[15:16], v[19:20], v[21:22]
	s_wait_alu 0xfffd
	v_div_fmas_f64 v[15:16], v[15:16], v[17:18], v[19:20]
	v_fma_f64 v[17:18], v[3:4], v[11:12], v[13:14]
	s_delay_alu instid0(VALU_DEP_2) | instskip(SKIP_1) | instid1(VALU_DEP_2)
	v_div_fixup_f64 v[5:6], v[15:16], v[5:6], 1.0
	v_fma_f64 v[15:16], v[3:4], v[13:14], -v[11:12]
	v_mul_f64_e32 v[3:4], v[17:18], v[5:6]
	s_delay_alu instid0(VALU_DEP_2)
	v_mul_f64_e32 v[5:6], v[15:16], v[5:6]
.LBB213_130:                            ;   in Loop: Header=BB213_114 Depth=2
	s_wait_alu 0xfffe
	s_and_not1_b32 vcc_lo, exec_lo, s36
	s_wait_alu 0xfffe
	s_cbranch_vccnz .LBB213_132
; %bb.131:                              ;   in Loop: Header=BB213_114 Depth=2
	v_div_scale_f64 v[3:4], null, v[7:8], v[7:8], v[9:10]
	v_div_scale_f64 v[17:18], vcc_lo, v[9:10], v[7:8], v[9:10]
	s_delay_alu instid0(VALU_DEP_2) | instskip(NEXT) | instid1(TRANS32_DEP_1)
	v_rcp_f64_e32 v[5:6], v[3:4]
	v_fma_f64 v[15:16], -v[3:4], v[5:6], 1.0
	s_delay_alu instid0(VALU_DEP_1) | instskip(NEXT) | instid1(VALU_DEP_1)
	v_fma_f64 v[5:6], v[5:6], v[15:16], v[5:6]
	v_fma_f64 v[15:16], -v[3:4], v[5:6], 1.0
	s_delay_alu instid0(VALU_DEP_1) | instskip(NEXT) | instid1(VALU_DEP_1)
	v_fma_f64 v[5:6], v[5:6], v[15:16], v[5:6]
	v_mul_f64_e32 v[15:16], v[17:18], v[5:6]
	s_delay_alu instid0(VALU_DEP_1) | instskip(SKIP_1) | instid1(VALU_DEP_1)
	v_fma_f64 v[3:4], -v[3:4], v[15:16], v[17:18]
	s_wait_alu 0xfffd
	v_div_fmas_f64 v[3:4], v[3:4], v[5:6], v[15:16]
	s_delay_alu instid0(VALU_DEP_1) | instskip(NEXT) | instid1(VALU_DEP_1)
	v_div_fixup_f64 v[3:4], v[3:4], v[7:8], v[9:10]
	v_fma_f64 v[5:6], v[9:10], v[3:4], v[7:8]
	s_delay_alu instid0(VALU_DEP_1) | instskip(SKIP_1) | instid1(VALU_DEP_2)
	v_div_scale_f64 v[7:8], null, v[5:6], v[5:6], 1.0
	v_div_scale_f64 v[17:18], vcc_lo, 1.0, v[5:6], 1.0
	v_rcp_f64_e32 v[9:10], v[7:8]
	s_delay_alu instid0(TRANS32_DEP_1) | instskip(NEXT) | instid1(VALU_DEP_1)
	v_fma_f64 v[15:16], -v[7:8], v[9:10], 1.0
	v_fma_f64 v[9:10], v[9:10], v[15:16], v[9:10]
	s_delay_alu instid0(VALU_DEP_1) | instskip(NEXT) | instid1(VALU_DEP_1)
	v_fma_f64 v[15:16], -v[7:8], v[9:10], 1.0
	v_fma_f64 v[9:10], v[9:10], v[15:16], v[9:10]
	s_delay_alu instid0(VALU_DEP_1) | instskip(NEXT) | instid1(VALU_DEP_1)
	v_mul_f64_e32 v[15:16], v[17:18], v[9:10]
	v_fma_f64 v[7:8], -v[7:8], v[15:16], v[17:18]
	s_wait_alu 0xfffd
	s_delay_alu instid0(VALU_DEP_1) | instskip(SKIP_1) | instid1(VALU_DEP_2)
	v_div_fmas_f64 v[7:8], v[7:8], v[9:10], v[15:16]
	v_fma_f64 v[9:10], v[3:4], v[13:14], v[11:12]
	v_div_fixup_f64 v[5:6], v[7:8], v[5:6], 1.0
	v_fma_f64 v[7:8], -v[3:4], v[11:12], v[13:14]
	s_delay_alu instid0(VALU_DEP_2) | instskip(NEXT) | instid1(VALU_DEP_2)
	v_mul_f64_e32 v[3:4], v[9:10], v[5:6]
	v_mul_f64_e32 v[5:6], v[7:8], v[5:6]
.LBB213_132:                            ;   in Loop: Header=BB213_114 Depth=2
	s_add_co_i32 s36, s21, 4
	s_add_co_i32 s21, s21, 7
	s_addk_co_i32 s20, 0x300
	s_wait_alu 0xfffe
	s_cmp_ge_i32 s21, s26
	ds_store_b128 v30, v[3:6] offset:576
	s_cbranch_scc1 .LBB213_134
; %bb.133:                              ;   in Loop: Header=BB213_114 Depth=2
	s_mov_b32 s21, s36
	s_branch .LBB213_114
.LBB213_134:                            ;   in Loop: Header=BB213_3 Depth=1
	s_cmp_ge_i32 s36, s26
	s_cbranch_scc1 .LBB213_143
; %bb.135:                              ;   in Loop: Header=BB213_3 Depth=1
	s_mul_i32 s20, s36, 0xc0
	s_branch .LBB213_137
.LBB213_136:                            ;   in Loop: Header=BB213_137 Depth=2
	s_add_co_i32 s36, s36, 1
	s_addk_co_i32 s20, 0xc0
	s_wait_alu 0xfffe
	s_cmp_ge_i32 s36, s26
	ds_store_b128 v15, v[11:14]
	s_cbranch_scc1 .LBB213_143
.LBB213_137:                            ;   Parent Loop BB213_3 Depth=1
                                        ; =>  This Loop Header: Depth=2
                                        ;       Child Loop BB213_138 Depth 3
	v_mad_co_u64_u32 v[15:16], null, 0xc0, s36, v[27:28]
	v_mov_b32_e32 v7, v27
	s_cmp_eq_u32 s36, 0
	s_wait_alu 0xfffe
	s_mov_b32 s21, s20
	s_mov_b32 s37, s36
	ds_load_b128 v[3:6], v15
	s_cbranch_scc1 .LBB213_139
.LBB213_138:                            ;   Parent Loop BB213_3 Depth=1
                                        ;     Parent Loop BB213_137 Depth=2
                                        ; =>    This Inner Loop Header: Depth=3
	s_wait_alu 0xfffe
	v_mov_b32_e32 v12, s21
	s_add_co_i32 s37, s37, -1
	s_add_co_i32 s21, s21, 16
	s_wait_alu 0xfffe
	s_cmp_eq_u32 s37, 0
	ds_load_b128 v[8:11], v7
	ds_load_b128 v[16:19], v12
	v_add_nc_u32_e32 v7, 0xc0, v7
	s_wait_dscnt 0x0
	v_mul_f64_e32 v[12:13], v[18:19], v[10:11]
	v_mul_f64_e32 v[10:11], v[16:17], v[10:11]
	s_delay_alu instid0(VALU_DEP_2) | instskip(NEXT) | instid1(VALU_DEP_2)
	v_fma_f64 v[12:13], v[16:17], v[8:9], -v[12:13]
	v_fma_f64 v[8:9], v[18:19], v[8:9], v[10:11]
	s_delay_alu instid0(VALU_DEP_2) | instskip(NEXT) | instid1(VALU_DEP_2)
	v_add_f64_e64 v[3:4], v[3:4], -v[12:13]
	v_add_f64_e64 v[5:6], v[5:6], -v[8:9]
	s_cbranch_scc0 .LBB213_138
.LBB213_139:                            ;   in Loop: Header=BB213_137 Depth=2
	s_mul_i32 s21, s36, 0xd0
                                        ; implicit-def: $vgpr11_vgpr12
	s_wait_alu 0xfffe
	v_mov_b32_e32 v7, s21
	ds_load_b128 v[7:10], v7
	s_wait_dscnt 0x0
	v_cmp_ngt_f64_e64 s21, |v[7:8]|, |v[9:10]|
	s_and_b32 vcc_lo, exec_lo, s21
	s_mov_b32 s21, -1
	s_wait_alu 0xfffe
	s_cbranch_vccz .LBB213_141
; %bb.140:                              ;   in Loop: Header=BB213_137 Depth=2
	v_div_scale_f64 v[11:12], null, v[9:10], v[9:10], v[7:8]
	v_div_scale_f64 v[18:19], vcc_lo, v[7:8], v[9:10], v[7:8]
	s_mov_b32 s21, 0
	v_rcp_f64_e32 v[13:14], v[11:12]
	s_delay_alu instid0(TRANS32_DEP_1) | instskip(NEXT) | instid1(VALU_DEP_1)
	v_fma_f64 v[16:17], -v[11:12], v[13:14], 1.0
	v_fma_f64 v[13:14], v[13:14], v[16:17], v[13:14]
	s_delay_alu instid0(VALU_DEP_1) | instskip(NEXT) | instid1(VALU_DEP_1)
	v_fma_f64 v[16:17], -v[11:12], v[13:14], 1.0
	v_fma_f64 v[13:14], v[13:14], v[16:17], v[13:14]
	s_delay_alu instid0(VALU_DEP_1) | instskip(NEXT) | instid1(VALU_DEP_1)
	v_mul_f64_e32 v[16:17], v[18:19], v[13:14]
	v_fma_f64 v[11:12], -v[11:12], v[16:17], v[18:19]
	s_wait_alu 0xfffd
	s_delay_alu instid0(VALU_DEP_1) | instskip(NEXT) | instid1(VALU_DEP_1)
	v_div_fmas_f64 v[11:12], v[11:12], v[13:14], v[16:17]
	v_div_fixup_f64 v[11:12], v[11:12], v[9:10], v[7:8]
	s_delay_alu instid0(VALU_DEP_1) | instskip(NEXT) | instid1(VALU_DEP_1)
	v_fma_f64 v[13:14], v[7:8], v[11:12], v[9:10]
	v_div_scale_f64 v[16:17], null, v[13:14], v[13:14], 1.0
	v_div_scale_f64 v[22:23], vcc_lo, 1.0, v[13:14], 1.0
	s_delay_alu instid0(VALU_DEP_2) | instskip(NEXT) | instid1(TRANS32_DEP_1)
	v_rcp_f64_e32 v[18:19], v[16:17]
	v_fma_f64 v[20:21], -v[16:17], v[18:19], 1.0
	s_delay_alu instid0(VALU_DEP_1) | instskip(NEXT) | instid1(VALU_DEP_1)
	v_fma_f64 v[18:19], v[18:19], v[20:21], v[18:19]
	v_fma_f64 v[20:21], -v[16:17], v[18:19], 1.0
	s_delay_alu instid0(VALU_DEP_1) | instskip(NEXT) | instid1(VALU_DEP_1)
	v_fma_f64 v[18:19], v[18:19], v[20:21], v[18:19]
	v_mul_f64_e32 v[20:21], v[22:23], v[18:19]
	s_delay_alu instid0(VALU_DEP_1) | instskip(SKIP_1) | instid1(VALU_DEP_1)
	v_fma_f64 v[16:17], -v[16:17], v[20:21], v[22:23]
	s_wait_alu 0xfffd
	v_div_fmas_f64 v[16:17], v[16:17], v[18:19], v[20:21]
	v_fma_f64 v[18:19], v[3:4], v[11:12], v[5:6]
	s_delay_alu instid0(VALU_DEP_2) | instskip(SKIP_1) | instid1(VALU_DEP_2)
	v_div_fixup_f64 v[13:14], v[16:17], v[13:14], 1.0
	v_fma_f64 v[16:17], v[5:6], v[11:12], -v[3:4]
	v_mul_f64_e32 v[11:12], v[18:19], v[13:14]
	s_delay_alu instid0(VALU_DEP_2)
	v_mul_f64_e32 v[13:14], v[16:17], v[13:14]
.LBB213_141:                            ;   in Loop: Header=BB213_137 Depth=2
	s_wait_alu 0xfffe
	s_and_not1_b32 vcc_lo, exec_lo, s21
	s_wait_alu 0xfffe
	s_cbranch_vccnz .LBB213_136
; %bb.142:                              ;   in Loop: Header=BB213_137 Depth=2
	v_div_scale_f64 v[11:12], null, v[7:8], v[7:8], v[9:10]
	v_div_scale_f64 v[18:19], vcc_lo, v[9:10], v[7:8], v[9:10]
	s_delay_alu instid0(VALU_DEP_2) | instskip(NEXT) | instid1(TRANS32_DEP_1)
	v_rcp_f64_e32 v[13:14], v[11:12]
	v_fma_f64 v[16:17], -v[11:12], v[13:14], 1.0
	s_delay_alu instid0(VALU_DEP_1) | instskip(NEXT) | instid1(VALU_DEP_1)
	v_fma_f64 v[13:14], v[13:14], v[16:17], v[13:14]
	v_fma_f64 v[16:17], -v[11:12], v[13:14], 1.0
	s_delay_alu instid0(VALU_DEP_1) | instskip(NEXT) | instid1(VALU_DEP_1)
	v_fma_f64 v[13:14], v[13:14], v[16:17], v[13:14]
	v_mul_f64_e32 v[16:17], v[18:19], v[13:14]
	s_delay_alu instid0(VALU_DEP_1) | instskip(SKIP_1) | instid1(VALU_DEP_1)
	v_fma_f64 v[11:12], -v[11:12], v[16:17], v[18:19]
	s_wait_alu 0xfffd
	v_div_fmas_f64 v[11:12], v[11:12], v[13:14], v[16:17]
	s_delay_alu instid0(VALU_DEP_1) | instskip(NEXT) | instid1(VALU_DEP_1)
	v_div_fixup_f64 v[11:12], v[11:12], v[7:8], v[9:10]
	v_fma_f64 v[7:8], v[9:10], v[11:12], v[7:8]
	s_delay_alu instid0(VALU_DEP_1) | instskip(SKIP_1) | instid1(VALU_DEP_2)
	v_div_scale_f64 v[9:10], null, v[7:8], v[7:8], 1.0
	v_div_scale_f64 v[18:19], vcc_lo, 1.0, v[7:8], 1.0
	v_rcp_f64_e32 v[13:14], v[9:10]
	s_delay_alu instid0(TRANS32_DEP_1) | instskip(NEXT) | instid1(VALU_DEP_1)
	v_fma_f64 v[16:17], -v[9:10], v[13:14], 1.0
	v_fma_f64 v[13:14], v[13:14], v[16:17], v[13:14]
	s_delay_alu instid0(VALU_DEP_1) | instskip(NEXT) | instid1(VALU_DEP_1)
	v_fma_f64 v[16:17], -v[9:10], v[13:14], 1.0
	v_fma_f64 v[13:14], v[13:14], v[16:17], v[13:14]
	s_delay_alu instid0(VALU_DEP_1) | instskip(NEXT) | instid1(VALU_DEP_1)
	v_mul_f64_e32 v[16:17], v[18:19], v[13:14]
	v_fma_f64 v[9:10], -v[9:10], v[16:17], v[18:19]
	s_wait_alu 0xfffd
	s_delay_alu instid0(VALU_DEP_1) | instskip(SKIP_2) | instid1(VALU_DEP_3)
	v_div_fmas_f64 v[9:10], v[9:10], v[13:14], v[16:17]
	v_fma_f64 v[13:14], v[5:6], v[11:12], v[3:4]
	v_fma_f64 v[3:4], -v[3:4], v[11:12], v[5:6]
	v_div_fixup_f64 v[7:8], v[9:10], v[7:8], 1.0
	s_delay_alu instid0(VALU_DEP_1) | instskip(NEXT) | instid1(VALU_DEP_3)
	v_mul_f64_e32 v[11:12], v[13:14], v[7:8]
	v_mul_f64_e32 v[13:14], v[3:4], v[7:8]
	s_branch .LBB213_136
.LBB213_143:                            ;   in Loop: Header=BB213_3 Depth=1
	s_and_saveexec_b32 s20, s23
	s_cbranch_execz .LBB213_2
; %bb.144:                              ;   in Loop: Header=BB213_3 Depth=1
	v_add_co_u32 v3, vcc_lo, v28, s10
	s_wait_alu 0xfffd
	v_add_co_ci_u32_e64 v4, null, s11, v29, vcc_lo
	v_mov_b32_e32 v5, v27
	s_delay_alu instid0(VALU_DEP_3) | instskip(SKIP_1) | instid1(VALU_DEP_3)
	v_add_co_u32 v3, vcc_lo, v3, s16
	s_wait_alu 0xfffd
	v_add_co_ci_u32_e64 v4, null, s17, v4, vcc_lo
	s_mov_b32 s21, s25
	v_add_co_u32 v3, vcc_lo, v3, v0
	s_wait_alu 0xfffd
	v_add_co_ci_u32_e64 v4, null, 0, v4, vcc_lo
.LBB213_145:                            ;   Parent Loop BB213_3 Depth=1
                                        ; =>  This Inner Loop Header: Depth=2
	ds_load_2addr_b64 v[6:9], v5 offset1:1
	v_add_nc_u32_e32 v5, 0xc0, v5
	s_wait_alu 0xfffe
	s_add_co_i32 s21, s21, -1
	s_wait_alu 0xfffe
	s_cmp_lg_u32 s21, 0
	s_wait_dscnt 0x0
	flat_store_b128 v[3:4], v[6:9]
	v_add_co_u32 v3, vcc_lo, v3, s18
	s_wait_alu 0xfffd
	v_add_co_ci_u32_e64 v4, null, s19, v4, vcc_lo
	s_cbranch_scc1 .LBB213_145
	s_branch .LBB213_2
.LBB213_146:
	s_endpgm
	.section	.rodata,"a",@progbits
	.p2align	6, 0x0
	.amdhsa_kernel _ZL31rocblas_trsm_small_right_deviceI19rocblas_complex_numIdES1_PKPKS1_PKPS1_Li12EEv13rocblas_fill_18rocblas_operation_17rocblas_diagonal_iiT0_T1_lilT2_lili
		.amdhsa_group_segment_fixed_size 4608
		.amdhsa_private_segment_fixed_size 0
		.amdhsa_kernarg_size 368
		.amdhsa_user_sgpr_count 2
		.amdhsa_user_sgpr_dispatch_ptr 0
		.amdhsa_user_sgpr_queue_ptr 0
		.amdhsa_user_sgpr_kernarg_segment_ptr 1
		.amdhsa_user_sgpr_dispatch_id 0
		.amdhsa_user_sgpr_private_segment_size 0
		.amdhsa_wavefront_size32 1
		.amdhsa_uses_dynamic_stack 0
		.amdhsa_enable_private_segment 0
		.amdhsa_system_sgpr_workgroup_id_x 1
		.amdhsa_system_sgpr_workgroup_id_y 0
		.amdhsa_system_sgpr_workgroup_id_z 1
		.amdhsa_system_sgpr_workgroup_info 0
		.amdhsa_system_vgpr_workitem_id 0
		.amdhsa_next_free_vgpr 193
		.amdhsa_next_free_sgpr 42
		.amdhsa_reserve_vcc 1
		.amdhsa_float_round_mode_32 0
		.amdhsa_float_round_mode_16_64 0
		.amdhsa_float_denorm_mode_32 3
		.amdhsa_float_denorm_mode_16_64 3
		.amdhsa_fp16_overflow 0
		.amdhsa_workgroup_processor_mode 1
		.amdhsa_memory_ordered 1
		.amdhsa_forward_progress 1
		.amdhsa_inst_pref_size 129
		.amdhsa_round_robin_scheduling 0
		.amdhsa_exception_fp_ieee_invalid_op 0
		.amdhsa_exception_fp_denorm_src 0
		.amdhsa_exception_fp_ieee_div_zero 0
		.amdhsa_exception_fp_ieee_overflow 0
		.amdhsa_exception_fp_ieee_underflow 0
		.amdhsa_exception_fp_ieee_inexact 0
		.amdhsa_exception_int_div_zero 0
	.end_amdhsa_kernel
	.section	.text._ZL31rocblas_trsm_small_right_deviceI19rocblas_complex_numIdES1_PKPKS1_PKPS1_Li12EEv13rocblas_fill_18rocblas_operation_17rocblas_diagonal_iiT0_T1_lilT2_lili,"axG",@progbits,_ZL31rocblas_trsm_small_right_deviceI19rocblas_complex_numIdES1_PKPKS1_PKPS1_Li12EEv13rocblas_fill_18rocblas_operation_17rocblas_diagonal_iiT0_T1_lilT2_lili,comdat
.Lfunc_end213:
	.size	_ZL31rocblas_trsm_small_right_deviceI19rocblas_complex_numIdES1_PKPKS1_PKPS1_Li12EEv13rocblas_fill_18rocblas_operation_17rocblas_diagonal_iiT0_T1_lilT2_lili, .Lfunc_end213-_ZL31rocblas_trsm_small_right_deviceI19rocblas_complex_numIdES1_PKPKS1_PKPS1_Li12EEv13rocblas_fill_18rocblas_operation_17rocblas_diagonal_iiT0_T1_lilT2_lili
                                        ; -- End function
	.set _ZL31rocblas_trsm_small_right_deviceI19rocblas_complex_numIdES1_PKPKS1_PKPS1_Li12EEv13rocblas_fill_18rocblas_operation_17rocblas_diagonal_iiT0_T1_lilT2_lili.num_vgpr, 64
	.set _ZL31rocblas_trsm_small_right_deviceI19rocblas_complex_numIdES1_PKPKS1_PKPS1_Li12EEv13rocblas_fill_18rocblas_operation_17rocblas_diagonal_iiT0_T1_lilT2_lili.num_agpr, 0
	.set _ZL31rocblas_trsm_small_right_deviceI19rocblas_complex_numIdES1_PKPKS1_PKPS1_Li12EEv13rocblas_fill_18rocblas_operation_17rocblas_diagonal_iiT0_T1_lilT2_lili.numbered_sgpr, 42
	.set _ZL31rocblas_trsm_small_right_deviceI19rocblas_complex_numIdES1_PKPKS1_PKPS1_Li12EEv13rocblas_fill_18rocblas_operation_17rocblas_diagonal_iiT0_T1_lilT2_lili.num_named_barrier, 0
	.set _ZL31rocblas_trsm_small_right_deviceI19rocblas_complex_numIdES1_PKPKS1_PKPS1_Li12EEv13rocblas_fill_18rocblas_operation_17rocblas_diagonal_iiT0_T1_lilT2_lili.private_seg_size, 0
	.set _ZL31rocblas_trsm_small_right_deviceI19rocblas_complex_numIdES1_PKPKS1_PKPS1_Li12EEv13rocblas_fill_18rocblas_operation_17rocblas_diagonal_iiT0_T1_lilT2_lili.uses_vcc, 1
	.set _ZL31rocblas_trsm_small_right_deviceI19rocblas_complex_numIdES1_PKPKS1_PKPS1_Li12EEv13rocblas_fill_18rocblas_operation_17rocblas_diagonal_iiT0_T1_lilT2_lili.uses_flat_scratch, 0
	.set _ZL31rocblas_trsm_small_right_deviceI19rocblas_complex_numIdES1_PKPKS1_PKPS1_Li12EEv13rocblas_fill_18rocblas_operation_17rocblas_diagonal_iiT0_T1_lilT2_lili.has_dyn_sized_stack, 0
	.set _ZL31rocblas_trsm_small_right_deviceI19rocblas_complex_numIdES1_PKPKS1_PKPS1_Li12EEv13rocblas_fill_18rocblas_operation_17rocblas_diagonal_iiT0_T1_lilT2_lili.has_recursion, 0
	.set _ZL31rocblas_trsm_small_right_deviceI19rocblas_complex_numIdES1_PKPKS1_PKPS1_Li12EEv13rocblas_fill_18rocblas_operation_17rocblas_diagonal_iiT0_T1_lilT2_lili.has_indirect_call, 0
	.section	.AMDGPU.csdata,"",@progbits
; Kernel info:
; codeLenInByte = 16468
; TotalNumSgprs: 44
; NumVgprs: 64
; ScratchSize: 0
; MemoryBound: 0
; FloatMode: 240
; IeeeMode: 1
; LDSByteSize: 4608 bytes/workgroup (compile time only)
; SGPRBlocks: 0
; VGPRBlocks: 24
; NumSGPRsForWavesPerEU: 44
; NumVGPRsForWavesPerEU: 193
; Occupancy: 7
; WaveLimiterHint : 0
; COMPUTE_PGM_RSRC2:SCRATCH_EN: 0
; COMPUTE_PGM_RSRC2:USER_SGPR: 2
; COMPUTE_PGM_RSRC2:TRAP_HANDLER: 0
; COMPUTE_PGM_RSRC2:TGID_X_EN: 1
; COMPUTE_PGM_RSRC2:TGID_Y_EN: 0
; COMPUTE_PGM_RSRC2:TGID_Z_EN: 1
; COMPUTE_PGM_RSRC2:TIDIG_COMP_CNT: 0
	.section	.text._ZL38rocblas_trsm_small_left_device_sharedBILi16ELi16ELb0E19rocblas_complex_numIdES1_PKPKS1_PKPS1_Ev13rocblas_fill_18rocblas_operation_17rocblas_diagonal_iiT3_T4_lilT5_lili,"axG",@progbits,_ZL38rocblas_trsm_small_left_device_sharedBILi16ELi16ELb0E19rocblas_complex_numIdES1_PKPKS1_PKPS1_Ev13rocblas_fill_18rocblas_operation_17rocblas_diagonal_iiT3_T4_lilT5_lili,comdat
	.globl	_ZL38rocblas_trsm_small_left_device_sharedBILi16ELi16ELb0E19rocblas_complex_numIdES1_PKPKS1_PKPS1_Ev13rocblas_fill_18rocblas_operation_17rocblas_diagonal_iiT3_T4_lilT5_lili ; -- Begin function _ZL38rocblas_trsm_small_left_device_sharedBILi16ELi16ELb0E19rocblas_complex_numIdES1_PKPKS1_PKPS1_Ev13rocblas_fill_18rocblas_operation_17rocblas_diagonal_iiT3_T4_lilT5_lili
	.p2align	8
	.type	_ZL38rocblas_trsm_small_left_device_sharedBILi16ELi16ELb0E19rocblas_complex_numIdES1_PKPKS1_PKPS1_Ev13rocblas_fill_18rocblas_operation_17rocblas_diagonal_iiT3_T4_lilT5_lili,@function
_ZL38rocblas_trsm_small_left_device_sharedBILi16ELi16ELb0E19rocblas_complex_numIdES1_PKPKS1_PKPS1_Ev13rocblas_fill_18rocblas_operation_17rocblas_diagonal_iiT3_T4_lilT5_lili: ; @_ZL38rocblas_trsm_small_left_device_sharedBILi16ELi16ELb0E19rocblas_complex_numIdES1_PKPKS1_PKPS1_Ev13rocblas_fill_18rocblas_operation_17rocblas_diagonal_iiT3_T4_lilT5_lili
; %bb.0:
	s_load_b32 s24, s[0:1], 0x68
	s_lshr_b32 s2, ttmp7, 16
	s_wait_kmcnt 0x0
	s_cmp_ge_u32 s2, s24
	s_cbranch_scc1 .LBB214_62
; %bb.1:
	s_clause 0x5
	s_load_b32 s22, s[0:1], 0x38
	s_load_b32 s34, s[0:1], 0x58
	s_load_b128 s[16:19], s[0:1], 0x4
	s_load_b32 s3, s[0:1], 0x70
	s_load_b128 s[12:15], s[0:1], 0x48
	s_load_b256 s[4:11], s[0:1], 0x18
	v_dual_mov_b32 v13, 0 :: v_dual_lshlrev_b32 v12, 4, v0
	v_lshlrev_b32_e32 v5, 8, v0
	s_mov_b32 s21, 0
	s_delay_alu instid0(VALU_DEP_2) | instskip(NEXT) | instid1(VALU_DEP_2)
	v_or_b32_e32 v14, 0x1000, v12
	v_add_nc_u32_e32 v19, v12, v5
	s_wait_kmcnt 0x0
	s_ashr_i32 s23, s22, 31
	s_ashr_i32 s35, s34, 31
	s_cmp_eq_u32 s16, 0x71
	v_mad_co_i64_i32 v[1:2], null, s34, v0, 0
	s_cselect_b32 s0, -1, 0
	s_min_i32 s25, s18, 16
	s_lshl_b32 s30, ttmp9, 4
	s_add_co_i32 s3, s3, -1
	s_add_co_i32 s26, s25, -1
	s_sub_co_i32 s1, s19, s30
	s_cmp_ge_u32 ttmp9, s3
	v_lshlrev_b64_e32 v[8:9], 4, v[1:2]
	s_cselect_b32 s1, s1, 16
	s_ashr_i32 s31, s30, 31
	s_cmp_lg_u32 s17, 0x84
	v_cmp_gt_i32_e32 vcc_lo, s1, v0
	s_cselect_b32 s27, -1, 0
	s_cmp_gt_i32 s18, 0
	v_cmp_gt_i32_e64 s1, s25, v0
	s_cselect_b32 s3, -1, 0
	s_cmp_lg_u32 s16, 0x6f
	s_mul_u64 s[18:19], s[34:35], s[30:31]
	s_cselect_b32 s28, -1, 0
	s_lshl_b64 s[16:17], s[30:31], 4
	s_lshl_b64 s[30:31], s[10:11], 4
	v_or_b32_e32 v0, s16, v12
	s_lshl_b64 s[10:11], s[14:15], 4
	s_and_b32 s29, vcc_lo, s3
	s_lshl_b64 s[14:15], s[22:23], 4
	s_delay_alu instid0(VALU_DEP_1) | instskip(SKIP_2) | instid1(VALU_DEP_1)
	v_mul_lo_u32 v6, v0, s35
	v_mad_co_u64_u32 v[3:4], null, v0, s34, s[10:11]
	v_add_co_u32 v0, s3, s30, v12
	v_add_co_ci_u32_e64 v15, null, s31, 0, s3
	s_mul_i32 s3, s17, s34
	v_or_b32_e32 v16, 8, v0
	s_wait_alu 0xfffe
	v_add3_u32 v17, s3, v4, v6
	v_or_b32_e32 v18, 8, v3
	s_lshl_b32 s3, s25, 8
	s_or_b32 s30, 0, 8
	s_wait_alu 0xfffe
	s_add_co_i32 s22, s3, 0xffffff00
	s_lshl_b64 s[16:17], s[18:19], 4
	s_branch .LBB214_3
.LBB214_2:                              ;   in Loop: Header=BB214_3 Depth=1
	s_wait_alu 0xfffe
	s_or_b32 exec_lo, exec_lo, s3
	s_add_co_i32 s2, s2, 0x10000
	s_wait_alu 0xfffe
	s_cmp_lt_u32 s2, s24
	s_cbranch_scc0 .LBB214_62
.LBB214_3:                              ; =>This Loop Header: Depth=1
                                        ;     Child Loop BB214_5 Depth 2
                                        ;     Child Loop BB214_16 Depth 2
	;; [unrolled: 1-line block ×3, first 2 shown]
                                        ;       Child Loop BB214_23 Depth 3
                                        ;         Child Loop BB214_24 Depth 4
                                        ;         Child Loop BB214_27 Depth 4
                                        ;           Child Loop BB214_28 Depth 5
                                        ;         Child Loop BB214_32 Depth 4
                                        ;           Child Loop BB214_34 Depth 5
                                        ;     Child Loop BB214_42 Depth 2
                                        ;       Child Loop BB214_45 Depth 3
                                        ;         Child Loop BB214_46 Depth 4
                                        ;         Child Loop BB214_48 Depth 4
                                        ;           Child Loop BB214_49 Depth 5
                                        ;         Child Loop BB214_53 Depth 4
                                        ;           Child Loop BB214_55 Depth 5
                                        ;     Child Loop BB214_61 Depth 2
	s_mov_b32 s3, s21
	s_wait_alu 0xfffe
	s_lshl_b64 s[18:19], s[2:3], 3
	s_delay_alu instid0(SALU_CYCLE_1)
	s_add_nc_u64 s[34:35], s[12:13], s[18:19]
	global_load_b64 v[10:11], v13, s[34:35]
	s_and_saveexec_b32 s3, s1
	s_cbranch_execz .LBB214_14
; %bb.4:                                ;   in Loop: Header=BB214_3 Depth=1
	s_add_nc_u64 s[18:19], s[8:9], s[18:19]
	v_mov_b32_e32 v2, v12
	global_load_b64 v[0:1], v13, s[18:19]
	s_mov_b32 s18, s25
	s_wait_loadcnt 0x0
	v_add_co_u32 v0, vcc_lo, v0, v16
	s_wait_alu 0xfffd
	v_add_co_ci_u32_e64 v1, null, v1, v15, vcc_lo
.LBB214_5:                              ;   Parent Loop BB214_3 Depth=1
                                        ; =>  This Inner Loop Header: Depth=2
	flat_load_b128 v[3:6], v[0:1] offset:-8
	v_add_co_u32 v0, vcc_lo, v0, s14
	s_wait_alu 0xfffd
	v_add_co_ci_u32_e64 v1, null, s15, v1, vcc_lo
	s_add_co_i32 s18, s18, -1
	s_delay_alu instid0(SALU_CYCLE_1) | instskip(SKIP_2) | instid1(VALU_DEP_1)
	s_cmp_eq_u32 s18, 0
	s_wait_loadcnt_dscnt 0x0
	v_xor_b32_e32 v7, 0x80000000, v6
	v_cndmask_b32_e64 v6, v6, v7, s0
	ds_store_b128 v2, v[3:6]
	v_add_nc_u32_e32 v2, 0x100, v2
	s_cbranch_scc0 .LBB214_5
; %bb.6:                                ;   in Loop: Header=BB214_3 Depth=1
	s_and_b32 vcc_lo, exec_lo, s27
	s_wait_alu 0xfffe
	s_cbranch_vccz .LBB214_12
; %bb.7:                                ;   in Loop: Header=BB214_3 Depth=1
	ds_load_b128 v[0:3], v19
                                        ; implicit-def: $vgpr6_vgpr7
	s_wait_dscnt 0x0
	v_cmp_ngt_f64_e64 s18, |v[0:1]|, |v[2:3]|
	s_and_saveexec_b32 s19, s18
	s_delay_alu instid0(SALU_CYCLE_1)
	s_xor_b32 s18, exec_lo, s19
	s_cbranch_execz .LBB214_9
; %bb.8:                                ;   in Loop: Header=BB214_3 Depth=1
	v_div_scale_f64 v[4:5], null, v[2:3], v[2:3], v[0:1]
	v_div_scale_f64 v[22:23], vcc_lo, v[0:1], v[2:3], v[0:1]
	s_delay_alu instid0(VALU_DEP_2) | instskip(NEXT) | instid1(TRANS32_DEP_1)
	v_rcp_f64_e32 v[6:7], v[4:5]
	v_fma_f64 v[20:21], -v[4:5], v[6:7], 1.0
	s_delay_alu instid0(VALU_DEP_1) | instskip(NEXT) | instid1(VALU_DEP_1)
	v_fma_f64 v[6:7], v[6:7], v[20:21], v[6:7]
	v_fma_f64 v[20:21], -v[4:5], v[6:7], 1.0
	s_delay_alu instid0(VALU_DEP_1) | instskip(NEXT) | instid1(VALU_DEP_1)
	v_fma_f64 v[6:7], v[6:7], v[20:21], v[6:7]
	v_mul_f64_e32 v[20:21], v[22:23], v[6:7]
	s_delay_alu instid0(VALU_DEP_1) | instskip(SKIP_1) | instid1(VALU_DEP_1)
	v_fma_f64 v[4:5], -v[4:5], v[20:21], v[22:23]
	s_wait_alu 0xfffd
	v_div_fmas_f64 v[4:5], v[4:5], v[6:7], v[20:21]
	s_delay_alu instid0(VALU_DEP_1) | instskip(NEXT) | instid1(VALU_DEP_1)
	v_div_fixup_f64 v[4:5], v[4:5], v[2:3], v[0:1]
	v_fma_f64 v[0:1], v[0:1], v[4:5], v[2:3]
	s_delay_alu instid0(VALU_DEP_1) | instskip(SKIP_1) | instid1(VALU_DEP_2)
	v_div_scale_f64 v[2:3], null, v[0:1], v[0:1], 1.0
	v_div_scale_f64 v[22:23], vcc_lo, 1.0, v[0:1], 1.0
	v_rcp_f64_e32 v[6:7], v[2:3]
	s_delay_alu instid0(TRANS32_DEP_1) | instskip(NEXT) | instid1(VALU_DEP_1)
	v_fma_f64 v[20:21], -v[2:3], v[6:7], 1.0
	v_fma_f64 v[6:7], v[6:7], v[20:21], v[6:7]
	s_delay_alu instid0(VALU_DEP_1) | instskip(NEXT) | instid1(VALU_DEP_1)
	v_fma_f64 v[20:21], -v[2:3], v[6:7], 1.0
	v_fma_f64 v[6:7], v[6:7], v[20:21], v[6:7]
	s_delay_alu instid0(VALU_DEP_1) | instskip(NEXT) | instid1(VALU_DEP_1)
	v_mul_f64_e32 v[20:21], v[22:23], v[6:7]
	v_fma_f64 v[2:3], -v[2:3], v[20:21], v[22:23]
	s_wait_alu 0xfffd
	s_delay_alu instid0(VALU_DEP_1) | instskip(SKIP_1) | instid1(VALU_DEP_2)
	v_div_fmas_f64 v[2:3], v[2:3], v[6:7], v[20:21]
	v_add_f64_e32 v[6:7], 0, v[4:5]
	v_div_fixup_f64 v[0:1], v[2:3], v[0:1], 1.0
	v_fma_f64 v[2:3], v[4:5], 0, -1.0
	s_delay_alu instid0(VALU_DEP_2) | instskip(NEXT) | instid1(VALU_DEP_2)
	v_mul_f64_e32 v[4:5], v[6:7], v[0:1]
	v_mul_f64_e32 v[6:7], v[2:3], v[0:1]
                                        ; implicit-def: $vgpr0_vgpr1
.LBB214_9:                              ;   in Loop: Header=BB214_3 Depth=1
	s_and_not1_saveexec_b32 s18, s18
	s_cbranch_execz .LBB214_11
; %bb.10:                               ;   in Loop: Header=BB214_3 Depth=1
	v_div_scale_f64 v[4:5], null, v[0:1], v[0:1], v[2:3]
	v_div_scale_f64 v[22:23], vcc_lo, v[2:3], v[0:1], v[2:3]
	s_delay_alu instid0(VALU_DEP_2) | instskip(NEXT) | instid1(TRANS32_DEP_1)
	v_rcp_f64_e32 v[6:7], v[4:5]
	v_fma_f64 v[20:21], -v[4:5], v[6:7], 1.0
	s_delay_alu instid0(VALU_DEP_1) | instskip(NEXT) | instid1(VALU_DEP_1)
	v_fma_f64 v[6:7], v[6:7], v[20:21], v[6:7]
	v_fma_f64 v[20:21], -v[4:5], v[6:7], 1.0
	s_delay_alu instid0(VALU_DEP_1) | instskip(NEXT) | instid1(VALU_DEP_1)
	v_fma_f64 v[6:7], v[6:7], v[20:21], v[6:7]
	v_mul_f64_e32 v[20:21], v[22:23], v[6:7]
	s_delay_alu instid0(VALU_DEP_1) | instskip(SKIP_1) | instid1(VALU_DEP_1)
	v_fma_f64 v[4:5], -v[4:5], v[20:21], v[22:23]
	s_wait_alu 0xfffd
	v_div_fmas_f64 v[4:5], v[4:5], v[6:7], v[20:21]
	s_delay_alu instid0(VALU_DEP_1) | instskip(NEXT) | instid1(VALU_DEP_1)
	v_div_fixup_f64 v[4:5], v[4:5], v[0:1], v[2:3]
	v_fma_f64 v[0:1], v[2:3], v[4:5], v[0:1]
	s_delay_alu instid0(VALU_DEP_1) | instskip(SKIP_1) | instid1(VALU_DEP_2)
	v_div_scale_f64 v[2:3], null, v[0:1], v[0:1], 1.0
	v_div_scale_f64 v[22:23], vcc_lo, 1.0, v[0:1], 1.0
	v_rcp_f64_e32 v[6:7], v[2:3]
	s_delay_alu instid0(TRANS32_DEP_1) | instskip(NEXT) | instid1(VALU_DEP_1)
	v_fma_f64 v[20:21], -v[2:3], v[6:7], 1.0
	v_fma_f64 v[6:7], v[6:7], v[20:21], v[6:7]
	s_delay_alu instid0(VALU_DEP_1) | instskip(NEXT) | instid1(VALU_DEP_1)
	v_fma_f64 v[20:21], -v[2:3], v[6:7], 1.0
	v_fma_f64 v[6:7], v[6:7], v[20:21], v[6:7]
	s_delay_alu instid0(VALU_DEP_1) | instskip(NEXT) | instid1(VALU_DEP_1)
	v_mul_f64_e32 v[20:21], v[22:23], v[6:7]
	v_fma_f64 v[2:3], -v[2:3], v[20:21], v[22:23]
	s_wait_alu 0xfffd
	s_delay_alu instid0(VALU_DEP_1) | instskip(SKIP_1) | instid1(VALU_DEP_2)
	v_div_fmas_f64 v[2:3], v[2:3], v[6:7], v[20:21]
	v_fma_f64 v[6:7], v[4:5], 0, 1.0
	v_div_fixup_f64 v[0:1], v[2:3], v[0:1], 1.0
	v_add_f64_e64 v[2:3], -v[4:5], 0
	s_delay_alu instid0(VALU_DEP_2) | instskip(NEXT) | instid1(VALU_DEP_2)
	v_mul_f64_e32 v[4:5], v[6:7], v[0:1]
	v_mul_f64_e32 v[6:7], v[2:3], v[0:1]
.LBB214_11:                             ;   in Loop: Header=BB214_3 Depth=1
	s_or_b32 exec_lo, exec_lo, s18
	s_branch .LBB214_13
.LBB214_12:                             ;   in Loop: Header=BB214_3 Depth=1
	v_mov_b32_e32 v6, 0
	v_dual_mov_b32 v7, 0 :: v_dual_mov_b32 v4, 0
	v_mov_b32_e32 v5, 0x3ff00000
.LBB214_13:                             ;   in Loop: Header=BB214_3 Depth=1
	ds_store_b128 v19, v[4:7]
.LBB214_14:                             ;   in Loop: Header=BB214_3 Depth=1
	s_wait_alu 0xfffe
	s_or_b32 exec_lo, exec_lo, s3
	s_and_saveexec_b32 s3, s29
	s_cbranch_execz .LBB214_17
; %bb.15:                               ;   in Loop: Header=BB214_3 Depth=1
	s_wait_loadcnt 0x0
	v_add_co_u32 v0, vcc_lo, v10, v18
	s_wait_alu 0xfffd
	v_add_co_ci_u32_e64 v1, null, v11, v17, vcc_lo
	v_mov_b32_e32 v2, v14
	s_mov_b32 s18, s25
.LBB214_16:                             ;   Parent Loop BB214_3 Depth=1
                                        ; =>  This Inner Loop Header: Depth=2
	flat_load_b128 v[3:6], v[0:1] offset:-8
	v_add_co_u32 v0, vcc_lo, v0, 16
	s_wait_alu 0xfffd
	v_add_co_ci_u32_e64 v1, null, 0, v1, vcc_lo
	s_add_co_i32 s18, s18, -1
	s_delay_alu instid0(SALU_CYCLE_1) | instskip(SKIP_3) | instid1(VALU_DEP_2)
	s_cmp_lg_u32 s18, 0
	s_wait_loadcnt_dscnt 0x0
	v_mul_f64_e32 v[20:21], s[6:7], v[5:6]
	v_mul_f64_e32 v[5:6], s[4:5], v[5:6]
	v_fma_f64 v[20:21], s[4:5], v[3:4], -v[20:21]
	s_delay_alu instid0(VALU_DEP_2)
	v_fma_f64 v[22:23], s[6:7], v[3:4], v[5:6]
	ds_store_b128 v2, v[20:23]
	v_add_nc_u32_e32 v2, 0x100, v2
	s_cbranch_scc1 .LBB214_16
.LBB214_17:                             ;   in Loop: Header=BB214_3 Depth=1
	s_wait_alu 0xfffe
	s_or_b32 exec_lo, exec_lo, s3
	s_delay_alu instid0(SALU_CYCLE_1)
	s_and_not1_b32 vcc_lo, exec_lo, s28
	s_mov_b32 s3, -1
	; wave barrier
	s_wait_loadcnt_dscnt 0x0
	global_inv scope:SCOPE_SE
	s_wait_alu 0xfffe
	s_cbranch_vccnz .LBB214_39
; %bb.18:                               ;   in Loop: Header=BB214_3 Depth=1
	s_mov_b32 s20, 0
	s_delay_alu instid0(SALU_CYCLE_1)
	s_mov_b32 s3, s20
	s_branch .LBB214_20
.LBB214_19:                             ;   in Loop: Header=BB214_20 Depth=2
	s_cmp_lt_i32 s3, s25
	s_cselect_b32 s18, -1, 0
	s_add_co_i32 s19, s20, 1
	s_cmp_lt_u32 s20, 2
	s_cselect_b32 s20, -1, 0
	s_delay_alu instid0(SALU_CYCLE_1)
	s_and_b32 s18, s18, s20
	s_mov_b32 s20, s19
	s_and_b32 vcc_lo, exec_lo, s18
	s_wait_alu 0xfffe
	s_cbranch_vccz .LBB214_38
.LBB214_20:                             ;   Parent Loop BB214_3 Depth=1
                                        ; =>  This Loop Header: Depth=2
                                        ;       Child Loop BB214_23 Depth 3
                                        ;         Child Loop BB214_24 Depth 4
                                        ;         Child Loop BB214_27 Depth 4
                                        ;           Child Loop BB214_28 Depth 5
                                        ;         Child Loop BB214_32 Depth 4
                                        ;           Child Loop BB214_34 Depth 5
	s_getpc_b64 s[18:19]
	s_sext_i32_i16 s19, s19
	s_add_co_u32 s18, s18, __const._ZL38rocblas_trsm_small_left_device_sharedBILi16ELi16ELb0E19rocblas_complex_numIdES1_PKPKS1_PKPS1_Ev13rocblas_fill_18rocblas_operation_17rocblas_diagonal_iiT3_T4_lilT5_lili.step_sizes@rel32@lo+8
	s_add_co_ci_u32 s19, s19, __const._ZL38rocblas_trsm_small_left_device_sharedBILi16ELi16ELb0E19rocblas_complex_numIdES1_PKPKS1_PKPS1_Ev13rocblas_fill_18rocblas_operation_17rocblas_diagonal_iiT3_T4_lilT5_lili.step_sizes@rel32@hi+16
	s_lshl_b64 s[34:35], s[20:21], 2
	s_wait_alu 0xfffe
	s_add_nc_u64 s[18:19], s[18:19], s[34:35]
	s_load_b32 s18, s[18:19], 0x0
	s_wait_kmcnt 0x0
	s_add_co_i32 s19, s18, -1
	s_delay_alu instid0(SALU_CYCLE_1)
	s_add_co_i32 s23, s19, s3
	s_wait_alu 0xfffe
	s_cmp_ge_i32 s23, s25
	s_cbranch_scc1 .LBB214_19
; %bb.21:                               ;   in Loop: Header=BB214_20 Depth=2
	s_lshl_b32 s23, s3, 8
	s_max_i32 s31, s18, 1
	s_wait_alu 0xfffe
	v_add_nc_u32_e32 v4, s23, v14
	s_lshl_b32 s33, s18, 8
	s_mul_i32 s34, s3, 0x110
	s_mul_i32 s35, s18, 0x110
	s_branch .LBB214_23
.LBB214_22:                             ;   in Loop: Header=BB214_23 Depth=3
	s_add_co_i32 s3, s3, s18
	v_add_nc_u32_e32 v4, s33, v4
	s_wait_alu 0xfffe
	s_add_co_i32 s36, s19, s3
	s_add_co_i32 s23, s23, s33
	;; [unrolled: 1-line block ×3, first 2 shown]
	s_wait_alu 0xfffe
	s_cmp_ge_i32 s36, s25
	s_cbranch_scc1 .LBB214_19
.LBB214_23:                             ;   Parent Loop BB214_3 Depth=1
                                        ;     Parent Loop BB214_20 Depth=2
                                        ; =>    This Loop Header: Depth=3
                                        ;         Child Loop BB214_24 Depth 4
                                        ;         Child Loop BB214_27 Depth 4
                                        ;           Child Loop BB214_28 Depth 5
                                        ;         Child Loop BB214_32 Depth 4
                                        ;           Child Loop BB214_34 Depth 5
	v_mov_b32_e32 v0, v4
	s_mov_b32 s36, 0
	s_wait_alu 0xfffe
	s_mov_b32 s37, s31
.LBB214_24:                             ;   Parent Loop BB214_3 Depth=1
                                        ;     Parent Loop BB214_20 Depth=2
                                        ;       Parent Loop BB214_23 Depth=3
                                        ; =>      This Inner Loop Header: Depth=4
	ds_load_b128 v[20:23], v0
	v_add_nc_u32_e32 v0, 0x100, v0
	s_wait_alu 0xfffe
	s_add_co_i32 s37, s37, -1
	s_wait_dscnt 0x0
	scratch_store_b128 off, v[20:23], s36
	s_add_co_i32 s36, s36, 16
	s_wait_alu 0xfffe
	s_cmp_eq_u32 s37, 0
	s_cbranch_scc0 .LBB214_24
; %bb.25:                               ;   in Loop: Header=BB214_23 Depth=3
	s_cmp_lt_i32 s3, 1
	s_cbranch_scc1 .LBB214_30
; %bb.26:                               ;   in Loop: Header=BB214_23 Depth=3
	s_mov_b32 s36, 0
	s_mov_b32 s37, s23
.LBB214_27:                             ;   Parent Loop BB214_3 Depth=1
                                        ;     Parent Loop BB214_20 Depth=2
                                        ;       Parent Loop BB214_23 Depth=3
                                        ; =>      This Loop Header: Depth=4
                                        ;           Child Loop BB214_28 Depth 5
	s_wait_alu 0xfffe
	v_lshl_add_u32 v0, s36, 8, v14
	s_mov_b32 s38, s30
	s_mov_b32 s39, s37
	;; [unrolled: 1-line block ×3, first 2 shown]
	ds_load_b128 v[0:3], v0
.LBB214_28:                             ;   Parent Loop BB214_3 Depth=1
                                        ;     Parent Loop BB214_20 Depth=2
                                        ;       Parent Loop BB214_23 Depth=3
                                        ;         Parent Loop BB214_27 Depth=4
                                        ; =>        This Inner Loop Header: Depth=5
	scratch_load_b128 v[20:23], off, s38 offset:-8
	s_wait_alu 0xfffe
	v_mov_b32_e32 v5, s39
	s_add_co_i32 s40, s40, -1
	s_addk_co_i32 s39, 0x100
	ds_load_b128 v[24:27], v5
	s_wait_dscnt 0x0
	v_mul_f64_e32 v[5:6], v[2:3], v[26:27]
	v_mul_f64_e32 v[26:27], v[0:1], v[26:27]
	s_delay_alu instid0(VALU_DEP_2) | instskip(NEXT) | instid1(VALU_DEP_2)
	v_fma_f64 v[5:6], v[0:1], v[24:25], -v[5:6]
	v_fma_f64 v[24:25], v[2:3], v[24:25], v[26:27]
	s_wait_loadcnt 0x0
	s_delay_alu instid0(VALU_DEP_2) | instskip(NEXT) | instid1(VALU_DEP_2)
	v_add_f64_e64 v[20:21], v[20:21], -v[5:6]
	v_add_f64_e64 v[22:23], v[22:23], -v[24:25]
	scratch_store_b128 off, v[20:23], s38 offset:-8
	s_add_co_i32 s38, s38, 16
	s_wait_alu 0xfffe
	s_cmp_eq_u32 s40, 0
	s_cbranch_scc0 .LBB214_28
; %bb.29:                               ;   in Loop: Header=BB214_27 Depth=4
	s_add_co_i32 s36, s36, 1
	s_add_co_i32 s37, s37, 16
	s_wait_alu 0xfffe
	s_cmp_eq_u32 s36, s3
	s_cbranch_scc0 .LBB214_27
.LBB214_30:                             ;   in Loop: Header=BB214_23 Depth=3
	s_lshl_b32 s36, s3, 8
	s_mov_b32 s37, 0
	s_mov_b32 s38, s34
	s_branch .LBB214_32
.LBB214_31:                             ;   in Loop: Header=BB214_32 Depth=4
	s_wait_alu 0xfffe
	s_mulk_i32 s40, 0x110
	s_addk_co_i32 s38, 0x100
	s_wait_alu 0xfffe
	v_mov_b32_e32 v5, s40
	s_lshl_b32 s40, s37, 4
	s_add_co_i32 s37, s37, 1
	s_wait_alu 0xfffe
	s_cmp_eq_u32 s37, s31
	ds_load_b128 v[20:23], v5
	s_wait_loadcnt_dscnt 0x0
	v_mul_f64_e32 v[5:6], v[22:23], v[2:3]
	v_mul_f64_e32 v[2:3], v[20:21], v[2:3]
	s_delay_alu instid0(VALU_DEP_2) | instskip(NEXT) | instid1(VALU_DEP_2)
	v_fma_f64 v[20:21], v[20:21], v[0:1], -v[5:6]
	v_fma_f64 v[22:23], v[22:23], v[0:1], v[2:3]
	v_add_nc_u32_e32 v0, s39, v14
	scratch_store_b128 off, v[20:23], s40
	ds_store_b128 v0, v[20:23]
	s_cbranch_scc1 .LBB214_22
.LBB214_32:                             ;   Parent Loop BB214_3 Depth=1
                                        ;     Parent Loop BB214_20 Depth=2
                                        ;       Parent Loop BB214_23 Depth=3
                                        ; =>      This Loop Header: Depth=4
                                        ;           Child Loop BB214_34 Depth 5
	s_wait_alu 0xfffe
	s_cmp_lg_u32 s37, 0
	s_cbranch_scc0 .LBB214_36
; %bb.33:                               ;   in Loop: Header=BB214_32 Depth=4
	s_lshl_b32 s41, s37, 4
	s_add_co_i32 s40, s37, s3
	scratch_load_b128 v[0:3], off, s41
	s_wait_alu 0xfffe
	s_lshl_b32 s39, s40, 8
	s_mov_b32 s42, s38
	s_mov_b32 s43, s30
	;; [unrolled: 1-line block ×3, first 2 shown]
.LBB214_34:                             ;   Parent Loop BB214_3 Depth=1
                                        ;     Parent Loop BB214_20 Depth=2
                                        ;       Parent Loop BB214_23 Depth=3
                                        ;         Parent Loop BB214_32 Depth=4
                                        ; =>        This Inner Loop Header: Depth=5
	scratch_load_b128 v[20:23], off, s43 offset:-8
	s_wait_alu 0xfffe
	v_mov_b32_e32 v5, s42
	s_add_co_i32 s44, s44, -1
	s_add_co_i32 s43, s43, 16
	s_add_co_i32 s42, s42, 16
	s_cmp_eq_u32 s44, 0
	ds_load_b128 v[24:27], v5
	s_wait_loadcnt_dscnt 0x0
	v_mul_f64_e32 v[5:6], v[26:27], v[22:23]
	v_mul_f64_e32 v[22:23], v[24:25], v[22:23]
	s_delay_alu instid0(VALU_DEP_2) | instskip(NEXT) | instid1(VALU_DEP_2)
	v_fma_f64 v[5:6], v[24:25], v[20:21], -v[5:6]
	v_fma_f64 v[20:21], v[26:27], v[20:21], v[22:23]
	s_delay_alu instid0(VALU_DEP_2) | instskip(NEXT) | instid1(VALU_DEP_2)
	v_add_f64_e64 v[0:1], v[0:1], -v[5:6]
	v_add_f64_e64 v[2:3], v[2:3], -v[20:21]
	scratch_store_b128 off, v[0:3], s41
	s_cbranch_scc0 .LBB214_34
; %bb.35:                               ;   in Loop: Header=BB214_32 Depth=4
	s_branch .LBB214_31
.LBB214_36:                             ;   in Loop: Header=BB214_32 Depth=4
                                        ; implicit-def: $vgpr0_vgpr1
                                        ; implicit-def: $sgpr40
                                        ; implicit-def: $sgpr39
	s_cbranch_execz .LBB214_31
; %bb.37:                               ;   in Loop: Header=BB214_32 Depth=4
	scratch_load_b128 v[0:3], off, off
	s_mov_b32 s39, s36
	s_mov_b32 s40, s3
	s_branch .LBB214_31
.LBB214_38:                             ;   in Loop: Header=BB214_3 Depth=1
	s_mov_b32 s3, 0
.LBB214_39:                             ;   in Loop: Header=BB214_3 Depth=1
	s_wait_alu 0xfffe
	s_and_b32 vcc_lo, exec_lo, s3
	s_wait_alu 0xfffe
	s_cbranch_vccz .LBB214_59
; %bb.40:                               ;   in Loop: Header=BB214_3 Depth=1
	s_mov_b32 s20, 0
	s_mov_b32 s3, s26
	s_branch .LBB214_42
.LBB214_41:                             ;   in Loop: Header=BB214_42 Depth=2
	s_cmp_gt_i32 s3, -1
	s_cselect_b32 s18, -1, 0
	s_add_co_i32 s19, s20, 1
	s_cmp_lt_u32 s20, 2
	s_cselect_b32 s20, -1, 0
	s_delay_alu instid0(SALU_CYCLE_1)
	s_and_b32 s18, s18, s20
	s_mov_b32 s20, s19
	s_and_not1_b32 vcc_lo, exec_lo, s18
	s_wait_alu 0xfffe
	s_cbranch_vccnz .LBB214_59
.LBB214_42:                             ;   Parent Loop BB214_3 Depth=1
                                        ; =>  This Loop Header: Depth=2
                                        ;       Child Loop BB214_45 Depth 3
                                        ;         Child Loop BB214_46 Depth 4
                                        ;         Child Loop BB214_48 Depth 4
                                        ;           Child Loop BB214_49 Depth 5
                                        ;         Child Loop BB214_53 Depth 4
                                        ;           Child Loop BB214_55 Depth 5
	s_getpc_b64 s[18:19]
	s_sext_i32_i16 s19, s19
	s_add_co_u32 s18, s18, __const._ZL38rocblas_trsm_small_left_device_sharedBILi16ELi16ELb0E19rocblas_complex_numIdES1_PKPKS1_PKPS1_Ev13rocblas_fill_18rocblas_operation_17rocblas_diagonal_iiT3_T4_lilT5_lili.step_sizes@rel32@lo+8
	s_add_co_ci_u32 s19, s19, __const._ZL38rocblas_trsm_small_left_device_sharedBILi16ELi16ELb0E19rocblas_complex_numIdES1_PKPKS1_PKPS1_Ev13rocblas_fill_18rocblas_operation_17rocblas_diagonal_iiT3_T4_lilT5_lili.step_sizes@rel32@hi+16
	s_lshl_b64 s[34:35], s[20:21], 2
	s_wait_alu 0xfffe
	s_add_nc_u64 s[18:19], s[18:19], s[34:35]
	s_load_b32 s18, s[18:19], 0x0
	s_wait_kmcnt 0x0
	s_add_co_i32 s19, s18, -1
	s_delay_alu instid0(SALU_CYCLE_1)
	s_cmp_lt_i32 s3, s19
	s_cbranch_scc1 .LBB214_41
; %bb.43:                               ;   in Loop: Header=BB214_42 Depth=2
	v_lshl_add_u32 v4, s3, 8, v14
	s_lshl_b32 s31, s18, 8
	s_lshl_b32 s33, s3, 4
	s_lshl_b32 s34, s18, 4
	s_max_i32 s23, s18, 1
	s_wait_alu 0xfffe
	s_sub_co_i32 s31, 0, s31
	s_add_co_i32 s33, s22, s33
	s_sub_co_i32 s34, 0, s34
	s_mul_i32 s35, s3, 0x110
	s_mul_i32 s36, s18, 0xfffffef0
	s_branch .LBB214_45
.LBB214_44:                             ;   in Loop: Header=BB214_45 Depth=3
	v_add_nc_u32_e32 v4, s31, v4
	s_sub_co_i32 s3, s3, s18
	s_add_co_i32 s33, s33, s34
	s_add_co_i32 s35, s35, s36
	s_wait_alu 0xfffe
	s_cmp_lt_i32 s3, s19
	s_cbranch_scc1 .LBB214_41
.LBB214_45:                             ;   Parent Loop BB214_3 Depth=1
                                        ;     Parent Loop BB214_42 Depth=2
                                        ; =>    This Loop Header: Depth=3
                                        ;         Child Loop BB214_46 Depth 4
                                        ;         Child Loop BB214_48 Depth 4
                                        ;           Child Loop BB214_49 Depth 5
                                        ;         Child Loop BB214_53 Depth 4
                                        ;           Child Loop BB214_55 Depth 5
	v_mov_b32_e32 v0, v4
	s_mov_b32 s37, 0
	s_mov_b32 s38, s23
.LBB214_46:                             ;   Parent Loop BB214_3 Depth=1
                                        ;     Parent Loop BB214_42 Depth=2
                                        ;       Parent Loop BB214_45 Depth=3
                                        ; =>      This Inner Loop Header: Depth=4
	ds_load_b128 v[20:23], v0
	v_add_nc_u32_e32 v0, 0xffffff00, v0
	s_wait_alu 0xfffe
	s_add_co_i32 s38, s38, -1
	s_wait_dscnt 0x0
	scratch_store_b128 off, v[20:23], s37
	s_add_co_i32 s37, s37, 16
	s_wait_alu 0xfffe
	s_cmp_eq_u32 s38, 0
	s_cbranch_scc0 .LBB214_46
; %bb.47:                               ;   in Loop: Header=BB214_45 Depth=3
	s_cmp_le_i32 s26, s3
	s_mov_b32 s37, s33
	s_mov_b32 s38, s26
	s_cbranch_scc1 .LBB214_51
.LBB214_48:                             ;   Parent Loop BB214_3 Depth=1
                                        ;     Parent Loop BB214_42 Depth=2
                                        ;       Parent Loop BB214_45 Depth=3
                                        ; =>      This Loop Header: Depth=4
                                        ;           Child Loop BB214_49 Depth 5
	s_wait_alu 0xfffe
	v_lshl_add_u32 v0, s38, 8, v14
	s_mov_b32 s39, s30
	s_mov_b32 s40, s37
	;; [unrolled: 1-line block ×3, first 2 shown]
	ds_load_b128 v[0:3], v0
.LBB214_49:                             ;   Parent Loop BB214_3 Depth=1
                                        ;     Parent Loop BB214_42 Depth=2
                                        ;       Parent Loop BB214_45 Depth=3
                                        ;         Parent Loop BB214_48 Depth=4
                                        ; =>        This Inner Loop Header: Depth=5
	scratch_load_b128 v[20:23], off, s39 offset:-8
	s_wait_alu 0xfffe
	v_mov_b32_e32 v5, s40
	s_add_co_i32 s41, s41, -1
	s_add_co_i32 s40, s40, -16
	ds_load_b128 v[24:27], v5
	s_wait_dscnt 0x0
	v_mul_f64_e32 v[5:6], v[2:3], v[26:27]
	v_mul_f64_e32 v[26:27], v[0:1], v[26:27]
	s_delay_alu instid0(VALU_DEP_2) | instskip(NEXT) | instid1(VALU_DEP_2)
	v_fma_f64 v[5:6], v[0:1], v[24:25], -v[5:6]
	v_fma_f64 v[24:25], v[2:3], v[24:25], v[26:27]
	s_wait_loadcnt 0x0
	s_delay_alu instid0(VALU_DEP_2) | instskip(NEXT) | instid1(VALU_DEP_2)
	v_add_f64_e64 v[20:21], v[20:21], -v[5:6]
	v_add_f64_e64 v[22:23], v[22:23], -v[24:25]
	scratch_store_b128 off, v[20:23], s39 offset:-8
	s_add_co_i32 s39, s39, 16
	s_wait_alu 0xfffe
	s_cmp_eq_u32 s41, 0
	s_cbranch_scc0 .LBB214_49
; %bb.50:                               ;   in Loop: Header=BB214_48 Depth=4
	s_add_co_i32 s38, s38, -1
	s_addk_co_i32 s37, 0xff00
	s_wait_alu 0xfffe
	s_cmp_le_i32 s38, s3
	s_cbranch_scc0 .LBB214_48
.LBB214_51:                             ;   in Loop: Header=BB214_45 Depth=3
	s_mov_b32 s37, 0
	s_mov_b32 s38, s35
	s_branch .LBB214_53
.LBB214_52:                             ;   in Loop: Header=BB214_53 Depth=4
	s_wait_alu 0xfffe
	s_mul_i32 s40, s39, 0x110
	s_add_co_i32 s38, s38, -16
	s_wait_alu 0xfffe
	v_mov_b32_e32 v5, s40
	s_lshl_b32 s40, s37, 4
	s_add_co_i32 s37, s37, 1
	s_wait_alu 0xfffe
	s_cmp_eq_u32 s37, s23
	ds_load_b128 v[20:23], v5
	s_wait_loadcnt_dscnt 0x0
	v_mul_f64_e32 v[5:6], v[22:23], v[2:3]
	v_mul_f64_e32 v[2:3], v[20:21], v[2:3]
	s_delay_alu instid0(VALU_DEP_2) | instskip(NEXT) | instid1(VALU_DEP_2)
	v_fma_f64 v[20:21], v[20:21], v[0:1], -v[5:6]
	v_fma_f64 v[22:23], v[22:23], v[0:1], v[2:3]
	v_lshl_add_u32 v0, s39, 8, v14
	scratch_store_b128 off, v[20:23], s40
	ds_store_b128 v0, v[20:23]
	s_cbranch_scc1 .LBB214_44
.LBB214_53:                             ;   Parent Loop BB214_3 Depth=1
                                        ;     Parent Loop BB214_42 Depth=2
                                        ;       Parent Loop BB214_45 Depth=3
                                        ; =>      This Loop Header: Depth=4
                                        ;           Child Loop BB214_55 Depth 5
	s_wait_alu 0xfffe
	s_cmp_lg_u32 s37, 0
	s_cbranch_scc0 .LBB214_57
; %bb.54:                               ;   in Loop: Header=BB214_53 Depth=4
	s_lshl_b32 s40, s37, 4
	s_sub_co_i32 s39, s3, s37
	scratch_load_b128 v[0:3], off, s40
	s_mov_b32 s41, s30
	s_mov_b32 s42, s38
	;; [unrolled: 1-line block ×3, first 2 shown]
.LBB214_55:                             ;   Parent Loop BB214_3 Depth=1
                                        ;     Parent Loop BB214_42 Depth=2
                                        ;       Parent Loop BB214_45 Depth=3
                                        ;         Parent Loop BB214_53 Depth=4
                                        ; =>        This Inner Loop Header: Depth=5
	scratch_load_b128 v[20:23], off, s41 offset:-8
	s_wait_alu 0xfffe
	v_mov_b32_e32 v5, s42
	s_add_co_i32 s43, s43, -1
	s_addk_co_i32 s42, 0xff00
	s_add_co_i32 s41, s41, 16
	s_wait_alu 0xfffe
	s_cmp_eq_u32 s43, 0
	ds_load_b128 v[24:27], v5
	s_wait_loadcnt_dscnt 0x0
	v_mul_f64_e32 v[5:6], v[26:27], v[22:23]
	v_mul_f64_e32 v[22:23], v[24:25], v[22:23]
	s_delay_alu instid0(VALU_DEP_2) | instskip(NEXT) | instid1(VALU_DEP_2)
	v_fma_f64 v[5:6], v[24:25], v[20:21], -v[5:6]
	v_fma_f64 v[20:21], v[26:27], v[20:21], v[22:23]
	s_delay_alu instid0(VALU_DEP_2) | instskip(NEXT) | instid1(VALU_DEP_2)
	v_add_f64_e64 v[0:1], v[0:1], -v[5:6]
	v_add_f64_e64 v[2:3], v[2:3], -v[20:21]
	scratch_store_b128 off, v[0:3], s40
	s_cbranch_scc0 .LBB214_55
; %bb.56:                               ;   in Loop: Header=BB214_53 Depth=4
	s_branch .LBB214_52
.LBB214_57:                             ;   in Loop: Header=BB214_53 Depth=4
                                        ; implicit-def: $vgpr0_vgpr1
                                        ; implicit-def: $sgpr39
	s_cbranch_execz .LBB214_52
; %bb.58:                               ;   in Loop: Header=BB214_53 Depth=4
	scratch_load_b128 v[0:3], off, off
	s_mov_b32 s39, s3
	s_branch .LBB214_52
.LBB214_59:                             ;   in Loop: Header=BB214_3 Depth=1
	s_wait_storecnt 0x0
	; wave barrier
	s_wait_loadcnt_dscnt 0x0
	global_inv scope:SCOPE_SE
	s_and_saveexec_b32 s3, s29
	s_cbranch_execz .LBB214_2
; %bb.60:                               ;   in Loop: Header=BB214_3 Depth=1
	v_add_co_u32 v0, vcc_lo, v10, s10
	s_wait_alu 0xfffd
	v_add_co_ci_u32_e64 v1, null, s11, v11, vcc_lo
	v_mov_b32_e32 v2, v14
	s_delay_alu instid0(VALU_DEP_3) | instskip(SKIP_1) | instid1(VALU_DEP_3)
	v_add_co_u32 v0, vcc_lo, v0, s16
	s_wait_alu 0xfffd
	v_add_co_ci_u32_e64 v1, null, s17, v1, vcc_lo
	s_mov_b32 s18, s25
	v_add_co_u32 v0, vcc_lo, v0, v8
	s_wait_alu 0xfffd
	v_add_co_ci_u32_e64 v1, null, v1, v9, vcc_lo
.LBB214_61:                             ;   Parent Loop BB214_3 Depth=1
                                        ; =>  This Inner Loop Header: Depth=2
	ds_load_2addr_b64 v[3:6], v2 offset1:1
	v_add_nc_u32_e32 v2, 0x100, v2
	s_add_co_i32 s18, s18, -1
	s_delay_alu instid0(SALU_CYCLE_1)
	s_cmp_lg_u32 s18, 0
	s_wait_dscnt 0x0
	flat_store_b128 v[0:1], v[3:6]
	v_add_co_u32 v0, vcc_lo, v0, 16
	s_wait_alu 0xfffd
	v_add_co_ci_u32_e64 v1, null, 0, v1, vcc_lo
	s_cbranch_scc1 .LBB214_61
	s_branch .LBB214_2
.LBB214_62:
	s_endpgm
	.section	.rodata,"a",@progbits
	.p2align	6, 0x0
	.amdhsa_kernel _ZL38rocblas_trsm_small_left_device_sharedBILi16ELi16ELb0E19rocblas_complex_numIdES1_PKPKS1_PKPS1_Ev13rocblas_fill_18rocblas_operation_17rocblas_diagonal_iiT3_T4_lilT5_lili
		.amdhsa_group_segment_fixed_size 8192
		.amdhsa_private_segment_fixed_size 272
		.amdhsa_kernarg_size 368
		.amdhsa_user_sgpr_count 2
		.amdhsa_user_sgpr_dispatch_ptr 0
		.amdhsa_user_sgpr_queue_ptr 0
		.amdhsa_user_sgpr_kernarg_segment_ptr 1
		.amdhsa_user_sgpr_dispatch_id 0
		.amdhsa_user_sgpr_private_segment_size 0
		.amdhsa_wavefront_size32 1
		.amdhsa_uses_dynamic_stack 0
		.amdhsa_enable_private_segment 1
		.amdhsa_system_sgpr_workgroup_id_x 1
		.amdhsa_system_sgpr_workgroup_id_y 0
		.amdhsa_system_sgpr_workgroup_id_z 1
		.amdhsa_system_sgpr_workgroup_info 0
		.amdhsa_system_vgpr_workitem_id 0
		.amdhsa_next_free_vgpr 241
		.amdhsa_next_free_sgpr 45
		.amdhsa_reserve_vcc 1
		.amdhsa_float_round_mode_32 0
		.amdhsa_float_round_mode_16_64 0
		.amdhsa_float_denorm_mode_32 3
		.amdhsa_float_denorm_mode_16_64 3
		.amdhsa_fp16_overflow 0
		.amdhsa_workgroup_processor_mode 1
		.amdhsa_memory_ordered 1
		.amdhsa_forward_progress 1
		.amdhsa_inst_pref_size 24
		.amdhsa_round_robin_scheduling 0
		.amdhsa_exception_fp_ieee_invalid_op 0
		.amdhsa_exception_fp_denorm_src 0
		.amdhsa_exception_fp_ieee_div_zero 0
		.amdhsa_exception_fp_ieee_overflow 0
		.amdhsa_exception_fp_ieee_underflow 0
		.amdhsa_exception_fp_ieee_inexact 0
		.amdhsa_exception_int_div_zero 0
	.end_amdhsa_kernel
	.section	.text._ZL38rocblas_trsm_small_left_device_sharedBILi16ELi16ELb0E19rocblas_complex_numIdES1_PKPKS1_PKPS1_Ev13rocblas_fill_18rocblas_operation_17rocblas_diagonal_iiT3_T4_lilT5_lili,"axG",@progbits,_ZL38rocblas_trsm_small_left_device_sharedBILi16ELi16ELb0E19rocblas_complex_numIdES1_PKPKS1_PKPS1_Ev13rocblas_fill_18rocblas_operation_17rocblas_diagonal_iiT3_T4_lilT5_lili,comdat
.Lfunc_end214:
	.size	_ZL38rocblas_trsm_small_left_device_sharedBILi16ELi16ELb0E19rocblas_complex_numIdES1_PKPKS1_PKPS1_Ev13rocblas_fill_18rocblas_operation_17rocblas_diagonal_iiT3_T4_lilT5_lili, .Lfunc_end214-_ZL38rocblas_trsm_small_left_device_sharedBILi16ELi16ELb0E19rocblas_complex_numIdES1_PKPKS1_PKPS1_Ev13rocblas_fill_18rocblas_operation_17rocblas_diagonal_iiT3_T4_lilT5_lili
                                        ; -- End function
	.set _ZL38rocblas_trsm_small_left_device_sharedBILi16ELi16ELb0E19rocblas_complex_numIdES1_PKPKS1_PKPS1_Ev13rocblas_fill_18rocblas_operation_17rocblas_diagonal_iiT3_T4_lilT5_lili.num_vgpr, 28
	.set _ZL38rocblas_trsm_small_left_device_sharedBILi16ELi16ELb0E19rocblas_complex_numIdES1_PKPKS1_PKPS1_Ev13rocblas_fill_18rocblas_operation_17rocblas_diagonal_iiT3_T4_lilT5_lili.num_agpr, 0
	.set _ZL38rocblas_trsm_small_left_device_sharedBILi16ELi16ELb0E19rocblas_complex_numIdES1_PKPKS1_PKPS1_Ev13rocblas_fill_18rocblas_operation_17rocblas_diagonal_iiT3_T4_lilT5_lili.numbered_sgpr, 45
	.set _ZL38rocblas_trsm_small_left_device_sharedBILi16ELi16ELb0E19rocblas_complex_numIdES1_PKPKS1_PKPS1_Ev13rocblas_fill_18rocblas_operation_17rocblas_diagonal_iiT3_T4_lilT5_lili.num_named_barrier, 0
	.set _ZL38rocblas_trsm_small_left_device_sharedBILi16ELi16ELb0E19rocblas_complex_numIdES1_PKPKS1_PKPS1_Ev13rocblas_fill_18rocblas_operation_17rocblas_diagonal_iiT3_T4_lilT5_lili.private_seg_size, 272
	.set _ZL38rocblas_trsm_small_left_device_sharedBILi16ELi16ELb0E19rocblas_complex_numIdES1_PKPKS1_PKPS1_Ev13rocblas_fill_18rocblas_operation_17rocblas_diagonal_iiT3_T4_lilT5_lili.uses_vcc, 1
	.set _ZL38rocblas_trsm_small_left_device_sharedBILi16ELi16ELb0E19rocblas_complex_numIdES1_PKPKS1_PKPS1_Ev13rocblas_fill_18rocblas_operation_17rocblas_diagonal_iiT3_T4_lilT5_lili.uses_flat_scratch, 0
	.set _ZL38rocblas_trsm_small_left_device_sharedBILi16ELi16ELb0E19rocblas_complex_numIdES1_PKPKS1_PKPS1_Ev13rocblas_fill_18rocblas_operation_17rocblas_diagonal_iiT3_T4_lilT5_lili.has_dyn_sized_stack, 0
	.set _ZL38rocblas_trsm_small_left_device_sharedBILi16ELi16ELb0E19rocblas_complex_numIdES1_PKPKS1_PKPS1_Ev13rocblas_fill_18rocblas_operation_17rocblas_diagonal_iiT3_T4_lilT5_lili.has_recursion, 0
	.set _ZL38rocblas_trsm_small_left_device_sharedBILi16ELi16ELb0E19rocblas_complex_numIdES1_PKPKS1_PKPS1_Ev13rocblas_fill_18rocblas_operation_17rocblas_diagonal_iiT3_T4_lilT5_lili.has_indirect_call, 0
	.section	.AMDGPU.csdata,"",@progbits
; Kernel info:
; codeLenInByte = 3056
; TotalNumSgprs: 47
; NumVgprs: 28
; ScratchSize: 272
; MemoryBound: 0
; FloatMode: 240
; IeeeMode: 1
; LDSByteSize: 8192 bytes/workgroup (compile time only)
; SGPRBlocks: 0
; VGPRBlocks: 30
; NumSGPRsForWavesPerEU: 47
; NumVGPRsForWavesPerEU: 241
; Occupancy: 4
; WaveLimiterHint : 0
; COMPUTE_PGM_RSRC2:SCRATCH_EN: 1
; COMPUTE_PGM_RSRC2:USER_SGPR: 2
; COMPUTE_PGM_RSRC2:TRAP_HANDLER: 0
; COMPUTE_PGM_RSRC2:TGID_X_EN: 1
; COMPUTE_PGM_RSRC2:TGID_Y_EN: 0
; COMPUTE_PGM_RSRC2:TGID_Z_EN: 1
; COMPUTE_PGM_RSRC2:TIDIG_COMP_CNT: 0
	.section	.text._ZL30rocblas_trsm_small_left_deviceILi16ELi16ELb0E19rocblas_complex_numIdES1_PKPKS1_PKPS1_Ev13rocblas_fill_18rocblas_operation_17rocblas_diagonal_iiT3_T4_lilT5_lili,"axG",@progbits,_ZL30rocblas_trsm_small_left_deviceILi16ELi16ELb0E19rocblas_complex_numIdES1_PKPKS1_PKPS1_Ev13rocblas_fill_18rocblas_operation_17rocblas_diagonal_iiT3_T4_lilT5_lili,comdat
	.globl	_ZL30rocblas_trsm_small_left_deviceILi16ELi16ELb0E19rocblas_complex_numIdES1_PKPKS1_PKPS1_Ev13rocblas_fill_18rocblas_operation_17rocblas_diagonal_iiT3_T4_lilT5_lili ; -- Begin function _ZL30rocblas_trsm_small_left_deviceILi16ELi16ELb0E19rocblas_complex_numIdES1_PKPKS1_PKPS1_Ev13rocblas_fill_18rocblas_operation_17rocblas_diagonal_iiT3_T4_lilT5_lili
	.p2align	8
	.type	_ZL30rocblas_trsm_small_left_deviceILi16ELi16ELb0E19rocblas_complex_numIdES1_PKPKS1_PKPS1_Ev13rocblas_fill_18rocblas_operation_17rocblas_diagonal_iiT3_T4_lilT5_lili,@function
_ZL30rocblas_trsm_small_left_deviceILi16ELi16ELb0E19rocblas_complex_numIdES1_PKPKS1_PKPS1_Ev13rocblas_fill_18rocblas_operation_17rocblas_diagonal_iiT3_T4_lilT5_lili: ; @_ZL30rocblas_trsm_small_left_deviceILi16ELi16ELb0E19rocblas_complex_numIdES1_PKPKS1_PKPS1_Ev13rocblas_fill_18rocblas_operation_17rocblas_diagonal_iiT3_T4_lilT5_lili
; %bb.0:
	s_load_b32 s3, s[0:1], 0x68
	s_lshr_b32 s20, ttmp7, 16
	s_wait_kmcnt 0x0
	s_cmp_ge_u32 s20, s3
	s_cbranch_scc1 .LBB215_59
; %bb.1:
	s_clause 0x4
	s_load_b32 s22, s[0:1], 0x38
	s_load_b128 s[16:19], s[0:1], 0x4
	s_load_b32 s2, s[0:1], 0x70
	s_load_b128 s[12:15], s[0:1], 0x48
	s_load_b32 s21, s[0:1], 0x58
	v_dual_mov_b32 v13, 0 :: v_dual_lshlrev_b32 v12, 4, v0
	v_lshlrev_b32_e32 v1, 8, v0
	s_load_b256 s[4:11], s[0:1], 0x18
	s_mov_b32 s37, 0
                                        ; implicit-def: $sgpr38
                                        ; implicit-def: $sgpr39
	s_delay_alu instid0(VALU_DEP_1)
	v_add_nc_u32_e32 v14, v12, v1
	s_wait_kmcnt 0x0
	s_ashr_i32 s23, s22, 31
	s_cmp_eq_u32 s16, 0x71
	s_cselect_b32 s0, -1, 0
	s_lshl_b32 s1, ttmp9, 4
	s_min_i32 s30, s18, 16
	v_or_b32_e32 v1, s1, v0
	s_add_co_i32 s2, s2, -1
	s_add_co_i32 s31, s30, -1
	s_sub_co_i32 s18, s19, s1
	s_cmp_ge_u32 ttmp9, s2
	v_mad_co_i64_i32 v[1:2], null, s21, v1, 0
	s_cselect_b32 s2, s18, 16
	s_cmp_lg_u32 s17, 0x84
	v_cmp_gt_i32_e64 s1, s30, v0
	s_cselect_b32 s33, -1, 0
	s_cmp_lg_u32 s16, 0x6f
	v_cmp_gt_i32_e64 s2, s2, v0
	v_lshlrev_b64_e32 v[8:9], 4, v[1:2]
	s_cselect_b32 s34, -1, 0
	s_lshl_b64 s[16:17], s[10:11], 4
	s_lshl_b64 s[14:15], s[14:15], 4
	v_add_co_u32 v0, s16, s16, v12
	s_delay_alu instid0(VALU_DEP_2) | instskip(SKIP_2) | instid1(VALU_DEP_3)
	v_add_co_u32 v1, vcc_lo, v8, s14
	s_wait_alu 0xf1ff
	v_add_co_ci_u32_e64 v15, null, s17, 0, s16
	v_or_b32_e32 v16, 8, v0
	v_add_co_ci_u32_e64 v17, null, s15, v9, vcc_lo
	v_or_b32_e32 v18, 8, v1
	s_lshl_b32 s36, s30, 8
	s_or_b32 s35, 0, 8
	s_lshl_b64 s[10:11], s[22:23], 4
	s_addk_co_i32 s36, 0xff00
	s_mov_b32 s17, 0
	s_branch .LBB215_4
.LBB215_2:                              ;   in Loop: Header=BB215_4 Depth=1
	s_add_co_i32 s20, s20, 0x10000
	s_wait_alu 0xfffe
	s_cmp_ge_u32 s20, s3
	s_cselect_b32 s16, -1, 0
	s_and_not1_b32 s39, s39, exec_lo
	s_wait_alu 0xfffe
	s_or_not1_b32 s16, s16, exec_lo
.LBB215_3:                              ;   in Loop: Header=BB215_4 Depth=1
	s_wait_alu 0xfffe
	s_or_b32 exec_lo, exec_lo, s21
	s_delay_alu instid0(SALU_CYCLE_1)
	s_and_b32 s16, exec_lo, s16
	s_wait_alu 0xfffe
	s_or_b32 s37, s16, s37
	s_and_not1_b32 s16, s38, exec_lo
	s_and_b32 s18, s39, exec_lo
	s_wait_alu 0xfffe
	s_or_b32 s38, s16, s18
	s_and_not1_b32 exec_lo, exec_lo, s37
	s_cbranch_execz .LBB215_58
.LBB215_4:                              ; =>This Loop Header: Depth=1
                                        ;     Child Loop BB215_6 Depth 2
                                        ;     Child Loop BB215_19 Depth 2
                                        ;       Child Loop BB215_22 Depth 3
                                        ;         Child Loop BB215_23 Depth 4
                                        ;         Child Loop BB215_26 Depth 4
                                        ;           Child Loop BB215_27 Depth 5
                                        ;         Child Loop BB215_31 Depth 4
                                        ;           Child Loop BB215_33 Depth 5
                                        ;     Child Loop BB215_41 Depth 2
                                        ;       Child Loop BB215_44 Depth 3
                                        ;         Child Loop BB215_45 Depth 4
                                        ;         Child Loop BB215_47 Depth 4
                                        ;           Child Loop BB215_48 Depth 5
                                        ;         Child Loop BB215_52 Depth 4
                                        ;           Child Loop BB215_54 Depth 5
	s_wait_alu 0xfffe
	s_mov_b32 s21, s17
	s_wait_alu 0xfffe
	s_lshl_b64 s[18:19], s[20:21], 3
	s_delay_alu instid0(SALU_CYCLE_1)
	s_add_nc_u64 s[22:23], s[12:13], s[18:19]
	global_load_b64 v[10:11], v13, s[22:23]
	s_and_saveexec_b32 s16, s1
	s_cbranch_execz .LBB215_15
; %bb.5:                                ;   in Loop: Header=BB215_4 Depth=1
	s_add_nc_u64 s[18:19], s[8:9], s[18:19]
	v_mov_b32_e32 v2, v12
	global_load_b64 v[0:1], v13, s[18:19]
	s_mov_b32 s18, s30
	s_wait_loadcnt 0x0
	v_add_co_u32 v0, vcc_lo, v0, v16
	s_wait_alu 0xfffd
	v_add_co_ci_u32_e64 v1, null, v1, v15, vcc_lo
.LBB215_6:                              ;   Parent Loop BB215_4 Depth=1
                                        ; =>  This Inner Loop Header: Depth=2
	flat_load_b128 v[3:6], v[0:1] offset:-8
	v_add_co_u32 v0, vcc_lo, v0, s10
	s_wait_alu 0xfffd
	v_add_co_ci_u32_e64 v1, null, s11, v1, vcc_lo
	s_add_co_i32 s18, s18, -1
	s_delay_alu instid0(SALU_CYCLE_1) | instskip(SKIP_2) | instid1(VALU_DEP_1)
	s_cmp_eq_u32 s18, 0
	s_wait_loadcnt_dscnt 0x0
	v_xor_b32_e32 v7, 0x80000000, v6
	v_cndmask_b32_e64 v6, v6, v7, s0
	ds_store_b128 v2, v[3:6]
	v_add_nc_u32_e32 v2, 0x100, v2
	s_cbranch_scc0 .LBB215_6
; %bb.7:                                ;   in Loop: Header=BB215_4 Depth=1
	s_and_b32 vcc_lo, exec_lo, s33
	s_wait_alu 0xfffe
	s_cbranch_vccz .LBB215_13
; %bb.8:                                ;   in Loop: Header=BB215_4 Depth=1
	ds_load_b128 v[0:3], v14
                                        ; implicit-def: $vgpr6_vgpr7
	s_wait_dscnt 0x0
	v_cmp_ngt_f64_e64 s18, |v[0:1]|, |v[2:3]|
	s_and_saveexec_b32 s19, s18
	s_delay_alu instid0(SALU_CYCLE_1)
	s_xor_b32 s18, exec_lo, s19
	s_cbranch_execz .LBB215_10
; %bb.9:                                ;   in Loop: Header=BB215_4 Depth=1
	v_div_scale_f64 v[4:5], null, v[2:3], v[2:3], v[0:1]
	v_div_scale_f64 v[21:22], vcc_lo, v[0:1], v[2:3], v[0:1]
	s_delay_alu instid0(VALU_DEP_2) | instskip(NEXT) | instid1(TRANS32_DEP_1)
	v_rcp_f64_e32 v[6:7], v[4:5]
	v_fma_f64 v[19:20], -v[4:5], v[6:7], 1.0
	s_delay_alu instid0(VALU_DEP_1) | instskip(NEXT) | instid1(VALU_DEP_1)
	v_fma_f64 v[6:7], v[6:7], v[19:20], v[6:7]
	v_fma_f64 v[19:20], -v[4:5], v[6:7], 1.0
	s_delay_alu instid0(VALU_DEP_1) | instskip(NEXT) | instid1(VALU_DEP_1)
	v_fma_f64 v[6:7], v[6:7], v[19:20], v[6:7]
	v_mul_f64_e32 v[19:20], v[21:22], v[6:7]
	s_delay_alu instid0(VALU_DEP_1) | instskip(SKIP_1) | instid1(VALU_DEP_1)
	v_fma_f64 v[4:5], -v[4:5], v[19:20], v[21:22]
	s_wait_alu 0xfffd
	v_div_fmas_f64 v[4:5], v[4:5], v[6:7], v[19:20]
	s_delay_alu instid0(VALU_DEP_1) | instskip(NEXT) | instid1(VALU_DEP_1)
	v_div_fixup_f64 v[4:5], v[4:5], v[2:3], v[0:1]
	v_fma_f64 v[0:1], v[0:1], v[4:5], v[2:3]
	s_delay_alu instid0(VALU_DEP_1) | instskip(SKIP_1) | instid1(VALU_DEP_2)
	v_div_scale_f64 v[2:3], null, v[0:1], v[0:1], 1.0
	v_div_scale_f64 v[21:22], vcc_lo, 1.0, v[0:1], 1.0
	v_rcp_f64_e32 v[6:7], v[2:3]
	s_delay_alu instid0(TRANS32_DEP_1) | instskip(NEXT) | instid1(VALU_DEP_1)
	v_fma_f64 v[19:20], -v[2:3], v[6:7], 1.0
	v_fma_f64 v[6:7], v[6:7], v[19:20], v[6:7]
	s_delay_alu instid0(VALU_DEP_1) | instskip(NEXT) | instid1(VALU_DEP_1)
	v_fma_f64 v[19:20], -v[2:3], v[6:7], 1.0
	v_fma_f64 v[6:7], v[6:7], v[19:20], v[6:7]
	s_delay_alu instid0(VALU_DEP_1) | instskip(NEXT) | instid1(VALU_DEP_1)
	v_mul_f64_e32 v[19:20], v[21:22], v[6:7]
	v_fma_f64 v[2:3], -v[2:3], v[19:20], v[21:22]
	s_wait_alu 0xfffd
	s_delay_alu instid0(VALU_DEP_1) | instskip(SKIP_1) | instid1(VALU_DEP_2)
	v_div_fmas_f64 v[2:3], v[2:3], v[6:7], v[19:20]
	v_add_f64_e32 v[6:7], 0, v[4:5]
	v_div_fixup_f64 v[0:1], v[2:3], v[0:1], 1.0
	v_fma_f64 v[2:3], v[4:5], 0, -1.0
	s_delay_alu instid0(VALU_DEP_2) | instskip(NEXT) | instid1(VALU_DEP_2)
	v_mul_f64_e32 v[4:5], v[6:7], v[0:1]
	v_mul_f64_e32 v[6:7], v[2:3], v[0:1]
                                        ; implicit-def: $vgpr0_vgpr1
.LBB215_10:                             ;   in Loop: Header=BB215_4 Depth=1
	s_and_not1_saveexec_b32 s18, s18
	s_cbranch_execz .LBB215_12
; %bb.11:                               ;   in Loop: Header=BB215_4 Depth=1
	v_div_scale_f64 v[4:5], null, v[0:1], v[0:1], v[2:3]
	v_div_scale_f64 v[21:22], vcc_lo, v[2:3], v[0:1], v[2:3]
	s_delay_alu instid0(VALU_DEP_2) | instskip(NEXT) | instid1(TRANS32_DEP_1)
	v_rcp_f64_e32 v[6:7], v[4:5]
	v_fma_f64 v[19:20], -v[4:5], v[6:7], 1.0
	s_delay_alu instid0(VALU_DEP_1) | instskip(NEXT) | instid1(VALU_DEP_1)
	v_fma_f64 v[6:7], v[6:7], v[19:20], v[6:7]
	v_fma_f64 v[19:20], -v[4:5], v[6:7], 1.0
	s_delay_alu instid0(VALU_DEP_1) | instskip(NEXT) | instid1(VALU_DEP_1)
	v_fma_f64 v[6:7], v[6:7], v[19:20], v[6:7]
	v_mul_f64_e32 v[19:20], v[21:22], v[6:7]
	s_delay_alu instid0(VALU_DEP_1) | instskip(SKIP_1) | instid1(VALU_DEP_1)
	v_fma_f64 v[4:5], -v[4:5], v[19:20], v[21:22]
	s_wait_alu 0xfffd
	v_div_fmas_f64 v[4:5], v[4:5], v[6:7], v[19:20]
	s_delay_alu instid0(VALU_DEP_1) | instskip(NEXT) | instid1(VALU_DEP_1)
	v_div_fixup_f64 v[4:5], v[4:5], v[0:1], v[2:3]
	v_fma_f64 v[0:1], v[2:3], v[4:5], v[0:1]
	s_delay_alu instid0(VALU_DEP_1) | instskip(SKIP_1) | instid1(VALU_DEP_2)
	v_div_scale_f64 v[2:3], null, v[0:1], v[0:1], 1.0
	v_div_scale_f64 v[21:22], vcc_lo, 1.0, v[0:1], 1.0
	v_rcp_f64_e32 v[6:7], v[2:3]
	s_delay_alu instid0(TRANS32_DEP_1) | instskip(NEXT) | instid1(VALU_DEP_1)
	v_fma_f64 v[19:20], -v[2:3], v[6:7], 1.0
	v_fma_f64 v[6:7], v[6:7], v[19:20], v[6:7]
	s_delay_alu instid0(VALU_DEP_1) | instskip(NEXT) | instid1(VALU_DEP_1)
	v_fma_f64 v[19:20], -v[2:3], v[6:7], 1.0
	v_fma_f64 v[6:7], v[6:7], v[19:20], v[6:7]
	s_delay_alu instid0(VALU_DEP_1) | instskip(NEXT) | instid1(VALU_DEP_1)
	v_mul_f64_e32 v[19:20], v[21:22], v[6:7]
	v_fma_f64 v[2:3], -v[2:3], v[19:20], v[21:22]
	s_wait_alu 0xfffd
	s_delay_alu instid0(VALU_DEP_1) | instskip(SKIP_1) | instid1(VALU_DEP_2)
	v_div_fmas_f64 v[2:3], v[2:3], v[6:7], v[19:20]
	v_fma_f64 v[6:7], v[4:5], 0, 1.0
	v_div_fixup_f64 v[0:1], v[2:3], v[0:1], 1.0
	v_add_f64_e64 v[2:3], -v[4:5], 0
	s_delay_alu instid0(VALU_DEP_2) | instskip(NEXT) | instid1(VALU_DEP_2)
	v_mul_f64_e32 v[4:5], v[6:7], v[0:1]
	v_mul_f64_e32 v[6:7], v[2:3], v[0:1]
.LBB215_12:                             ;   in Loop: Header=BB215_4 Depth=1
	s_or_b32 exec_lo, exec_lo, s18
	s_branch .LBB215_14
.LBB215_13:                             ;   in Loop: Header=BB215_4 Depth=1
	v_mov_b32_e32 v6, 0
	v_dual_mov_b32 v7, 0 :: v_dual_mov_b32 v4, 0
	v_mov_b32_e32 v5, 0x3ff00000
.LBB215_14:                             ;   in Loop: Header=BB215_4 Depth=1
	ds_store_b128 v14, v[4:7]
.LBB215_15:                             ;   in Loop: Header=BB215_4 Depth=1
	s_wait_alu 0xfffe
	s_or_b32 exec_lo, exec_lo, s16
	s_mov_b32 s16, -1
	s_or_b32 s39, s39, exec_lo
	; wave barrier
	s_wait_loadcnt_dscnt 0x0
	global_inv scope:SCOPE_SE
	s_and_saveexec_b32 s21, s2
	s_cbranch_execz .LBB215_3
; %bb.16:                               ;   in Loop: Header=BB215_4 Depth=1
	v_add_co_u32 v0, vcc_lo, v10, s14
	s_wait_alu 0xfffd
	v_add_co_ci_u32_e64 v1, null, s15, v11, vcc_lo
	s_delay_alu instid0(VALU_DEP_2) | instskip(SKIP_1) | instid1(VALU_DEP_2)
	v_add_co_u32 v6, vcc_lo, v0, v8
	s_wait_alu 0xfffd
	v_add_co_ci_u32_e64 v7, null, v1, v9, vcc_lo
	s_and_not1_b32 vcc_lo, exec_lo, s34
	s_wait_alu 0xfffe
	s_cbranch_vccnz .LBB215_38
; %bb.17:                               ;   in Loop: Header=BB215_4 Depth=1
	v_add_co_u32 v19, vcc_lo, v10, v18
	s_wait_alu 0xfffd
	v_add_co_ci_u32_e64 v20, null, v11, v17, vcc_lo
	s_mov_b32 s22, 0
	s_mov_b32 s18, 0
	s_branch .LBB215_19
.LBB215_18:                             ;   in Loop: Header=BB215_19 Depth=2
	s_cmp_lt_i32 s18, s30
	s_cselect_b32 s16, -1, 0
	s_add_co_i32 s19, s22, 1
	s_cmp_lt_u32 s22, 2
	s_cselect_b32 s22, -1, 0
	s_wait_alu 0xfffe
	s_and_b32 s16, s16, s22
	s_mov_b32 s22, s19
	s_wait_alu 0xfffe
	s_and_b32 vcc_lo, exec_lo, s16
	s_wait_alu 0xfffe
	s_cbranch_vccz .LBB215_37
.LBB215_19:                             ;   Parent Loop BB215_4 Depth=1
                                        ; =>  This Loop Header: Depth=2
                                        ;       Child Loop BB215_22 Depth 3
                                        ;         Child Loop BB215_23 Depth 4
                                        ;         Child Loop BB215_26 Depth 4
                                        ;           Child Loop BB215_27 Depth 5
                                        ;         Child Loop BB215_31 Depth 4
                                        ;           Child Loop BB215_33 Depth 5
	s_mov_b32 s23, s17
	s_getpc_b64 s[24:25]
	s_wait_alu 0xfffe
	s_sext_i32_i16 s25, s25
	s_add_co_u32 s24, s24, __const._ZL30rocblas_trsm_small_left_deviceILi16ELi16ELb0E19rocblas_complex_numIdES1_PKPKS1_PKPS1_Ev13rocblas_fill_18rocblas_operation_17rocblas_diagonal_iiT3_T4_lilT5_lili.step_sizes@rel32@lo+12
	s_wait_alu 0xfffe
	s_add_co_ci_u32 s25, s25, __const._ZL30rocblas_trsm_small_left_deviceILi16ELi16ELb0E19rocblas_complex_numIdES1_PKPKS1_PKPS1_Ev13rocblas_fill_18rocblas_operation_17rocblas_diagonal_iiT3_T4_lilT5_lili.step_sizes@rel32@hi+24
	s_lshl_b64 s[26:27], s[22:23], 2
	s_wait_alu 0xfffe
	s_add_nc_u64 s[24:25], s[24:25], s[26:27]
	s_load_b32 s24, s[24:25], 0x0
	s_wait_kmcnt 0x0
	s_add_co_i32 s23, s24, -1
	s_wait_alu 0xfffe
	s_add_co_i32 s16, s23, s18
	s_wait_alu 0xfffe
	s_cmp_ge_i32 s16, s30
	s_cbranch_scc1 .LBB215_18
; %bb.20:                               ;   in Loop: Header=BB215_19 Depth=2
	s_ashr_i32 s19, s18, 31
	s_ashr_i32 s25, s24, 31
	s_lshl_b64 s[26:27], s[18:19], 4
	s_max_i32 s40, s24, 1
	s_wait_alu 0xfffe
	v_add_co_u32 v4, vcc_lo, v19, s26
	s_wait_alu 0xfffd
	v_add_co_ci_u32_e64 v5, null, s27, v20, vcc_lo
	s_lshl_b64 s[26:27], s[24:25], 4
	s_lshl_b32 s19, s18, 8
	s_lshl_b32 s25, s24, 8
	s_mul_i32 s41, s18, 0x110
	s_mul_i32 s42, s24, 0x110
	s_branch .LBB215_22
.LBB215_21:                             ;   in Loop: Header=BB215_22 Depth=3
	v_add_co_u32 v4, vcc_lo, v4, s26
	s_add_co_i32 s18, s18, s24
	s_wait_alu 0xfffd
	v_add_co_ci_u32_e64 v5, null, s27, v5, vcc_lo
	s_add_co_i32 s16, s23, s18
	s_add_co_i32 s19, s19, s25
	;; [unrolled: 1-line block ×3, first 2 shown]
	s_wait_alu 0xfffe
	s_cmp_ge_i32 s16, s30
	s_cbranch_scc1 .LBB215_18
.LBB215_22:                             ;   Parent Loop BB215_4 Depth=1
                                        ;     Parent Loop BB215_19 Depth=2
                                        ; =>    This Loop Header: Depth=3
                                        ;         Child Loop BB215_23 Depth 4
                                        ;         Child Loop BB215_26 Depth 4
                                        ;           Child Loop BB215_27 Depth 5
                                        ;         Child Loop BB215_31 Depth 4
                                        ;           Child Loop BB215_33 Depth 5
	v_dual_mov_b32 v0, v4 :: v_dual_mov_b32 v1, v5
	s_mov_b32 s16, 8
	s_mov_b32 s28, s40
.LBB215_23:                             ;   Parent Loop BB215_4 Depth=1
                                        ;     Parent Loop BB215_19 Depth=2
                                        ;       Parent Loop BB215_22 Depth=3
                                        ; =>      This Inner Loop Header: Depth=4
	flat_load_b128 v[21:24], v[0:1] offset:-8
	v_add_co_u32 v0, vcc_lo, v0, 16
	s_wait_alu 0xfffd
	v_add_co_ci_u32_e64 v1, null, 0, v1, vcc_lo
	s_wait_alu 0xfffe
	s_add_co_i32 s28, s28, -1
	s_mov_b32 s29, s16
	s_add_co_i32 s16, s16, 16
	s_wait_alu 0xfffe
	s_cmp_eq_u32 s28, 0
	s_wait_loadcnt_dscnt 0x0
	v_mul_f64_e32 v[2:3], s[6:7], v[23:24]
	v_mul_f64_e32 v[25:26], s[4:5], v[23:24]
	s_delay_alu instid0(VALU_DEP_2) | instskip(NEXT) | instid1(VALU_DEP_2)
	v_fma_f64 v[23:24], s[4:5], v[21:22], -v[2:3]
	v_fma_f64 v[25:26], s[6:7], v[21:22], v[25:26]
	scratch_store_b128 off, v[23:26], s29 offset:-8
	s_cbranch_scc0 .LBB215_23
; %bb.24:                               ;   in Loop: Header=BB215_22 Depth=3
	s_cmp_lt_i32 s18, 1
	s_cbranch_scc1 .LBB215_29
; %bb.25:                               ;   in Loop: Header=BB215_22 Depth=3
	s_mov_b32 s16, 0
	s_mov_b32 s28, s19
.LBB215_26:                             ;   Parent Loop BB215_4 Depth=1
                                        ;     Parent Loop BB215_19 Depth=2
                                        ;       Parent Loop BB215_22 Depth=3
                                        ; =>      This Loop Header: Depth=4
                                        ;           Child Loop BB215_27 Depth 5
	s_wait_alu 0xfffe
	s_lshl_b64 s[44:45], s[16:17], 4
	s_mov_b32 s29, s35
	s_wait_alu 0xfffe
	v_add_co_u32 v0, vcc_lo, v6, s44
	s_wait_alu 0xfffd
	v_add_co_ci_u32_e64 v1, null, s45, v7, vcc_lo
	s_mov_b32 s43, s28
	s_mov_b32 s44, s40
	flat_load_b128 v[0:3], v[0:1]
.LBB215_27:                             ;   Parent Loop BB215_4 Depth=1
                                        ;     Parent Loop BB215_19 Depth=2
                                        ;       Parent Loop BB215_22 Depth=3
                                        ;         Parent Loop BB215_26 Depth=4
                                        ; =>        This Inner Loop Header: Depth=5
	scratch_load_b128 v[21:24], off, s29 offset:-8
	s_wait_alu 0xfffe
	v_mov_b32_e32 v25, s43
	s_add_co_i32 s44, s44, -1
	s_addk_co_i32 s43, 0x100
	ds_load_b128 v[25:28], v25
	s_wait_loadcnt_dscnt 0x100
	v_mul_f64_e32 v[29:30], v[2:3], v[27:28]
	v_mul_f64_e32 v[27:28], v[0:1], v[27:28]
	s_delay_alu instid0(VALU_DEP_2) | instskip(NEXT) | instid1(VALU_DEP_2)
	v_fma_f64 v[29:30], v[0:1], v[25:26], -v[29:30]
	v_fma_f64 v[25:26], v[2:3], v[25:26], v[27:28]
	s_wait_loadcnt 0x0
	s_delay_alu instid0(VALU_DEP_2) | instskip(NEXT) | instid1(VALU_DEP_2)
	v_add_f64_e64 v[21:22], v[21:22], -v[29:30]
	v_add_f64_e64 v[23:24], v[23:24], -v[25:26]
	scratch_store_b128 off, v[21:24], s29 offset:-8
	s_add_co_i32 s29, s29, 16
	s_wait_alu 0xfffe
	s_cmp_eq_u32 s44, 0
	s_cbranch_scc0 .LBB215_27
; %bb.28:                               ;   in Loop: Header=BB215_26 Depth=4
	s_add_co_i32 s16, s16, 1
	s_add_co_i32 s28, s28, 16
	s_wait_alu 0xfffe
	s_cmp_eq_u32 s16, s18
	s_cbranch_scc0 .LBB215_26
.LBB215_29:                             ;   in Loop: Header=BB215_22 Depth=3
	s_mov_b32 s16, 0
	s_mov_b32 s43, s41
	s_branch .LBB215_31
.LBB215_30:                             ;   in Loop: Header=BB215_31 Depth=4
	s_wait_alu 0xfffe
	s_mul_i32 s29, s28, 0x110
	s_lshl_b32 s44, s16, 4
	s_wait_alu 0xfffe
	v_mov_b32_e32 v21, s29
	s_ashr_i32 s29, s28, 31
	s_add_co_i32 s16, s16, 1
	s_wait_alu 0xfffe
	s_lshl_b64 s[28:29], s[28:29], 4
	s_addk_co_i32 s43, 0x100
	ds_load_b128 v[21:24], v21
	s_cmp_eq_u32 s16, s40
	s_wait_loadcnt_dscnt 0x0
	v_mul_f64_e32 v[25:26], v[23:24], v[2:3]
	v_mul_f64_e32 v[2:3], v[21:22], v[2:3]
	s_delay_alu instid0(VALU_DEP_2) | instskip(NEXT) | instid1(VALU_DEP_2)
	v_fma_f64 v[21:22], v[21:22], v[0:1], -v[25:26]
	v_fma_f64 v[23:24], v[23:24], v[0:1], v[2:3]
	s_wait_alu 0xfffe
	v_add_co_u32 v0, vcc_lo, v6, s28
	s_wait_alu 0xfffd
	v_add_co_ci_u32_e64 v1, null, s29, v7, vcc_lo
	scratch_store_b128 off, v[21:24], s44
	flat_store_b128 v[0:1], v[21:24]
	s_cbranch_scc1 .LBB215_21
.LBB215_31:                             ;   Parent Loop BB215_4 Depth=1
                                        ;     Parent Loop BB215_19 Depth=2
                                        ;       Parent Loop BB215_22 Depth=3
                                        ; =>      This Loop Header: Depth=4
                                        ;           Child Loop BB215_33 Depth 5
	s_wait_alu 0xfffe
	s_cmp_lg_u32 s16, 0
	s_cbranch_scc0 .LBB215_35
; %bb.32:                               ;   in Loop: Header=BB215_31 Depth=4
	s_lshl_b32 s29, s16, 4
	s_add_co_i32 s28, s16, s18
	scratch_load_b128 v[0:3], off, s29
	s_mov_b32 s44, s43
	s_mov_b32 s45, s35
	;; [unrolled: 1-line block ×3, first 2 shown]
.LBB215_33:                             ;   Parent Loop BB215_4 Depth=1
                                        ;     Parent Loop BB215_19 Depth=2
                                        ;       Parent Loop BB215_22 Depth=3
                                        ;         Parent Loop BB215_31 Depth=4
                                        ; =>        This Inner Loop Header: Depth=5
	scratch_load_b128 v[21:24], off, s45 offset:-8
	s_wait_alu 0xfffe
	v_mov_b32_e32 v25, s44
	s_add_co_i32 s46, s46, -1
	s_add_co_i32 s45, s45, 16
	s_add_co_i32 s44, s44, 16
	s_cmp_eq_u32 s46, 0
	ds_load_b128 v[25:28], v25
	s_wait_loadcnt_dscnt 0x0
	v_mul_f64_e32 v[29:30], v[27:28], v[23:24]
	v_mul_f64_e32 v[23:24], v[25:26], v[23:24]
	s_delay_alu instid0(VALU_DEP_2) | instskip(NEXT) | instid1(VALU_DEP_2)
	v_fma_f64 v[25:26], v[25:26], v[21:22], -v[29:30]
	v_fma_f64 v[21:22], v[27:28], v[21:22], v[23:24]
	s_delay_alu instid0(VALU_DEP_2) | instskip(NEXT) | instid1(VALU_DEP_2)
	v_add_f64_e64 v[0:1], v[0:1], -v[25:26]
	v_add_f64_e64 v[2:3], v[2:3], -v[21:22]
	scratch_store_b128 off, v[0:3], s29
	s_cbranch_scc0 .LBB215_33
; %bb.34:                               ;   in Loop: Header=BB215_31 Depth=4
	s_branch .LBB215_30
.LBB215_35:                             ;   in Loop: Header=BB215_31 Depth=4
                                        ; implicit-def: $vgpr0_vgpr1
                                        ; implicit-def: $sgpr28
	s_cbranch_execz .LBB215_30
; %bb.36:                               ;   in Loop: Header=BB215_31 Depth=4
	scratch_load_b128 v[0:3], off, off
	s_mov_b32 s28, s18
	s_branch .LBB215_30
.LBB215_37:                             ;   in Loop: Header=BB215_4 Depth=1
	s_mov_b32 s16, 0
.LBB215_38:                             ;   in Loop: Header=BB215_4 Depth=1
	s_wait_alu 0xfffe
	s_and_b32 vcc_lo, exec_lo, s16
	s_wait_alu 0xfffe
	s_cbranch_vccz .LBB215_2
; %bb.39:                               ;   in Loop: Header=BB215_4 Depth=1
	v_add_co_u32 v4, vcc_lo, v10, v18
	s_wait_alu 0xfffd
	v_add_co_ci_u32_e64 v5, null, v11, v17, vcc_lo
	s_mov_b32 s16, 0
	s_mov_b32 s18, s31
	s_branch .LBB215_41
.LBB215_40:                             ;   in Loop: Header=BB215_41 Depth=2
	s_cmp_gt_i32 s18, -1
	s_cselect_b32 s19, -1, 0
	s_add_co_i32 s22, s16, 1
	s_cmp_lt_u32 s16, 2
	s_cselect_b32 s16, -1, 0
	s_wait_alu 0xfffe
	s_and_b32 s16, s19, s16
	s_wait_alu 0xfffe
	s_and_not1_b32 vcc_lo, exec_lo, s16
	s_mov_b32 s16, s22
	s_wait_alu 0xfffe
	s_cbranch_vccnz .LBB215_2
.LBB215_41:                             ;   Parent Loop BB215_4 Depth=1
                                        ; =>  This Loop Header: Depth=2
                                        ;       Child Loop BB215_44 Depth 3
                                        ;         Child Loop BB215_45 Depth 4
                                        ;         Child Loop BB215_47 Depth 4
                                        ;           Child Loop BB215_48 Depth 5
                                        ;         Child Loop BB215_52 Depth 4
                                        ;           Child Loop BB215_54 Depth 5
	s_getpc_b64 s[22:23]
	s_wait_alu 0xfffe
	s_sext_i32_i16 s23, s23
	s_add_co_u32 s22, s22, __const._ZL30rocblas_trsm_small_left_deviceILi16ELi16ELb0E19rocblas_complex_numIdES1_PKPKS1_PKPS1_Ev13rocblas_fill_18rocblas_operation_17rocblas_diagonal_iiT3_T4_lilT5_lili.step_sizes@rel32@lo+12
	s_wait_alu 0xfffe
	s_add_co_ci_u32 s23, s23, __const._ZL30rocblas_trsm_small_left_deviceILi16ELi16ELb0E19rocblas_complex_numIdES1_PKPKS1_PKPS1_Ev13rocblas_fill_18rocblas_operation_17rocblas_diagonal_iiT3_T4_lilT5_lili.step_sizes@rel32@hi+24
	s_lshl_b64 s[24:25], s[16:17], 2
	s_wait_alu 0xfffe
	s_add_nc_u64 s[22:23], s[22:23], s[24:25]
	s_load_b32 s26, s[22:23], 0x0
	s_wait_kmcnt 0x0
	s_add_co_i32 s27, s26, -1
	s_wait_alu 0xfffe
	s_cmp_lt_i32 s18, s27
	s_cbranch_scc1 .LBB215_40
; %bb.42:                               ;   in Loop: Header=BB215_41 Depth=2
	s_lshl_b32 s19, s18, 4
	s_lshl_b32 s22, s26, 4
	s_max_i32 s28, s26, 1
	s_add_co_i32 s29, s36, s19
	s_wait_alu 0xfffe
	s_sub_co_i32 s40, 0, s22
	s_mul_i32 s41, s18, 0x110
	s_mul_i32 s42, s26, 0xfffffef0
	s_branch .LBB215_44
.LBB215_43:                             ;   in Loop: Header=BB215_44 Depth=3
	s_sub_co_i32 s18, s18, s26
	s_add_co_i32 s29, s29, s40
	s_add_co_i32 s41, s41, s42
	s_cmp_lt_i32 s18, s27
	s_cbranch_scc1 .LBB215_40
.LBB215_44:                             ;   Parent Loop BB215_4 Depth=1
                                        ;     Parent Loop BB215_41 Depth=2
                                        ; =>    This Loop Header: Depth=3
                                        ;         Child Loop BB215_45 Depth 4
                                        ;         Child Loop BB215_47 Depth 4
                                        ;           Child Loop BB215_48 Depth 5
                                        ;         Child Loop BB215_52 Depth 4
                                        ;           Child Loop BB215_54 Depth 5
	s_ashr_i32 s19, s18, 31
	s_delay_alu instid0(SALU_CYCLE_1)
	s_lshl_b64 s[22:23], s[18:19], 4
	s_wait_alu 0xfffe
	v_add_co_u32 v0, vcc_lo, v4, s22
	s_wait_alu 0xfffd
	v_add_co_ci_u32_e64 v1, null, s23, v5, vcc_lo
	s_mov_b32 s22, 8
	s_mov_b32 s23, s28
.LBB215_45:                             ;   Parent Loop BB215_4 Depth=1
                                        ;     Parent Loop BB215_41 Depth=2
                                        ;       Parent Loop BB215_44 Depth=3
                                        ; =>      This Inner Loop Header: Depth=4
	flat_load_b128 v[19:22], v[0:1] offset:-8
	v_add_co_u32 v0, vcc_lo, v0, -16
	s_wait_alu 0xfffd
	v_add_co_ci_u32_e64 v1, null, -1, v1, vcc_lo
	s_wait_alu 0xfffe
	s_add_co_i32 s23, s23, -1
	s_mov_b32 s24, s22
	s_add_co_i32 s22, s22, 16
	s_wait_alu 0xfffe
	s_cmp_eq_u32 s23, 0
	s_wait_loadcnt_dscnt 0x0
	v_mul_f64_e32 v[2:3], s[6:7], v[21:22]
	v_mul_f64_e32 v[10:11], s[4:5], v[21:22]
	s_delay_alu instid0(VALU_DEP_2) | instskip(NEXT) | instid1(VALU_DEP_2)
	v_fma_f64 v[21:22], s[4:5], v[19:20], -v[2:3]
	v_fma_f64 v[23:24], s[6:7], v[19:20], v[10:11]
	scratch_store_b128 off, v[21:24], s24 offset:-8
	s_cbranch_scc0 .LBB215_45
; %bb.46:                               ;   in Loop: Header=BB215_44 Depth=3
	s_cmp_le_i32 s31, s18
	s_mov_b32 s24, s29
	s_mov_b32 s22, s31
	s_cbranch_scc1 .LBB215_50
.LBB215_47:                             ;   Parent Loop BB215_4 Depth=1
                                        ;     Parent Loop BB215_41 Depth=2
                                        ;       Parent Loop BB215_44 Depth=3
                                        ; =>      This Loop Header: Depth=4
                                        ;           Child Loop BB215_48 Depth 5
	s_wait_alu 0xfffe
	s_ashr_i32 s23, s22, 31
	s_mov_b32 s25, s24
	s_wait_alu 0xfffe
	s_lshl_b64 s[44:45], s[22:23], 4
	s_mov_b32 s23, s35
	s_wait_alu 0xfffe
	v_add_co_u32 v0, vcc_lo, v6, s44
	s_wait_alu 0xfffd
	v_add_co_ci_u32_e64 v1, null, s45, v7, vcc_lo
	s_mov_b32 s43, s28
	flat_load_b128 v[0:3], v[0:1]
.LBB215_48:                             ;   Parent Loop BB215_4 Depth=1
                                        ;     Parent Loop BB215_41 Depth=2
                                        ;       Parent Loop BB215_44 Depth=3
                                        ;         Parent Loop BB215_47 Depth=4
                                        ; =>        This Inner Loop Header: Depth=5
	scratch_load_b128 v[19:22], off, s23 offset:-8
	v_mov_b32_e32 v10, s25
	s_wait_alu 0xfffe
	s_add_co_i32 s43, s43, -1
	s_add_co_i32 s25, s25, -16
	ds_load_b128 v[23:26], v10
	s_wait_loadcnt_dscnt 0x100
	v_mul_f64_e32 v[10:11], v[2:3], v[25:26]
	v_mul_f64_e32 v[25:26], v[0:1], v[25:26]
	s_delay_alu instid0(VALU_DEP_2) | instskip(NEXT) | instid1(VALU_DEP_2)
	v_fma_f64 v[10:11], v[0:1], v[23:24], -v[10:11]
	v_fma_f64 v[23:24], v[2:3], v[23:24], v[25:26]
	s_wait_loadcnt 0x0
	s_delay_alu instid0(VALU_DEP_2) | instskip(NEXT) | instid1(VALU_DEP_2)
	v_add_f64_e64 v[19:20], v[19:20], -v[10:11]
	v_add_f64_e64 v[21:22], v[21:22], -v[23:24]
	scratch_store_b128 off, v[19:22], s23 offset:-8
	s_add_co_i32 s23, s23, 16
	s_wait_alu 0xfffe
	s_cmp_eq_u32 s43, 0
	s_cbranch_scc0 .LBB215_48
; %bb.49:                               ;   in Loop: Header=BB215_47 Depth=4
	s_add_co_i32 s22, s22, -1
	s_addk_co_i32 s24, 0xff00
	s_wait_alu 0xfffe
	s_cmp_le_i32 s22, s18
	s_cbranch_scc0 .LBB215_47
.LBB215_50:                             ;   in Loop: Header=BB215_44 Depth=3
	s_mov_b32 s43, 0
	s_mov_b32 s44, s41
	s_branch .LBB215_52
.LBB215_51:                             ;   in Loop: Header=BB215_52 Depth=4
	s_wait_alu 0xfffe
	s_mulk_i32 s24, 0x110
	s_lshl_b64 s[22:23], s[22:23], 4
	s_wait_alu 0xfffe
	v_mov_b32_e32 v10, s24
	s_lshl_b32 s24, s43, 4
	s_add_co_i32 s43, s43, 1
	s_add_co_i32 s44, s44, -16
	s_wait_alu 0xfffe
	s_cmp_eq_u32 s43, s28
	ds_load_b128 v[19:22], v10
	s_wait_loadcnt_dscnt 0x0
	v_mul_f64_e32 v[10:11], v[21:22], v[2:3]
	v_mul_f64_e32 v[2:3], v[19:20], v[2:3]
	s_delay_alu instid0(VALU_DEP_2) | instskip(NEXT) | instid1(VALU_DEP_2)
	v_fma_f64 v[19:20], v[19:20], v[0:1], -v[10:11]
	v_fma_f64 v[21:22], v[21:22], v[0:1], v[2:3]
	v_add_co_u32 v0, vcc_lo, v6, s22
	s_wait_alu 0xfffd
	v_add_co_ci_u32_e64 v1, null, s23, v7, vcc_lo
	scratch_store_b128 off, v[19:22], s24
	flat_store_b128 v[0:1], v[19:22]
	s_cbranch_scc1 .LBB215_43
.LBB215_52:                             ;   Parent Loop BB215_4 Depth=1
                                        ;     Parent Loop BB215_41 Depth=2
                                        ;       Parent Loop BB215_44 Depth=3
                                        ; =>      This Loop Header: Depth=4
                                        ;           Child Loop BB215_54 Depth 5
	s_wait_alu 0xfffe
	s_cmp_lg_u32 s43, 0
	s_cbranch_scc0 .LBB215_56
; %bb.53:                               ;   in Loop: Header=BB215_52 Depth=4
	s_lshl_b32 s22, s43, 4
	s_mov_b32 s23, s35
	scratch_load_b128 v[0:3], off, s22
	s_mov_b32 s24, s44
	s_mov_b32 s25, s43
.LBB215_54:                             ;   Parent Loop BB215_4 Depth=1
                                        ;     Parent Loop BB215_41 Depth=2
                                        ;       Parent Loop BB215_44 Depth=3
                                        ;         Parent Loop BB215_52 Depth=4
                                        ; =>        This Inner Loop Header: Depth=5
	scratch_load_b128 v[19:22], off, s23 offset:-8
	s_wait_alu 0xfffe
	v_mov_b32_e32 v10, s24
	s_add_co_i32 s25, s25, -1
	s_addk_co_i32 s24, 0xff00
	s_add_co_i32 s23, s23, 16
	s_wait_alu 0xfffe
	s_cmp_eq_u32 s25, 0
	ds_load_b128 v[23:26], v10
	s_wait_loadcnt_dscnt 0x0
	v_mul_f64_e32 v[10:11], v[25:26], v[21:22]
	v_mul_f64_e32 v[21:22], v[23:24], v[21:22]
	s_delay_alu instid0(VALU_DEP_2) | instskip(NEXT) | instid1(VALU_DEP_2)
	v_fma_f64 v[10:11], v[23:24], v[19:20], -v[10:11]
	v_fma_f64 v[19:20], v[25:26], v[19:20], v[21:22]
	s_delay_alu instid0(VALU_DEP_2) | instskip(NEXT) | instid1(VALU_DEP_2)
	v_add_f64_e64 v[0:1], v[0:1], -v[10:11]
	v_add_f64_e64 v[2:3], v[2:3], -v[19:20]
	scratch_store_b128 off, v[0:3], s22
	s_cbranch_scc0 .LBB215_54
; %bb.55:                               ;   in Loop: Header=BB215_52 Depth=4
	s_sub_co_i32 s24, s18, s43
	s_wait_alu 0xfffe
	s_ashr_i32 s25, s24, 31
	s_wait_alu 0xfffe
	s_mov_b64 s[22:23], s[24:25]
	s_branch .LBB215_51
.LBB215_56:                             ;   in Loop: Header=BB215_52 Depth=4
                                        ; implicit-def: $vgpr0_vgpr1
                                        ; implicit-def: $sgpr24
                                        ; implicit-def: $sgpr22_sgpr23
	s_cbranch_execz .LBB215_51
; %bb.57:                               ;   in Loop: Header=BB215_52 Depth=4
	scratch_load_b128 v[0:3], off, off
	s_mov_b64 s[22:23], s[18:19]
	s_mov_b32 s24, s18
	s_branch .LBB215_51
.LBB215_58:
	s_or_b32 exec_lo, exec_lo, s37
	s_and_saveexec_b32 s0, s38
	s_wait_alu 0xfffe
	s_xor_b32 s0, exec_lo, s0
.LBB215_59:
	s_endpgm
	.section	.rodata,"a",@progbits
	.p2align	6, 0x0
	.amdhsa_kernel _ZL30rocblas_trsm_small_left_deviceILi16ELi16ELb0E19rocblas_complex_numIdES1_PKPKS1_PKPS1_Ev13rocblas_fill_18rocblas_operation_17rocblas_diagonal_iiT3_T4_lilT5_lili
		.amdhsa_group_segment_fixed_size 4096
		.amdhsa_private_segment_fixed_size 272
		.amdhsa_kernarg_size 368
		.amdhsa_user_sgpr_count 2
		.amdhsa_user_sgpr_dispatch_ptr 0
		.amdhsa_user_sgpr_queue_ptr 0
		.amdhsa_user_sgpr_kernarg_segment_ptr 1
		.amdhsa_user_sgpr_dispatch_id 0
		.amdhsa_user_sgpr_private_segment_size 0
		.amdhsa_wavefront_size32 1
		.amdhsa_uses_dynamic_stack 0
		.amdhsa_enable_private_segment 1
		.amdhsa_system_sgpr_workgroup_id_x 1
		.amdhsa_system_sgpr_workgroup_id_y 0
		.amdhsa_system_sgpr_workgroup_id_z 1
		.amdhsa_system_sgpr_workgroup_info 0
		.amdhsa_system_vgpr_workitem_id 0
		.amdhsa_next_free_vgpr 169
		.amdhsa_next_free_sgpr 47
		.amdhsa_reserve_vcc 1
		.amdhsa_float_round_mode_32 0
		.amdhsa_float_round_mode_16_64 0
		.amdhsa_float_denorm_mode_32 3
		.amdhsa_float_denorm_mode_16_64 3
		.amdhsa_fp16_overflow 0
		.amdhsa_workgroup_processor_mode 1
		.amdhsa_memory_ordered 1
		.amdhsa_forward_progress 1
		.amdhsa_inst_pref_size 25
		.amdhsa_round_robin_scheduling 0
		.amdhsa_exception_fp_ieee_invalid_op 0
		.amdhsa_exception_fp_denorm_src 0
		.amdhsa_exception_fp_ieee_div_zero 0
		.amdhsa_exception_fp_ieee_overflow 0
		.amdhsa_exception_fp_ieee_underflow 0
		.amdhsa_exception_fp_ieee_inexact 0
		.amdhsa_exception_int_div_zero 0
	.end_amdhsa_kernel
	.section	.text._ZL30rocblas_trsm_small_left_deviceILi16ELi16ELb0E19rocblas_complex_numIdES1_PKPKS1_PKPS1_Ev13rocblas_fill_18rocblas_operation_17rocblas_diagonal_iiT3_T4_lilT5_lili,"axG",@progbits,_ZL30rocblas_trsm_small_left_deviceILi16ELi16ELb0E19rocblas_complex_numIdES1_PKPKS1_PKPS1_Ev13rocblas_fill_18rocblas_operation_17rocblas_diagonal_iiT3_T4_lilT5_lili,comdat
.Lfunc_end215:
	.size	_ZL30rocblas_trsm_small_left_deviceILi16ELi16ELb0E19rocblas_complex_numIdES1_PKPKS1_PKPS1_Ev13rocblas_fill_18rocblas_operation_17rocblas_diagonal_iiT3_T4_lilT5_lili, .Lfunc_end215-_ZL30rocblas_trsm_small_left_deviceILi16ELi16ELb0E19rocblas_complex_numIdES1_PKPKS1_PKPS1_Ev13rocblas_fill_18rocblas_operation_17rocblas_diagonal_iiT3_T4_lilT5_lili
                                        ; -- End function
	.set _ZL30rocblas_trsm_small_left_deviceILi16ELi16ELb0E19rocblas_complex_numIdES1_PKPKS1_PKPS1_Ev13rocblas_fill_18rocblas_operation_17rocblas_diagonal_iiT3_T4_lilT5_lili.num_vgpr, 31
	.set _ZL30rocblas_trsm_small_left_deviceILi16ELi16ELb0E19rocblas_complex_numIdES1_PKPKS1_PKPS1_Ev13rocblas_fill_18rocblas_operation_17rocblas_diagonal_iiT3_T4_lilT5_lili.num_agpr, 0
	.set _ZL30rocblas_trsm_small_left_deviceILi16ELi16ELb0E19rocblas_complex_numIdES1_PKPKS1_PKPS1_Ev13rocblas_fill_18rocblas_operation_17rocblas_diagonal_iiT3_T4_lilT5_lili.numbered_sgpr, 47
	.set _ZL30rocblas_trsm_small_left_deviceILi16ELi16ELb0E19rocblas_complex_numIdES1_PKPKS1_PKPS1_Ev13rocblas_fill_18rocblas_operation_17rocblas_diagonal_iiT3_T4_lilT5_lili.num_named_barrier, 0
	.set _ZL30rocblas_trsm_small_left_deviceILi16ELi16ELb0E19rocblas_complex_numIdES1_PKPKS1_PKPS1_Ev13rocblas_fill_18rocblas_operation_17rocblas_diagonal_iiT3_T4_lilT5_lili.private_seg_size, 272
	.set _ZL30rocblas_trsm_small_left_deviceILi16ELi16ELb0E19rocblas_complex_numIdES1_PKPKS1_PKPS1_Ev13rocblas_fill_18rocblas_operation_17rocblas_diagonal_iiT3_T4_lilT5_lili.uses_vcc, 1
	.set _ZL30rocblas_trsm_small_left_deviceILi16ELi16ELb0E19rocblas_complex_numIdES1_PKPKS1_PKPS1_Ev13rocblas_fill_18rocblas_operation_17rocblas_diagonal_iiT3_T4_lilT5_lili.uses_flat_scratch, 0
	.set _ZL30rocblas_trsm_small_left_deviceILi16ELi16ELb0E19rocblas_complex_numIdES1_PKPKS1_PKPS1_Ev13rocblas_fill_18rocblas_operation_17rocblas_diagonal_iiT3_T4_lilT5_lili.has_dyn_sized_stack, 0
	.set _ZL30rocblas_trsm_small_left_deviceILi16ELi16ELb0E19rocblas_complex_numIdES1_PKPKS1_PKPS1_Ev13rocblas_fill_18rocblas_operation_17rocblas_diagonal_iiT3_T4_lilT5_lili.has_recursion, 0
	.set _ZL30rocblas_trsm_small_left_deviceILi16ELi16ELb0E19rocblas_complex_numIdES1_PKPKS1_PKPS1_Ev13rocblas_fill_18rocblas_operation_17rocblas_diagonal_iiT3_T4_lilT5_lili.has_indirect_call, 0
	.section	.AMDGPU.csdata,"",@progbits
; Kernel info:
; codeLenInByte = 3136
; TotalNumSgprs: 49
; NumVgprs: 31
; ScratchSize: 272
; MemoryBound: 0
; FloatMode: 240
; IeeeMode: 1
; LDSByteSize: 4096 bytes/workgroup (compile time only)
; SGPRBlocks: 0
; VGPRBlocks: 21
; NumSGPRsForWavesPerEU: 49
; NumVGPRsForWavesPerEU: 169
; Occupancy: 8
; WaveLimiterHint : 1
; COMPUTE_PGM_RSRC2:SCRATCH_EN: 1
; COMPUTE_PGM_RSRC2:USER_SGPR: 2
; COMPUTE_PGM_RSRC2:TRAP_HANDLER: 0
; COMPUTE_PGM_RSRC2:TGID_X_EN: 1
; COMPUTE_PGM_RSRC2:TGID_Y_EN: 0
; COMPUTE_PGM_RSRC2:TGID_Z_EN: 1
; COMPUTE_PGM_RSRC2:TIDIG_COMP_CNT: 0
	.section	.text._ZL38rocblas_trsm_small_left_device_sharedBILi16ELi16ELb1E19rocblas_complex_numIdES1_PKPKS1_PKPS1_Ev13rocblas_fill_18rocblas_operation_17rocblas_diagonal_iiT3_T4_lilT5_lili,"axG",@progbits,_ZL38rocblas_trsm_small_left_device_sharedBILi16ELi16ELb1E19rocblas_complex_numIdES1_PKPKS1_PKPS1_Ev13rocblas_fill_18rocblas_operation_17rocblas_diagonal_iiT3_T4_lilT5_lili,comdat
	.globl	_ZL38rocblas_trsm_small_left_device_sharedBILi16ELi16ELb1E19rocblas_complex_numIdES1_PKPKS1_PKPS1_Ev13rocblas_fill_18rocblas_operation_17rocblas_diagonal_iiT3_T4_lilT5_lili ; -- Begin function _ZL38rocblas_trsm_small_left_device_sharedBILi16ELi16ELb1E19rocblas_complex_numIdES1_PKPKS1_PKPS1_Ev13rocblas_fill_18rocblas_operation_17rocblas_diagonal_iiT3_T4_lilT5_lili
	.p2align	8
	.type	_ZL38rocblas_trsm_small_left_device_sharedBILi16ELi16ELb1E19rocblas_complex_numIdES1_PKPKS1_PKPS1_Ev13rocblas_fill_18rocblas_operation_17rocblas_diagonal_iiT3_T4_lilT5_lili,@function
_ZL38rocblas_trsm_small_left_device_sharedBILi16ELi16ELb1E19rocblas_complex_numIdES1_PKPKS1_PKPS1_Ev13rocblas_fill_18rocblas_operation_17rocblas_diagonal_iiT3_T4_lilT5_lili: ; @_ZL38rocblas_trsm_small_left_device_sharedBILi16ELi16ELb1E19rocblas_complex_numIdES1_PKPKS1_PKPS1_Ev13rocblas_fill_18rocblas_operation_17rocblas_diagonal_iiT3_T4_lilT5_lili
; %bb.0:
	s_load_b32 s24, s[0:1], 0x68
	s_lshr_b32 s2, ttmp7, 16
	s_wait_kmcnt 0x0
	s_cmp_ge_u32 s2, s24
	s_cbranch_scc1 .LBB216_62
; %bb.1:
	s_clause 0x5
	s_load_b32 s22, s[0:1], 0x38
	s_load_b32 s34, s[0:1], 0x58
	s_load_b128 s[16:19], s[0:1], 0x4
	s_load_b32 s3, s[0:1], 0x70
	s_load_b128 s[12:15], s[0:1], 0x48
	s_load_b256 s[4:11], s[0:1], 0x18
	v_dual_mov_b32 v13, 0 :: v_dual_lshlrev_b32 v12, 4, v0
	v_lshlrev_b32_e32 v5, 8, v0
	s_mov_b32 s21, 0
	s_delay_alu instid0(VALU_DEP_2) | instskip(NEXT) | instid1(VALU_DEP_2)
	v_or_b32_e32 v14, 0x1000, v12
	v_add_nc_u32_e32 v19, v12, v5
	s_wait_kmcnt 0x0
	s_ashr_i32 s23, s22, 31
	s_ashr_i32 s35, s34, 31
	s_cmp_eq_u32 s16, 0x71
	v_mad_co_i64_i32 v[1:2], null, s34, v0, 0
	s_cselect_b32 s0, -1, 0
	s_min_i32 s25, s18, 16
	s_lshl_b32 s30, ttmp9, 4
	s_add_co_i32 s3, s3, -1
	s_add_co_i32 s26, s25, -1
	s_sub_co_i32 s1, s19, s30
	s_cmp_ge_u32 ttmp9, s3
	v_lshlrev_b64_e32 v[8:9], 4, v[1:2]
	s_cselect_b32 s1, s1, 16
	s_ashr_i32 s31, s30, 31
	s_cmp_lg_u32 s17, 0x84
	v_cmp_gt_i32_e32 vcc_lo, s1, v0
	s_cselect_b32 s27, -1, 0
	s_cmp_gt_i32 s18, 0
	v_cmp_gt_i32_e64 s1, s25, v0
	s_cselect_b32 s3, -1, 0
	s_cmp_lg_u32 s16, 0x6f
	s_mul_u64 s[18:19], s[34:35], s[30:31]
	s_cselect_b32 s28, -1, 0
	s_lshl_b64 s[16:17], s[30:31], 4
	s_lshl_b64 s[30:31], s[10:11], 4
	v_or_b32_e32 v0, s16, v12
	s_lshl_b64 s[10:11], s[14:15], 4
	s_and_b32 s29, vcc_lo, s3
	s_lshl_b64 s[14:15], s[22:23], 4
	s_delay_alu instid0(VALU_DEP_1) | instskip(SKIP_2) | instid1(VALU_DEP_1)
	v_mul_lo_u32 v6, v0, s35
	v_mad_co_u64_u32 v[3:4], null, v0, s34, s[10:11]
	v_add_co_u32 v0, s3, s30, v12
	v_add_co_ci_u32_e64 v15, null, s31, 0, s3
	s_mul_i32 s3, s17, s34
	v_or_b32_e32 v16, 8, v0
	s_wait_alu 0xfffe
	v_add3_u32 v17, s3, v4, v6
	v_or_b32_e32 v18, 8, v3
	s_lshl_b32 s3, s25, 4
	s_or_b32 s30, 0, 8
	s_wait_alu 0xfffe
	s_add_co_i32 s22, s3, -16
	s_lshl_b64 s[16:17], s[18:19], 4
	s_branch .LBB216_3
.LBB216_2:                              ;   in Loop: Header=BB216_3 Depth=1
	s_wait_alu 0xfffe
	s_or_b32 exec_lo, exec_lo, s3
	s_add_co_i32 s2, s2, 0x10000
	s_wait_alu 0xfffe
	s_cmp_lt_u32 s2, s24
	s_cbranch_scc0 .LBB216_62
.LBB216_3:                              ; =>This Loop Header: Depth=1
                                        ;     Child Loop BB216_5 Depth 2
                                        ;     Child Loop BB216_16 Depth 2
	;; [unrolled: 1-line block ×3, first 2 shown]
                                        ;       Child Loop BB216_23 Depth 3
                                        ;         Child Loop BB216_24 Depth 4
                                        ;         Child Loop BB216_26 Depth 4
                                        ;           Child Loop BB216_27 Depth 5
                                        ;         Child Loop BB216_31 Depth 4
                                        ;           Child Loop BB216_33 Depth 5
                                        ;     Child Loop BB216_41 Depth 2
                                        ;       Child Loop BB216_44 Depth 3
                                        ;         Child Loop BB216_45 Depth 4
                                        ;         Child Loop BB216_48 Depth 4
                                        ;           Child Loop BB216_49 Depth 5
                                        ;         Child Loop BB216_53 Depth 4
                                        ;           Child Loop BB216_55 Depth 5
                                        ;     Child Loop BB216_61 Depth 2
	s_mov_b32 s3, s21
	s_wait_alu 0xfffe
	s_lshl_b64 s[18:19], s[2:3], 3
	s_delay_alu instid0(SALU_CYCLE_1)
	s_add_nc_u64 s[34:35], s[12:13], s[18:19]
	global_load_b64 v[10:11], v13, s[34:35]
	s_and_saveexec_b32 s3, s1
	s_cbranch_execz .LBB216_14
; %bb.4:                                ;   in Loop: Header=BB216_3 Depth=1
	s_add_nc_u64 s[18:19], s[8:9], s[18:19]
	v_mov_b32_e32 v2, v12
	global_load_b64 v[0:1], v13, s[18:19]
	s_mov_b32 s18, s25
	s_wait_loadcnt 0x0
	v_add_co_u32 v0, vcc_lo, v0, v16
	s_wait_alu 0xfffd
	v_add_co_ci_u32_e64 v1, null, v1, v15, vcc_lo
.LBB216_5:                              ;   Parent Loop BB216_3 Depth=1
                                        ; =>  This Inner Loop Header: Depth=2
	flat_load_b128 v[3:6], v[0:1] offset:-8
	v_add_co_u32 v0, vcc_lo, v0, s14
	s_wait_alu 0xfffd
	v_add_co_ci_u32_e64 v1, null, s15, v1, vcc_lo
	s_add_co_i32 s18, s18, -1
	s_delay_alu instid0(SALU_CYCLE_1) | instskip(SKIP_2) | instid1(VALU_DEP_1)
	s_cmp_eq_u32 s18, 0
	s_wait_loadcnt_dscnt 0x0
	v_xor_b32_e32 v7, 0x80000000, v6
	v_cndmask_b32_e64 v6, v6, v7, s0
	ds_store_b128 v2, v[3:6]
	v_add_nc_u32_e32 v2, 0x100, v2
	s_cbranch_scc0 .LBB216_5
; %bb.6:                                ;   in Loop: Header=BB216_3 Depth=1
	s_and_b32 vcc_lo, exec_lo, s27
	s_wait_alu 0xfffe
	s_cbranch_vccz .LBB216_12
; %bb.7:                                ;   in Loop: Header=BB216_3 Depth=1
	ds_load_b128 v[0:3], v19
                                        ; implicit-def: $vgpr6_vgpr7
	s_wait_dscnt 0x0
	v_cmp_ngt_f64_e64 s18, |v[0:1]|, |v[2:3]|
	s_and_saveexec_b32 s19, s18
	s_delay_alu instid0(SALU_CYCLE_1)
	s_xor_b32 s18, exec_lo, s19
	s_cbranch_execz .LBB216_9
; %bb.8:                                ;   in Loop: Header=BB216_3 Depth=1
	v_div_scale_f64 v[4:5], null, v[2:3], v[2:3], v[0:1]
	v_div_scale_f64 v[22:23], vcc_lo, v[0:1], v[2:3], v[0:1]
	s_delay_alu instid0(VALU_DEP_2) | instskip(NEXT) | instid1(TRANS32_DEP_1)
	v_rcp_f64_e32 v[6:7], v[4:5]
	v_fma_f64 v[20:21], -v[4:5], v[6:7], 1.0
	s_delay_alu instid0(VALU_DEP_1) | instskip(NEXT) | instid1(VALU_DEP_1)
	v_fma_f64 v[6:7], v[6:7], v[20:21], v[6:7]
	v_fma_f64 v[20:21], -v[4:5], v[6:7], 1.0
	s_delay_alu instid0(VALU_DEP_1) | instskip(NEXT) | instid1(VALU_DEP_1)
	v_fma_f64 v[6:7], v[6:7], v[20:21], v[6:7]
	v_mul_f64_e32 v[20:21], v[22:23], v[6:7]
	s_delay_alu instid0(VALU_DEP_1) | instskip(SKIP_1) | instid1(VALU_DEP_1)
	v_fma_f64 v[4:5], -v[4:5], v[20:21], v[22:23]
	s_wait_alu 0xfffd
	v_div_fmas_f64 v[4:5], v[4:5], v[6:7], v[20:21]
	s_delay_alu instid0(VALU_DEP_1) | instskip(NEXT) | instid1(VALU_DEP_1)
	v_div_fixup_f64 v[4:5], v[4:5], v[2:3], v[0:1]
	v_fma_f64 v[0:1], v[0:1], v[4:5], v[2:3]
	s_delay_alu instid0(VALU_DEP_1) | instskip(SKIP_1) | instid1(VALU_DEP_2)
	v_div_scale_f64 v[2:3], null, v[0:1], v[0:1], 1.0
	v_div_scale_f64 v[22:23], vcc_lo, 1.0, v[0:1], 1.0
	v_rcp_f64_e32 v[6:7], v[2:3]
	s_delay_alu instid0(TRANS32_DEP_1) | instskip(NEXT) | instid1(VALU_DEP_1)
	v_fma_f64 v[20:21], -v[2:3], v[6:7], 1.0
	v_fma_f64 v[6:7], v[6:7], v[20:21], v[6:7]
	s_delay_alu instid0(VALU_DEP_1) | instskip(NEXT) | instid1(VALU_DEP_1)
	v_fma_f64 v[20:21], -v[2:3], v[6:7], 1.0
	v_fma_f64 v[6:7], v[6:7], v[20:21], v[6:7]
	s_delay_alu instid0(VALU_DEP_1) | instskip(NEXT) | instid1(VALU_DEP_1)
	v_mul_f64_e32 v[20:21], v[22:23], v[6:7]
	v_fma_f64 v[2:3], -v[2:3], v[20:21], v[22:23]
	s_wait_alu 0xfffd
	s_delay_alu instid0(VALU_DEP_1) | instskip(SKIP_1) | instid1(VALU_DEP_2)
	v_div_fmas_f64 v[2:3], v[2:3], v[6:7], v[20:21]
	v_add_f64_e32 v[6:7], 0, v[4:5]
	v_div_fixup_f64 v[0:1], v[2:3], v[0:1], 1.0
	v_fma_f64 v[2:3], v[4:5], 0, -1.0
	s_delay_alu instid0(VALU_DEP_2) | instskip(NEXT) | instid1(VALU_DEP_2)
	v_mul_f64_e32 v[4:5], v[6:7], v[0:1]
	v_mul_f64_e32 v[6:7], v[2:3], v[0:1]
                                        ; implicit-def: $vgpr0_vgpr1
.LBB216_9:                              ;   in Loop: Header=BB216_3 Depth=1
	s_and_not1_saveexec_b32 s18, s18
	s_cbranch_execz .LBB216_11
; %bb.10:                               ;   in Loop: Header=BB216_3 Depth=1
	v_div_scale_f64 v[4:5], null, v[0:1], v[0:1], v[2:3]
	v_div_scale_f64 v[22:23], vcc_lo, v[2:3], v[0:1], v[2:3]
	s_delay_alu instid0(VALU_DEP_2) | instskip(NEXT) | instid1(TRANS32_DEP_1)
	v_rcp_f64_e32 v[6:7], v[4:5]
	v_fma_f64 v[20:21], -v[4:5], v[6:7], 1.0
	s_delay_alu instid0(VALU_DEP_1) | instskip(NEXT) | instid1(VALU_DEP_1)
	v_fma_f64 v[6:7], v[6:7], v[20:21], v[6:7]
	v_fma_f64 v[20:21], -v[4:5], v[6:7], 1.0
	s_delay_alu instid0(VALU_DEP_1) | instskip(NEXT) | instid1(VALU_DEP_1)
	v_fma_f64 v[6:7], v[6:7], v[20:21], v[6:7]
	v_mul_f64_e32 v[20:21], v[22:23], v[6:7]
	s_delay_alu instid0(VALU_DEP_1) | instskip(SKIP_1) | instid1(VALU_DEP_1)
	v_fma_f64 v[4:5], -v[4:5], v[20:21], v[22:23]
	s_wait_alu 0xfffd
	v_div_fmas_f64 v[4:5], v[4:5], v[6:7], v[20:21]
	s_delay_alu instid0(VALU_DEP_1) | instskip(NEXT) | instid1(VALU_DEP_1)
	v_div_fixup_f64 v[4:5], v[4:5], v[0:1], v[2:3]
	v_fma_f64 v[0:1], v[2:3], v[4:5], v[0:1]
	s_delay_alu instid0(VALU_DEP_1) | instskip(SKIP_1) | instid1(VALU_DEP_2)
	v_div_scale_f64 v[2:3], null, v[0:1], v[0:1], 1.0
	v_div_scale_f64 v[22:23], vcc_lo, 1.0, v[0:1], 1.0
	v_rcp_f64_e32 v[6:7], v[2:3]
	s_delay_alu instid0(TRANS32_DEP_1) | instskip(NEXT) | instid1(VALU_DEP_1)
	v_fma_f64 v[20:21], -v[2:3], v[6:7], 1.0
	v_fma_f64 v[6:7], v[6:7], v[20:21], v[6:7]
	s_delay_alu instid0(VALU_DEP_1) | instskip(NEXT) | instid1(VALU_DEP_1)
	v_fma_f64 v[20:21], -v[2:3], v[6:7], 1.0
	v_fma_f64 v[6:7], v[6:7], v[20:21], v[6:7]
	s_delay_alu instid0(VALU_DEP_1) | instskip(NEXT) | instid1(VALU_DEP_1)
	v_mul_f64_e32 v[20:21], v[22:23], v[6:7]
	v_fma_f64 v[2:3], -v[2:3], v[20:21], v[22:23]
	s_wait_alu 0xfffd
	s_delay_alu instid0(VALU_DEP_1) | instskip(SKIP_1) | instid1(VALU_DEP_2)
	v_div_fmas_f64 v[2:3], v[2:3], v[6:7], v[20:21]
	v_fma_f64 v[6:7], v[4:5], 0, 1.0
	v_div_fixup_f64 v[0:1], v[2:3], v[0:1], 1.0
	v_add_f64_e64 v[2:3], -v[4:5], 0
	s_delay_alu instid0(VALU_DEP_2) | instskip(NEXT) | instid1(VALU_DEP_2)
	v_mul_f64_e32 v[4:5], v[6:7], v[0:1]
	v_mul_f64_e32 v[6:7], v[2:3], v[0:1]
.LBB216_11:                             ;   in Loop: Header=BB216_3 Depth=1
	s_or_b32 exec_lo, exec_lo, s18
	s_branch .LBB216_13
.LBB216_12:                             ;   in Loop: Header=BB216_3 Depth=1
	v_mov_b32_e32 v6, 0
	v_dual_mov_b32 v7, 0 :: v_dual_mov_b32 v4, 0
	v_mov_b32_e32 v5, 0x3ff00000
.LBB216_13:                             ;   in Loop: Header=BB216_3 Depth=1
	ds_store_b128 v19, v[4:7]
.LBB216_14:                             ;   in Loop: Header=BB216_3 Depth=1
	s_wait_alu 0xfffe
	s_or_b32 exec_lo, exec_lo, s3
	s_and_saveexec_b32 s3, s29
	s_cbranch_execz .LBB216_17
; %bb.15:                               ;   in Loop: Header=BB216_3 Depth=1
	s_wait_loadcnt 0x0
	v_add_co_u32 v0, vcc_lo, v10, v18
	s_wait_alu 0xfffd
	v_add_co_ci_u32_e64 v1, null, v11, v17, vcc_lo
	v_mov_b32_e32 v2, v14
	s_mov_b32 s18, s25
.LBB216_16:                             ;   Parent Loop BB216_3 Depth=1
                                        ; =>  This Inner Loop Header: Depth=2
	flat_load_b128 v[3:6], v[0:1] offset:-8
	v_add_co_u32 v0, vcc_lo, v0, 16
	s_wait_alu 0xfffd
	v_add_co_ci_u32_e64 v1, null, 0, v1, vcc_lo
	s_add_co_i32 s18, s18, -1
	s_delay_alu instid0(SALU_CYCLE_1) | instskip(SKIP_3) | instid1(VALU_DEP_2)
	s_cmp_lg_u32 s18, 0
	s_wait_loadcnt_dscnt 0x0
	v_mul_f64_e32 v[20:21], s[6:7], v[5:6]
	v_mul_f64_e32 v[5:6], s[4:5], v[5:6]
	v_fma_f64 v[20:21], s[4:5], v[3:4], -v[20:21]
	s_delay_alu instid0(VALU_DEP_2)
	v_fma_f64 v[22:23], s[6:7], v[3:4], v[5:6]
	ds_store_b128 v2, v[20:23]
	v_add_nc_u32_e32 v2, 0x100, v2
	s_cbranch_scc1 .LBB216_16
.LBB216_17:                             ;   in Loop: Header=BB216_3 Depth=1
	s_wait_alu 0xfffe
	s_or_b32 exec_lo, exec_lo, s3
	s_delay_alu instid0(SALU_CYCLE_1)
	s_and_not1_b32 vcc_lo, exec_lo, s28
	s_mov_b32 s3, -1
	; wave barrier
	s_wait_loadcnt_dscnt 0x0
	global_inv scope:SCOPE_SE
	s_wait_alu 0xfffe
	s_cbranch_vccnz .LBB216_38
; %bb.18:                               ;   in Loop: Header=BB216_3 Depth=1
	s_mov_b32 s20, 0
	s_mov_b32 s3, s26
	s_branch .LBB216_20
.LBB216_19:                             ;   in Loop: Header=BB216_20 Depth=2
	s_cmp_gt_i32 s3, -1
	s_cselect_b32 s18, -1, 0
	s_add_co_i32 s19, s20, 1
	s_cmp_lt_u32 s20, 2
	s_cselect_b32 s20, -1, 0
	s_delay_alu instid0(SALU_CYCLE_1)
	s_and_b32 s18, s18, s20
	s_mov_b32 s20, s19
	s_and_b32 vcc_lo, exec_lo, s18
	s_wait_alu 0xfffe
	s_cbranch_vccz .LBB216_37
.LBB216_20:                             ;   Parent Loop BB216_3 Depth=1
                                        ; =>  This Loop Header: Depth=2
                                        ;       Child Loop BB216_23 Depth 3
                                        ;         Child Loop BB216_24 Depth 4
                                        ;         Child Loop BB216_26 Depth 4
                                        ;           Child Loop BB216_27 Depth 5
                                        ;         Child Loop BB216_31 Depth 4
                                        ;           Child Loop BB216_33 Depth 5
	s_getpc_b64 s[18:19]
	s_sext_i32_i16 s19, s19
	s_add_co_u32 s18, s18, __const._ZL38rocblas_trsm_small_left_device_sharedBILi16ELi16ELb1E19rocblas_complex_numIdES1_PKPKS1_PKPS1_Ev13rocblas_fill_18rocblas_operation_17rocblas_diagonal_iiT3_T4_lilT5_lili.step_sizes@rel32@lo+8
	s_add_co_ci_u32 s19, s19, __const._ZL38rocblas_trsm_small_left_device_sharedBILi16ELi16ELb1E19rocblas_complex_numIdES1_PKPKS1_PKPS1_Ev13rocblas_fill_18rocblas_operation_17rocblas_diagonal_iiT3_T4_lilT5_lili.step_sizes@rel32@hi+16
	s_lshl_b64 s[34:35], s[20:21], 2
	s_wait_alu 0xfffe
	s_add_nc_u64 s[18:19], s[18:19], s[34:35]
	s_load_b32 s18, s[18:19], 0x0
	s_wait_kmcnt 0x0
	s_add_co_i32 s19, s18, -1
	s_delay_alu instid0(SALU_CYCLE_1)
	s_cmp_lt_i32 s3, s19
	s_cbranch_scc1 .LBB216_19
; %bb.21:                               ;   in Loop: Header=BB216_20 Depth=2
	s_lshl_b32 s33, s3, 8
	s_lshl_b32 s31, s18, 8
	s_wait_alu 0xfffe
	v_add_nc_u32_e32 v4, s33, v14
	s_max_i32 s23, s18, 1
	s_sub_co_i32 s31, 0, s31
	s_add_co_i32 s33, s22, s33
	s_mul_i32 s34, s3, 0x110
	s_mul_i32 s35, s18, 0xfffffef0
	s_branch .LBB216_23
.LBB216_22:                             ;   in Loop: Header=BB216_23 Depth=3
	v_add_nc_u32_e32 v4, s31, v4
	s_sub_co_i32 s3, s3, s18
	s_add_co_i32 s33, s33, s31
	s_add_co_i32 s34, s34, s35
	s_wait_alu 0xfffe
	s_cmp_lt_i32 s3, s19
	s_cbranch_scc1 .LBB216_19
.LBB216_23:                             ;   Parent Loop BB216_3 Depth=1
                                        ;     Parent Loop BB216_20 Depth=2
                                        ; =>    This Loop Header: Depth=3
                                        ;         Child Loop BB216_24 Depth 4
                                        ;         Child Loop BB216_26 Depth 4
                                        ;           Child Loop BB216_27 Depth 5
                                        ;         Child Loop BB216_31 Depth 4
                                        ;           Child Loop BB216_33 Depth 5
	v_mov_b32_e32 v0, v4
	s_mov_b32 s36, 0
	s_mov_b32 s37, s23
.LBB216_24:                             ;   Parent Loop BB216_3 Depth=1
                                        ;     Parent Loop BB216_20 Depth=2
                                        ;       Parent Loop BB216_23 Depth=3
                                        ; =>      This Inner Loop Header: Depth=4
	ds_load_b128 v[20:23], v0
	v_add_nc_u32_e32 v0, 0xffffff00, v0
	s_wait_alu 0xfffe
	s_add_co_i32 s37, s37, -1
	s_wait_dscnt 0x0
	scratch_store_b128 off, v[20:23], s36
	s_add_co_i32 s36, s36, 16
	s_wait_alu 0xfffe
	s_cmp_eq_u32 s37, 0
	s_cbranch_scc0 .LBB216_24
; %bb.25:                               ;   in Loop: Header=BB216_23 Depth=3
	s_cmp_le_i32 s26, s3
	s_mov_b32 s36, s33
	s_mov_b32 s37, s26
	s_cbranch_scc1 .LBB216_29
.LBB216_26:                             ;   Parent Loop BB216_3 Depth=1
                                        ;     Parent Loop BB216_20 Depth=2
                                        ;       Parent Loop BB216_23 Depth=3
                                        ; =>      This Loop Header: Depth=4
                                        ;           Child Loop BB216_27 Depth 5
	s_wait_alu 0xfffe
	v_lshl_add_u32 v0, s37, 8, v14
	s_mov_b32 s38, s30
	s_mov_b32 s39, s36
	;; [unrolled: 1-line block ×3, first 2 shown]
	ds_load_b128 v[0:3], v0
.LBB216_27:                             ;   Parent Loop BB216_3 Depth=1
                                        ;     Parent Loop BB216_20 Depth=2
                                        ;       Parent Loop BB216_23 Depth=3
                                        ;         Parent Loop BB216_26 Depth=4
                                        ; =>        This Inner Loop Header: Depth=5
	scratch_load_b128 v[20:23], off, s38 offset:-8
	s_wait_alu 0xfffe
	v_mov_b32_e32 v5, s39
	s_add_co_i32 s40, s40, -1
	s_addk_co_i32 s39, 0xff00
	ds_load_b128 v[24:27], v5
	s_wait_dscnt 0x0
	v_mul_f64_e32 v[5:6], v[2:3], v[26:27]
	v_mul_f64_e32 v[26:27], v[0:1], v[26:27]
	s_delay_alu instid0(VALU_DEP_2) | instskip(NEXT) | instid1(VALU_DEP_2)
	v_fma_f64 v[5:6], v[0:1], v[24:25], -v[5:6]
	v_fma_f64 v[24:25], v[2:3], v[24:25], v[26:27]
	s_wait_loadcnt 0x0
	s_delay_alu instid0(VALU_DEP_2) | instskip(NEXT) | instid1(VALU_DEP_2)
	v_add_f64_e64 v[20:21], v[20:21], -v[5:6]
	v_add_f64_e64 v[22:23], v[22:23], -v[24:25]
	scratch_store_b128 off, v[20:23], s38 offset:-8
	s_add_co_i32 s38, s38, 16
	s_wait_alu 0xfffe
	s_cmp_eq_u32 s40, 0
	s_cbranch_scc0 .LBB216_27
; %bb.28:                               ;   in Loop: Header=BB216_26 Depth=4
	s_add_co_i32 s37, s37, -1
	s_add_co_i32 s36, s36, -16
	s_wait_alu 0xfffe
	s_cmp_le_i32 s37, s3
	s_cbranch_scc0 .LBB216_26
.LBB216_29:                             ;   in Loop: Header=BB216_23 Depth=3
	s_lshl_b32 s36, s3, 8
	s_mov_b32 s37, 0
	s_mov_b32 s38, s34
	s_branch .LBB216_31
.LBB216_30:                             ;   in Loop: Header=BB216_31 Depth=4
	s_wait_alu 0xfffe
	s_mulk_i32 s40, 0x110
	s_addk_co_i32 s38, 0xff00
	s_wait_alu 0xfffe
	v_mov_b32_e32 v5, s40
	s_lshl_b32 s40, s37, 4
	s_add_co_i32 s37, s37, 1
	s_wait_alu 0xfffe
	s_cmp_eq_u32 s37, s23
	ds_load_b128 v[20:23], v5
	s_wait_loadcnt_dscnt 0x0
	v_mul_f64_e32 v[5:6], v[22:23], v[2:3]
	v_mul_f64_e32 v[2:3], v[20:21], v[2:3]
	s_delay_alu instid0(VALU_DEP_2) | instskip(NEXT) | instid1(VALU_DEP_2)
	v_fma_f64 v[20:21], v[20:21], v[0:1], -v[5:6]
	v_fma_f64 v[22:23], v[22:23], v[0:1], v[2:3]
	v_add_nc_u32_e32 v0, s39, v14
	scratch_store_b128 off, v[20:23], s40
	ds_store_b128 v0, v[20:23]
	s_cbranch_scc1 .LBB216_22
.LBB216_31:                             ;   Parent Loop BB216_3 Depth=1
                                        ;     Parent Loop BB216_20 Depth=2
                                        ;       Parent Loop BB216_23 Depth=3
                                        ; =>      This Loop Header: Depth=4
                                        ;           Child Loop BB216_33 Depth 5
	s_wait_alu 0xfffe
	s_cmp_lg_u32 s37, 0
	s_cbranch_scc0 .LBB216_35
; %bb.32:                               ;   in Loop: Header=BB216_31 Depth=4
	s_lshl_b32 s41, s37, 4
	s_sub_co_i32 s40, s3, s37
	scratch_load_b128 v[0:3], off, s41
	s_wait_alu 0xfffe
	s_lshl_b32 s39, s40, 8
	s_mov_b32 s42, s30
	s_mov_b32 s43, s38
	;; [unrolled: 1-line block ×3, first 2 shown]
.LBB216_33:                             ;   Parent Loop BB216_3 Depth=1
                                        ;     Parent Loop BB216_20 Depth=2
                                        ;       Parent Loop BB216_23 Depth=3
                                        ;         Parent Loop BB216_31 Depth=4
                                        ; =>        This Inner Loop Header: Depth=5
	scratch_load_b128 v[20:23], off, s42 offset:-8
	s_wait_alu 0xfffe
	v_mov_b32_e32 v5, s43
	s_add_co_i32 s44, s44, -1
	s_add_co_i32 s43, s43, -16
	s_add_co_i32 s42, s42, 16
	s_cmp_eq_u32 s44, 0
	ds_load_b128 v[24:27], v5
	s_wait_loadcnt_dscnt 0x0
	v_mul_f64_e32 v[5:6], v[26:27], v[22:23]
	v_mul_f64_e32 v[22:23], v[24:25], v[22:23]
	s_delay_alu instid0(VALU_DEP_2) | instskip(NEXT) | instid1(VALU_DEP_2)
	v_fma_f64 v[5:6], v[24:25], v[20:21], -v[5:6]
	v_fma_f64 v[20:21], v[26:27], v[20:21], v[22:23]
	s_delay_alu instid0(VALU_DEP_2) | instskip(NEXT) | instid1(VALU_DEP_2)
	v_add_f64_e64 v[0:1], v[0:1], -v[5:6]
	v_add_f64_e64 v[2:3], v[2:3], -v[20:21]
	scratch_store_b128 off, v[0:3], s41
	s_cbranch_scc0 .LBB216_33
; %bb.34:                               ;   in Loop: Header=BB216_31 Depth=4
	s_branch .LBB216_30
.LBB216_35:                             ;   in Loop: Header=BB216_31 Depth=4
                                        ; implicit-def: $vgpr0_vgpr1
                                        ; implicit-def: $sgpr40
                                        ; implicit-def: $sgpr39
	s_cbranch_execz .LBB216_30
; %bb.36:                               ;   in Loop: Header=BB216_31 Depth=4
	scratch_load_b128 v[0:3], off, off
	s_mov_b32 s39, s36
	s_mov_b32 s40, s3
	s_branch .LBB216_30
.LBB216_37:                             ;   in Loop: Header=BB216_3 Depth=1
	s_mov_b32 s3, 0
.LBB216_38:                             ;   in Loop: Header=BB216_3 Depth=1
	s_wait_alu 0xfffe
	s_and_b32 vcc_lo, exec_lo, s3
	s_wait_alu 0xfffe
	s_cbranch_vccz .LBB216_59
; %bb.39:                               ;   in Loop: Header=BB216_3 Depth=1
	s_mov_b32 s20, 0
	s_delay_alu instid0(SALU_CYCLE_1)
	s_mov_b32 s3, s20
	s_branch .LBB216_41
.LBB216_40:                             ;   in Loop: Header=BB216_41 Depth=2
	s_cmp_lt_i32 s3, s25
	s_cselect_b32 s18, -1, 0
	s_add_co_i32 s19, s20, 1
	s_cmp_lt_u32 s20, 2
	s_cselect_b32 s20, -1, 0
	s_delay_alu instid0(SALU_CYCLE_1)
	s_and_b32 s18, s18, s20
	s_mov_b32 s20, s19
	s_and_not1_b32 vcc_lo, exec_lo, s18
	s_wait_alu 0xfffe
	s_cbranch_vccnz .LBB216_59
.LBB216_41:                             ;   Parent Loop BB216_3 Depth=1
                                        ; =>  This Loop Header: Depth=2
                                        ;       Child Loop BB216_44 Depth 3
                                        ;         Child Loop BB216_45 Depth 4
                                        ;         Child Loop BB216_48 Depth 4
                                        ;           Child Loop BB216_49 Depth 5
                                        ;         Child Loop BB216_53 Depth 4
                                        ;           Child Loop BB216_55 Depth 5
	s_getpc_b64 s[18:19]
	s_sext_i32_i16 s19, s19
	s_add_co_u32 s18, s18, __const._ZL38rocblas_trsm_small_left_device_sharedBILi16ELi16ELb1E19rocblas_complex_numIdES1_PKPKS1_PKPS1_Ev13rocblas_fill_18rocblas_operation_17rocblas_diagonal_iiT3_T4_lilT5_lili.step_sizes@rel32@lo+8
	s_add_co_ci_u32 s19, s19, __const._ZL38rocblas_trsm_small_left_device_sharedBILi16ELi16ELb1E19rocblas_complex_numIdES1_PKPKS1_PKPS1_Ev13rocblas_fill_18rocblas_operation_17rocblas_diagonal_iiT3_T4_lilT5_lili.step_sizes@rel32@hi+16
	s_lshl_b64 s[34:35], s[20:21], 2
	s_wait_alu 0xfffe
	s_add_nc_u64 s[18:19], s[18:19], s[34:35]
	s_load_b32 s18, s[18:19], 0x0
	s_wait_kmcnt 0x0
	s_add_co_i32 s19, s18, -1
	s_delay_alu instid0(SALU_CYCLE_1) | instskip(NEXT) | instid1(SALU_CYCLE_1)
	s_add_co_i32 s23, s19, s3
	s_cmp_ge_i32 s23, s25
	s_cbranch_scc1 .LBB216_40
; %bb.42:                               ;   in Loop: Header=BB216_41 Depth=2
	v_lshl_add_u32 v4, s3, 8, v14
	s_max_i32 s23, s18, 1
	s_lshl_b32 s31, s18, 8
	s_lshl_b32 s33, s3, 4
	;; [unrolled: 1-line block ×3, first 2 shown]
	s_mul_i32 s35, s3, 0x110
	s_mul_i32 s36, s18, 0x110
	s_branch .LBB216_44
.LBB216_43:                             ;   in Loop: Header=BB216_44 Depth=3
	s_add_co_i32 s3, s3, s18
	v_add_nc_u32_e32 v4, s31, v4
	s_wait_alu 0xfffe
	s_add_co_i32 s37, s19, s3
	s_add_co_i32 s33, s33, s34
	;; [unrolled: 1-line block ×3, first 2 shown]
	s_wait_alu 0xfffe
	s_cmp_ge_i32 s37, s25
	s_cbranch_scc1 .LBB216_40
.LBB216_44:                             ;   Parent Loop BB216_3 Depth=1
                                        ;     Parent Loop BB216_41 Depth=2
                                        ; =>    This Loop Header: Depth=3
                                        ;         Child Loop BB216_45 Depth 4
                                        ;         Child Loop BB216_48 Depth 4
                                        ;           Child Loop BB216_49 Depth 5
                                        ;         Child Loop BB216_53 Depth 4
                                        ;           Child Loop BB216_55 Depth 5
	v_mov_b32_e32 v0, v4
	s_mov_b32 s37, 0
	s_mov_b32 s38, s23
.LBB216_45:                             ;   Parent Loop BB216_3 Depth=1
                                        ;     Parent Loop BB216_41 Depth=2
                                        ;       Parent Loop BB216_44 Depth=3
                                        ; =>      This Inner Loop Header: Depth=4
	ds_load_b128 v[20:23], v0
	v_add_nc_u32_e32 v0, 0x100, v0
	s_wait_alu 0xfffe
	s_add_co_i32 s38, s38, -1
	s_wait_dscnt 0x0
	scratch_store_b128 off, v[20:23], s37
	s_add_co_i32 s37, s37, 16
	s_wait_alu 0xfffe
	s_cmp_eq_u32 s38, 0
	s_cbranch_scc0 .LBB216_45
; %bb.46:                               ;   in Loop: Header=BB216_44 Depth=3
	s_cmp_lt_i32 s3, 1
	s_cbranch_scc1 .LBB216_51
; %bb.47:                               ;   in Loop: Header=BB216_44 Depth=3
	s_mov_b32 s37, 0
	s_mov_b32 s38, s33
.LBB216_48:                             ;   Parent Loop BB216_3 Depth=1
                                        ;     Parent Loop BB216_41 Depth=2
                                        ;       Parent Loop BB216_44 Depth=3
                                        ; =>      This Loop Header: Depth=4
                                        ;           Child Loop BB216_49 Depth 5
	s_wait_alu 0xfffe
	v_lshl_add_u32 v0, s37, 8, v14
	s_mov_b32 s39, s30
	s_mov_b32 s40, s38
	;; [unrolled: 1-line block ×3, first 2 shown]
	ds_load_b128 v[0:3], v0
.LBB216_49:                             ;   Parent Loop BB216_3 Depth=1
                                        ;     Parent Loop BB216_41 Depth=2
                                        ;       Parent Loop BB216_44 Depth=3
                                        ;         Parent Loop BB216_48 Depth=4
                                        ; =>        This Inner Loop Header: Depth=5
	scratch_load_b128 v[20:23], off, s39 offset:-8
	s_wait_alu 0xfffe
	v_mov_b32_e32 v5, s40
	s_add_co_i32 s41, s41, -1
	s_add_co_i32 s40, s40, 16
	ds_load_b128 v[24:27], v5
	s_wait_dscnt 0x0
	v_mul_f64_e32 v[5:6], v[2:3], v[26:27]
	v_mul_f64_e32 v[26:27], v[0:1], v[26:27]
	s_delay_alu instid0(VALU_DEP_2) | instskip(NEXT) | instid1(VALU_DEP_2)
	v_fma_f64 v[5:6], v[0:1], v[24:25], -v[5:6]
	v_fma_f64 v[24:25], v[2:3], v[24:25], v[26:27]
	s_wait_loadcnt 0x0
	s_delay_alu instid0(VALU_DEP_2) | instskip(NEXT) | instid1(VALU_DEP_2)
	v_add_f64_e64 v[20:21], v[20:21], -v[5:6]
	v_add_f64_e64 v[22:23], v[22:23], -v[24:25]
	scratch_store_b128 off, v[20:23], s39 offset:-8
	s_add_co_i32 s39, s39, 16
	s_wait_alu 0xfffe
	s_cmp_eq_u32 s41, 0
	s_cbranch_scc0 .LBB216_49
; %bb.50:                               ;   in Loop: Header=BB216_48 Depth=4
	s_add_co_i32 s37, s37, 1
	s_addk_co_i32 s38, 0x100
	s_wait_alu 0xfffe
	s_cmp_eq_u32 s37, s3
	s_cbranch_scc0 .LBB216_48
.LBB216_51:                             ;   in Loop: Header=BB216_44 Depth=3
	s_mov_b32 s37, 0
	s_mov_b32 s38, s35
	s_branch .LBB216_53
.LBB216_52:                             ;   in Loop: Header=BB216_53 Depth=4
	s_add_co_i32 s39, s37, s3
	s_add_co_i32 s38, s38, 16
	s_wait_alu 0xfffe
	s_mul_i32 s40, s39, 0x110
	s_wait_alu 0xfffe
	v_mov_b32_e32 v5, s40
	s_lshl_b32 s40, s37, 4
	s_add_co_i32 s37, s37, 1
	s_wait_alu 0xfffe
	s_cmp_eq_u32 s37, s23
	ds_load_b128 v[20:23], v5
	s_wait_loadcnt_dscnt 0x0
	v_mul_f64_e32 v[5:6], v[22:23], v[2:3]
	v_mul_f64_e32 v[2:3], v[20:21], v[2:3]
	s_delay_alu instid0(VALU_DEP_2) | instskip(NEXT) | instid1(VALU_DEP_2)
	v_fma_f64 v[20:21], v[20:21], v[0:1], -v[5:6]
	v_fma_f64 v[22:23], v[22:23], v[0:1], v[2:3]
	v_lshl_add_u32 v0, s39, 8, v14
	scratch_store_b128 off, v[20:23], s40
	ds_store_b128 v0, v[20:23]
	s_cbranch_scc1 .LBB216_43
.LBB216_53:                             ;   Parent Loop BB216_3 Depth=1
                                        ;     Parent Loop BB216_41 Depth=2
                                        ;       Parent Loop BB216_44 Depth=3
                                        ; =>      This Loop Header: Depth=4
                                        ;           Child Loop BB216_55 Depth 5
	s_wait_alu 0xfffe
	s_cmp_lg_u32 s37, 0
	s_cbranch_scc0 .LBB216_57
; %bb.54:                               ;   in Loop: Header=BB216_53 Depth=4
	s_lshl_b32 s39, s37, 4
	s_mov_b32 s40, s30
	scratch_load_b128 v[0:3], off, s39
	s_mov_b32 s41, s38
	s_mov_b32 s42, s37
.LBB216_55:                             ;   Parent Loop BB216_3 Depth=1
                                        ;     Parent Loop BB216_41 Depth=2
                                        ;       Parent Loop BB216_44 Depth=3
                                        ;         Parent Loop BB216_53 Depth=4
                                        ; =>        This Inner Loop Header: Depth=5
	scratch_load_b128 v[20:23], off, s40 offset:-8
	s_wait_alu 0xfffe
	v_mov_b32_e32 v5, s41
	s_add_co_i32 s42, s42, -1
	s_addk_co_i32 s41, 0x100
	s_add_co_i32 s40, s40, 16
	s_wait_alu 0xfffe
	s_cmp_eq_u32 s42, 0
	ds_load_b128 v[24:27], v5
	s_wait_loadcnt_dscnt 0x0
	v_mul_f64_e32 v[5:6], v[26:27], v[22:23]
	v_mul_f64_e32 v[22:23], v[24:25], v[22:23]
	s_delay_alu instid0(VALU_DEP_2) | instskip(NEXT) | instid1(VALU_DEP_2)
	v_fma_f64 v[5:6], v[24:25], v[20:21], -v[5:6]
	v_fma_f64 v[20:21], v[26:27], v[20:21], v[22:23]
	s_delay_alu instid0(VALU_DEP_2) | instskip(NEXT) | instid1(VALU_DEP_2)
	v_add_f64_e64 v[0:1], v[0:1], -v[5:6]
	v_add_f64_e64 v[2:3], v[2:3], -v[20:21]
	scratch_store_b128 off, v[0:3], s39
	s_cbranch_scc0 .LBB216_55
; %bb.56:                               ;   in Loop: Header=BB216_53 Depth=4
	s_branch .LBB216_52
.LBB216_57:                             ;   in Loop: Header=BB216_53 Depth=4
                                        ; implicit-def: $vgpr0_vgpr1
	s_cbranch_execz .LBB216_52
; %bb.58:                               ;   in Loop: Header=BB216_53 Depth=4
	scratch_load_b128 v[0:3], off, off
	s_branch .LBB216_52
.LBB216_59:                             ;   in Loop: Header=BB216_3 Depth=1
	s_wait_storecnt 0x0
	; wave barrier
	s_wait_loadcnt_dscnt 0x0
	global_inv scope:SCOPE_SE
	s_and_saveexec_b32 s3, s29
	s_cbranch_execz .LBB216_2
; %bb.60:                               ;   in Loop: Header=BB216_3 Depth=1
	v_add_co_u32 v0, vcc_lo, v10, s10
	s_wait_alu 0xfffd
	v_add_co_ci_u32_e64 v1, null, s11, v11, vcc_lo
	v_mov_b32_e32 v2, v14
	s_delay_alu instid0(VALU_DEP_3) | instskip(SKIP_1) | instid1(VALU_DEP_3)
	v_add_co_u32 v0, vcc_lo, v0, s16
	s_wait_alu 0xfffd
	v_add_co_ci_u32_e64 v1, null, s17, v1, vcc_lo
	s_mov_b32 s18, s25
	v_add_co_u32 v0, vcc_lo, v0, v8
	s_wait_alu 0xfffd
	v_add_co_ci_u32_e64 v1, null, v1, v9, vcc_lo
.LBB216_61:                             ;   Parent Loop BB216_3 Depth=1
                                        ; =>  This Inner Loop Header: Depth=2
	ds_load_2addr_b64 v[3:6], v2 offset1:1
	v_add_nc_u32_e32 v2, 0x100, v2
	s_add_co_i32 s18, s18, -1
	s_delay_alu instid0(SALU_CYCLE_1)
	s_cmp_lg_u32 s18, 0
	s_wait_dscnt 0x0
	flat_store_b128 v[0:1], v[3:6]
	v_add_co_u32 v0, vcc_lo, v0, 16
	s_wait_alu 0xfffd
	v_add_co_ci_u32_e64 v1, null, 0, v1, vcc_lo
	s_cbranch_scc1 .LBB216_61
	s_branch .LBB216_2
.LBB216_62:
	s_endpgm
	.section	.rodata,"a",@progbits
	.p2align	6, 0x0
	.amdhsa_kernel _ZL38rocblas_trsm_small_left_device_sharedBILi16ELi16ELb1E19rocblas_complex_numIdES1_PKPKS1_PKPS1_Ev13rocblas_fill_18rocblas_operation_17rocblas_diagonal_iiT3_T4_lilT5_lili
		.amdhsa_group_segment_fixed_size 8192
		.amdhsa_private_segment_fixed_size 272
		.amdhsa_kernarg_size 368
		.amdhsa_user_sgpr_count 2
		.amdhsa_user_sgpr_dispatch_ptr 0
		.amdhsa_user_sgpr_queue_ptr 0
		.amdhsa_user_sgpr_kernarg_segment_ptr 1
		.amdhsa_user_sgpr_dispatch_id 0
		.amdhsa_user_sgpr_private_segment_size 0
		.amdhsa_wavefront_size32 1
		.amdhsa_uses_dynamic_stack 0
		.amdhsa_enable_private_segment 1
		.amdhsa_system_sgpr_workgroup_id_x 1
		.amdhsa_system_sgpr_workgroup_id_y 0
		.amdhsa_system_sgpr_workgroup_id_z 1
		.amdhsa_system_sgpr_workgroup_info 0
		.amdhsa_system_vgpr_workitem_id 0
		.amdhsa_next_free_vgpr 241
		.amdhsa_next_free_sgpr 45
		.amdhsa_reserve_vcc 1
		.amdhsa_float_round_mode_32 0
		.amdhsa_float_round_mode_16_64 0
		.amdhsa_float_denorm_mode_32 3
		.amdhsa_float_denorm_mode_16_64 3
		.amdhsa_fp16_overflow 0
		.amdhsa_workgroup_processor_mode 1
		.amdhsa_memory_ordered 1
		.amdhsa_forward_progress 1
		.amdhsa_inst_pref_size 24
		.amdhsa_round_robin_scheduling 0
		.amdhsa_exception_fp_ieee_invalid_op 0
		.amdhsa_exception_fp_denorm_src 0
		.amdhsa_exception_fp_ieee_div_zero 0
		.amdhsa_exception_fp_ieee_overflow 0
		.amdhsa_exception_fp_ieee_underflow 0
		.amdhsa_exception_fp_ieee_inexact 0
		.amdhsa_exception_int_div_zero 0
	.end_amdhsa_kernel
	.section	.text._ZL38rocblas_trsm_small_left_device_sharedBILi16ELi16ELb1E19rocblas_complex_numIdES1_PKPKS1_PKPS1_Ev13rocblas_fill_18rocblas_operation_17rocblas_diagonal_iiT3_T4_lilT5_lili,"axG",@progbits,_ZL38rocblas_trsm_small_left_device_sharedBILi16ELi16ELb1E19rocblas_complex_numIdES1_PKPKS1_PKPS1_Ev13rocblas_fill_18rocblas_operation_17rocblas_diagonal_iiT3_T4_lilT5_lili,comdat
.Lfunc_end216:
	.size	_ZL38rocblas_trsm_small_left_device_sharedBILi16ELi16ELb1E19rocblas_complex_numIdES1_PKPKS1_PKPS1_Ev13rocblas_fill_18rocblas_operation_17rocblas_diagonal_iiT3_T4_lilT5_lili, .Lfunc_end216-_ZL38rocblas_trsm_small_left_device_sharedBILi16ELi16ELb1E19rocblas_complex_numIdES1_PKPKS1_PKPS1_Ev13rocblas_fill_18rocblas_operation_17rocblas_diagonal_iiT3_T4_lilT5_lili
                                        ; -- End function
	.set _ZL38rocblas_trsm_small_left_device_sharedBILi16ELi16ELb1E19rocblas_complex_numIdES1_PKPKS1_PKPS1_Ev13rocblas_fill_18rocblas_operation_17rocblas_diagonal_iiT3_T4_lilT5_lili.num_vgpr, 28
	.set _ZL38rocblas_trsm_small_left_device_sharedBILi16ELi16ELb1E19rocblas_complex_numIdES1_PKPKS1_PKPS1_Ev13rocblas_fill_18rocblas_operation_17rocblas_diagonal_iiT3_T4_lilT5_lili.num_agpr, 0
	.set _ZL38rocblas_trsm_small_left_device_sharedBILi16ELi16ELb1E19rocblas_complex_numIdES1_PKPKS1_PKPS1_Ev13rocblas_fill_18rocblas_operation_17rocblas_diagonal_iiT3_T4_lilT5_lili.numbered_sgpr, 45
	.set _ZL38rocblas_trsm_small_left_device_sharedBILi16ELi16ELb1E19rocblas_complex_numIdES1_PKPKS1_PKPS1_Ev13rocblas_fill_18rocblas_operation_17rocblas_diagonal_iiT3_T4_lilT5_lili.num_named_barrier, 0
	.set _ZL38rocblas_trsm_small_left_device_sharedBILi16ELi16ELb1E19rocblas_complex_numIdES1_PKPKS1_PKPS1_Ev13rocblas_fill_18rocblas_operation_17rocblas_diagonal_iiT3_T4_lilT5_lili.private_seg_size, 272
	.set _ZL38rocblas_trsm_small_left_device_sharedBILi16ELi16ELb1E19rocblas_complex_numIdES1_PKPKS1_PKPS1_Ev13rocblas_fill_18rocblas_operation_17rocblas_diagonal_iiT3_T4_lilT5_lili.uses_vcc, 1
	.set _ZL38rocblas_trsm_small_left_device_sharedBILi16ELi16ELb1E19rocblas_complex_numIdES1_PKPKS1_PKPS1_Ev13rocblas_fill_18rocblas_operation_17rocblas_diagonal_iiT3_T4_lilT5_lili.uses_flat_scratch, 0
	.set _ZL38rocblas_trsm_small_left_device_sharedBILi16ELi16ELb1E19rocblas_complex_numIdES1_PKPKS1_PKPS1_Ev13rocblas_fill_18rocblas_operation_17rocblas_diagonal_iiT3_T4_lilT5_lili.has_dyn_sized_stack, 0
	.set _ZL38rocblas_trsm_small_left_device_sharedBILi16ELi16ELb1E19rocblas_complex_numIdES1_PKPKS1_PKPS1_Ev13rocblas_fill_18rocblas_operation_17rocblas_diagonal_iiT3_T4_lilT5_lili.has_recursion, 0
	.set _ZL38rocblas_trsm_small_left_device_sharedBILi16ELi16ELb1E19rocblas_complex_numIdES1_PKPKS1_PKPS1_Ev13rocblas_fill_18rocblas_operation_17rocblas_diagonal_iiT3_T4_lilT5_lili.has_indirect_call, 0
	.section	.AMDGPU.csdata,"",@progbits
; Kernel info:
; codeLenInByte = 3032
; TotalNumSgprs: 47
; NumVgprs: 28
; ScratchSize: 272
; MemoryBound: 0
; FloatMode: 240
; IeeeMode: 1
; LDSByteSize: 8192 bytes/workgroup (compile time only)
; SGPRBlocks: 0
; VGPRBlocks: 30
; NumSGPRsForWavesPerEU: 47
; NumVGPRsForWavesPerEU: 241
; Occupancy: 4
; WaveLimiterHint : 0
; COMPUTE_PGM_RSRC2:SCRATCH_EN: 1
; COMPUTE_PGM_RSRC2:USER_SGPR: 2
; COMPUTE_PGM_RSRC2:TRAP_HANDLER: 0
; COMPUTE_PGM_RSRC2:TGID_X_EN: 1
; COMPUTE_PGM_RSRC2:TGID_Y_EN: 0
; COMPUTE_PGM_RSRC2:TGID_Z_EN: 1
; COMPUTE_PGM_RSRC2:TIDIG_COMP_CNT: 0
	.section	.text._ZL30rocblas_trsm_small_left_deviceILi16ELi16ELb1E19rocblas_complex_numIdES1_PKPKS1_PKPS1_Ev13rocblas_fill_18rocblas_operation_17rocblas_diagonal_iiT3_T4_lilT5_lili,"axG",@progbits,_ZL30rocblas_trsm_small_left_deviceILi16ELi16ELb1E19rocblas_complex_numIdES1_PKPKS1_PKPS1_Ev13rocblas_fill_18rocblas_operation_17rocblas_diagonal_iiT3_T4_lilT5_lili,comdat
	.globl	_ZL30rocblas_trsm_small_left_deviceILi16ELi16ELb1E19rocblas_complex_numIdES1_PKPKS1_PKPS1_Ev13rocblas_fill_18rocblas_operation_17rocblas_diagonal_iiT3_T4_lilT5_lili ; -- Begin function _ZL30rocblas_trsm_small_left_deviceILi16ELi16ELb1E19rocblas_complex_numIdES1_PKPKS1_PKPS1_Ev13rocblas_fill_18rocblas_operation_17rocblas_diagonal_iiT3_T4_lilT5_lili
	.p2align	8
	.type	_ZL30rocblas_trsm_small_left_deviceILi16ELi16ELb1E19rocblas_complex_numIdES1_PKPKS1_PKPS1_Ev13rocblas_fill_18rocblas_operation_17rocblas_diagonal_iiT3_T4_lilT5_lili,@function
_ZL30rocblas_trsm_small_left_deviceILi16ELi16ELb1E19rocblas_complex_numIdES1_PKPKS1_PKPS1_Ev13rocblas_fill_18rocblas_operation_17rocblas_diagonal_iiT3_T4_lilT5_lili: ; @_ZL30rocblas_trsm_small_left_deviceILi16ELi16ELb1E19rocblas_complex_numIdES1_PKPKS1_PKPS1_Ev13rocblas_fill_18rocblas_operation_17rocblas_diagonal_iiT3_T4_lilT5_lili
; %bb.0:
	s_load_b32 s3, s[0:1], 0x68
	s_lshr_b32 s20, ttmp7, 16
	s_wait_kmcnt 0x0
	s_cmp_ge_u32 s20, s3
	s_cbranch_scc1 .LBB217_59
; %bb.1:
	s_clause 0x4
	s_load_b32 s22, s[0:1], 0x38
	s_load_b128 s[16:19], s[0:1], 0x4
	s_load_b32 s2, s[0:1], 0x70
	s_load_b128 s[12:15], s[0:1], 0x48
	s_load_b32 s21, s[0:1], 0x58
	v_dual_mov_b32 v13, 0 :: v_dual_lshlrev_b32 v12, 4, v0
	v_lshlrev_b32_e32 v1, 8, v0
	s_load_b256 s[4:11], s[0:1], 0x18
	s_mov_b32 s35, 0
                                        ; implicit-def: $sgpr36
                                        ; implicit-def: $sgpr37
	s_delay_alu instid0(VALU_DEP_1)
	v_add_nc_u32_e32 v14, v12, v1
	s_wait_kmcnt 0x0
	s_ashr_i32 s23, s22, 31
	s_cmp_eq_u32 s16, 0x71
	s_cselect_b32 s0, -1, 0
	s_lshl_b32 s1, ttmp9, 4
	s_min_i32 s28, s18, 16
	v_or_b32_e32 v1, s1, v0
	s_add_co_i32 s2, s2, -1
	s_add_co_i32 s29, s28, -1
	s_sub_co_i32 s18, s19, s1
	s_cmp_ge_u32 ttmp9, s2
	v_mad_co_i64_i32 v[1:2], null, s21, v1, 0
	s_cselect_b32 s2, s18, 16
	s_cmp_lg_u32 s17, 0x84
	v_cmp_gt_i32_e64 s1, s28, v0
	s_cselect_b32 s30, -1, 0
	s_cmp_lg_u32 s16, 0x6f
	v_cmp_gt_i32_e64 s2, s2, v0
	v_lshlrev_b64_e32 v[8:9], 4, v[1:2]
	s_cselect_b32 s31, -1, 0
	s_lshl_b64 s[16:17], s[10:11], 4
	s_lshl_b64 s[14:15], s[14:15], 4
	v_add_co_u32 v0, s16, s16, v12
	s_delay_alu instid0(VALU_DEP_2) | instskip(SKIP_2) | instid1(VALU_DEP_3)
	v_add_co_u32 v1, vcc_lo, v8, s14
	s_wait_alu 0xf1ff
	v_add_co_ci_u32_e64 v15, null, s17, 0, s16
	v_or_b32_e32 v16, 8, v0
	v_add_co_ci_u32_e64 v17, null, s15, v9, vcc_lo
	v_or_b32_e32 v18, 8, v1
	s_lshl_b32 s34, s28, 4
	s_or_b32 s33, 0, 8
	s_lshl_b64 s[10:11], s[22:23], 4
	s_add_co_i32 s34, s34, -16
	s_mov_b32 s17, 0
	s_branch .LBB217_4
.LBB217_2:                              ;   in Loop: Header=BB217_4 Depth=1
	s_add_co_i32 s20, s20, 0x10000
	s_wait_alu 0xfffe
	s_cmp_ge_u32 s20, s3
	s_cselect_b32 s16, -1, 0
	s_and_not1_b32 s37, s37, exec_lo
	s_wait_alu 0xfffe
	s_or_not1_b32 s16, s16, exec_lo
.LBB217_3:                              ;   in Loop: Header=BB217_4 Depth=1
	s_wait_alu 0xfffe
	s_or_b32 exec_lo, exec_lo, s21
	s_delay_alu instid0(SALU_CYCLE_1)
	s_and_b32 s16, exec_lo, s16
	s_wait_alu 0xfffe
	s_or_b32 s35, s16, s35
	s_and_not1_b32 s16, s36, exec_lo
	s_and_b32 s18, s37, exec_lo
	s_wait_alu 0xfffe
	s_or_b32 s36, s16, s18
	s_and_not1_b32 exec_lo, exec_lo, s35
	s_cbranch_execz .LBB217_58
.LBB217_4:                              ; =>This Loop Header: Depth=1
                                        ;     Child Loop BB217_6 Depth 2
                                        ;     Child Loop BB217_19 Depth 2
                                        ;       Child Loop BB217_22 Depth 3
                                        ;         Child Loop BB217_23 Depth 4
                                        ;         Child Loop BB217_25 Depth 4
                                        ;           Child Loop BB217_26 Depth 5
                                        ;         Child Loop BB217_30 Depth 4
                                        ;           Child Loop BB217_32 Depth 5
                                        ;     Child Loop BB217_40 Depth 2
                                        ;       Child Loop BB217_43 Depth 3
                                        ;         Child Loop BB217_44 Depth 4
                                        ;         Child Loop BB217_47 Depth 4
                                        ;           Child Loop BB217_48 Depth 5
                                        ;         Child Loop BB217_52 Depth 4
                                        ;           Child Loop BB217_54 Depth 5
	s_wait_alu 0xfffe
	s_mov_b32 s21, s17
	s_wait_alu 0xfffe
	s_lshl_b64 s[18:19], s[20:21], 3
	s_delay_alu instid0(SALU_CYCLE_1)
	s_add_nc_u64 s[22:23], s[12:13], s[18:19]
	global_load_b64 v[10:11], v13, s[22:23]
	s_and_saveexec_b32 s16, s1
	s_cbranch_execz .LBB217_15
; %bb.5:                                ;   in Loop: Header=BB217_4 Depth=1
	s_add_nc_u64 s[18:19], s[8:9], s[18:19]
	v_mov_b32_e32 v2, v12
	global_load_b64 v[0:1], v13, s[18:19]
	s_mov_b32 s18, s28
	s_wait_loadcnt 0x0
	v_add_co_u32 v0, vcc_lo, v0, v16
	s_wait_alu 0xfffd
	v_add_co_ci_u32_e64 v1, null, v1, v15, vcc_lo
.LBB217_6:                              ;   Parent Loop BB217_4 Depth=1
                                        ; =>  This Inner Loop Header: Depth=2
	flat_load_b128 v[3:6], v[0:1] offset:-8
	v_add_co_u32 v0, vcc_lo, v0, s10
	s_wait_alu 0xfffd
	v_add_co_ci_u32_e64 v1, null, s11, v1, vcc_lo
	s_add_co_i32 s18, s18, -1
	s_delay_alu instid0(SALU_CYCLE_1) | instskip(SKIP_2) | instid1(VALU_DEP_1)
	s_cmp_eq_u32 s18, 0
	s_wait_loadcnt_dscnt 0x0
	v_xor_b32_e32 v7, 0x80000000, v6
	v_cndmask_b32_e64 v6, v6, v7, s0
	ds_store_b128 v2, v[3:6]
	v_add_nc_u32_e32 v2, 0x100, v2
	s_cbranch_scc0 .LBB217_6
; %bb.7:                                ;   in Loop: Header=BB217_4 Depth=1
	s_and_b32 vcc_lo, exec_lo, s30
	s_wait_alu 0xfffe
	s_cbranch_vccz .LBB217_13
; %bb.8:                                ;   in Loop: Header=BB217_4 Depth=1
	ds_load_b128 v[0:3], v14
                                        ; implicit-def: $vgpr6_vgpr7
	s_wait_dscnt 0x0
	v_cmp_ngt_f64_e64 s18, |v[0:1]|, |v[2:3]|
	s_and_saveexec_b32 s19, s18
	s_delay_alu instid0(SALU_CYCLE_1)
	s_xor_b32 s18, exec_lo, s19
	s_cbranch_execz .LBB217_10
; %bb.9:                                ;   in Loop: Header=BB217_4 Depth=1
	v_div_scale_f64 v[4:5], null, v[2:3], v[2:3], v[0:1]
	v_div_scale_f64 v[21:22], vcc_lo, v[0:1], v[2:3], v[0:1]
	s_delay_alu instid0(VALU_DEP_2) | instskip(NEXT) | instid1(TRANS32_DEP_1)
	v_rcp_f64_e32 v[6:7], v[4:5]
	v_fma_f64 v[19:20], -v[4:5], v[6:7], 1.0
	s_delay_alu instid0(VALU_DEP_1) | instskip(NEXT) | instid1(VALU_DEP_1)
	v_fma_f64 v[6:7], v[6:7], v[19:20], v[6:7]
	v_fma_f64 v[19:20], -v[4:5], v[6:7], 1.0
	s_delay_alu instid0(VALU_DEP_1) | instskip(NEXT) | instid1(VALU_DEP_1)
	v_fma_f64 v[6:7], v[6:7], v[19:20], v[6:7]
	v_mul_f64_e32 v[19:20], v[21:22], v[6:7]
	s_delay_alu instid0(VALU_DEP_1) | instskip(SKIP_1) | instid1(VALU_DEP_1)
	v_fma_f64 v[4:5], -v[4:5], v[19:20], v[21:22]
	s_wait_alu 0xfffd
	v_div_fmas_f64 v[4:5], v[4:5], v[6:7], v[19:20]
	s_delay_alu instid0(VALU_DEP_1) | instskip(NEXT) | instid1(VALU_DEP_1)
	v_div_fixup_f64 v[4:5], v[4:5], v[2:3], v[0:1]
	v_fma_f64 v[0:1], v[0:1], v[4:5], v[2:3]
	s_delay_alu instid0(VALU_DEP_1) | instskip(SKIP_1) | instid1(VALU_DEP_2)
	v_div_scale_f64 v[2:3], null, v[0:1], v[0:1], 1.0
	v_div_scale_f64 v[21:22], vcc_lo, 1.0, v[0:1], 1.0
	v_rcp_f64_e32 v[6:7], v[2:3]
	s_delay_alu instid0(TRANS32_DEP_1) | instskip(NEXT) | instid1(VALU_DEP_1)
	v_fma_f64 v[19:20], -v[2:3], v[6:7], 1.0
	v_fma_f64 v[6:7], v[6:7], v[19:20], v[6:7]
	s_delay_alu instid0(VALU_DEP_1) | instskip(NEXT) | instid1(VALU_DEP_1)
	v_fma_f64 v[19:20], -v[2:3], v[6:7], 1.0
	v_fma_f64 v[6:7], v[6:7], v[19:20], v[6:7]
	s_delay_alu instid0(VALU_DEP_1) | instskip(NEXT) | instid1(VALU_DEP_1)
	v_mul_f64_e32 v[19:20], v[21:22], v[6:7]
	v_fma_f64 v[2:3], -v[2:3], v[19:20], v[21:22]
	s_wait_alu 0xfffd
	s_delay_alu instid0(VALU_DEP_1) | instskip(SKIP_1) | instid1(VALU_DEP_2)
	v_div_fmas_f64 v[2:3], v[2:3], v[6:7], v[19:20]
	v_add_f64_e32 v[6:7], 0, v[4:5]
	v_div_fixup_f64 v[0:1], v[2:3], v[0:1], 1.0
	v_fma_f64 v[2:3], v[4:5], 0, -1.0
	s_delay_alu instid0(VALU_DEP_2) | instskip(NEXT) | instid1(VALU_DEP_2)
	v_mul_f64_e32 v[4:5], v[6:7], v[0:1]
	v_mul_f64_e32 v[6:7], v[2:3], v[0:1]
                                        ; implicit-def: $vgpr0_vgpr1
.LBB217_10:                             ;   in Loop: Header=BB217_4 Depth=1
	s_and_not1_saveexec_b32 s18, s18
	s_cbranch_execz .LBB217_12
; %bb.11:                               ;   in Loop: Header=BB217_4 Depth=1
	v_div_scale_f64 v[4:5], null, v[0:1], v[0:1], v[2:3]
	v_div_scale_f64 v[21:22], vcc_lo, v[2:3], v[0:1], v[2:3]
	s_delay_alu instid0(VALU_DEP_2) | instskip(NEXT) | instid1(TRANS32_DEP_1)
	v_rcp_f64_e32 v[6:7], v[4:5]
	v_fma_f64 v[19:20], -v[4:5], v[6:7], 1.0
	s_delay_alu instid0(VALU_DEP_1) | instskip(NEXT) | instid1(VALU_DEP_1)
	v_fma_f64 v[6:7], v[6:7], v[19:20], v[6:7]
	v_fma_f64 v[19:20], -v[4:5], v[6:7], 1.0
	s_delay_alu instid0(VALU_DEP_1) | instskip(NEXT) | instid1(VALU_DEP_1)
	v_fma_f64 v[6:7], v[6:7], v[19:20], v[6:7]
	v_mul_f64_e32 v[19:20], v[21:22], v[6:7]
	s_delay_alu instid0(VALU_DEP_1) | instskip(SKIP_1) | instid1(VALU_DEP_1)
	v_fma_f64 v[4:5], -v[4:5], v[19:20], v[21:22]
	s_wait_alu 0xfffd
	v_div_fmas_f64 v[4:5], v[4:5], v[6:7], v[19:20]
	s_delay_alu instid0(VALU_DEP_1) | instskip(NEXT) | instid1(VALU_DEP_1)
	v_div_fixup_f64 v[4:5], v[4:5], v[0:1], v[2:3]
	v_fma_f64 v[0:1], v[2:3], v[4:5], v[0:1]
	s_delay_alu instid0(VALU_DEP_1) | instskip(SKIP_1) | instid1(VALU_DEP_2)
	v_div_scale_f64 v[2:3], null, v[0:1], v[0:1], 1.0
	v_div_scale_f64 v[21:22], vcc_lo, 1.0, v[0:1], 1.0
	v_rcp_f64_e32 v[6:7], v[2:3]
	s_delay_alu instid0(TRANS32_DEP_1) | instskip(NEXT) | instid1(VALU_DEP_1)
	v_fma_f64 v[19:20], -v[2:3], v[6:7], 1.0
	v_fma_f64 v[6:7], v[6:7], v[19:20], v[6:7]
	s_delay_alu instid0(VALU_DEP_1) | instskip(NEXT) | instid1(VALU_DEP_1)
	v_fma_f64 v[19:20], -v[2:3], v[6:7], 1.0
	v_fma_f64 v[6:7], v[6:7], v[19:20], v[6:7]
	s_delay_alu instid0(VALU_DEP_1) | instskip(NEXT) | instid1(VALU_DEP_1)
	v_mul_f64_e32 v[19:20], v[21:22], v[6:7]
	v_fma_f64 v[2:3], -v[2:3], v[19:20], v[21:22]
	s_wait_alu 0xfffd
	s_delay_alu instid0(VALU_DEP_1) | instskip(SKIP_1) | instid1(VALU_DEP_2)
	v_div_fmas_f64 v[2:3], v[2:3], v[6:7], v[19:20]
	v_fma_f64 v[6:7], v[4:5], 0, 1.0
	v_div_fixup_f64 v[0:1], v[2:3], v[0:1], 1.0
	v_add_f64_e64 v[2:3], -v[4:5], 0
	s_delay_alu instid0(VALU_DEP_2) | instskip(NEXT) | instid1(VALU_DEP_2)
	v_mul_f64_e32 v[4:5], v[6:7], v[0:1]
	v_mul_f64_e32 v[6:7], v[2:3], v[0:1]
.LBB217_12:                             ;   in Loop: Header=BB217_4 Depth=1
	s_or_b32 exec_lo, exec_lo, s18
	s_branch .LBB217_14
.LBB217_13:                             ;   in Loop: Header=BB217_4 Depth=1
	v_mov_b32_e32 v6, 0
	v_dual_mov_b32 v7, 0 :: v_dual_mov_b32 v4, 0
	v_mov_b32_e32 v5, 0x3ff00000
.LBB217_14:                             ;   in Loop: Header=BB217_4 Depth=1
	ds_store_b128 v14, v[4:7]
.LBB217_15:                             ;   in Loop: Header=BB217_4 Depth=1
	s_wait_alu 0xfffe
	s_or_b32 exec_lo, exec_lo, s16
	s_mov_b32 s16, -1
	s_or_b32 s37, s37, exec_lo
	; wave barrier
	s_wait_loadcnt_dscnt 0x0
	global_inv scope:SCOPE_SE
	s_and_saveexec_b32 s21, s2
	s_cbranch_execz .LBB217_3
; %bb.16:                               ;   in Loop: Header=BB217_4 Depth=1
	v_add_co_u32 v0, vcc_lo, v10, s14
	s_wait_alu 0xfffd
	v_add_co_ci_u32_e64 v1, null, s15, v11, vcc_lo
	s_delay_alu instid0(VALU_DEP_2) | instskip(SKIP_1) | instid1(VALU_DEP_2)
	v_add_co_u32 v6, vcc_lo, v0, v8
	s_wait_alu 0xfffd
	v_add_co_ci_u32_e64 v7, null, v1, v9, vcc_lo
	s_and_not1_b32 vcc_lo, exec_lo, s31
	s_wait_alu 0xfffe
	s_cbranch_vccnz .LBB217_37
; %bb.17:                               ;   in Loop: Header=BB217_4 Depth=1
	v_add_co_u32 v4, vcc_lo, v10, v18
	s_wait_alu 0xfffd
	v_add_co_ci_u32_e64 v5, null, v11, v17, vcc_lo
	s_mov_b32 s16, 0
	s_mov_b32 s18, s29
	s_branch .LBB217_19
.LBB217_18:                             ;   in Loop: Header=BB217_19 Depth=2
	s_cmp_gt_i32 s18, -1
	s_cselect_b32 s19, -1, 0
	s_add_co_i32 s22, s16, 1
	s_cmp_lt_u32 s16, 2
	s_cselect_b32 s16, -1, 0
	s_wait_alu 0xfffe
	s_and_b32 s16, s19, s16
	s_wait_alu 0xfffe
	s_and_b32 vcc_lo, exec_lo, s16
	s_mov_b32 s16, s22
	s_wait_alu 0xfffe
	s_cbranch_vccz .LBB217_36
.LBB217_19:                             ;   Parent Loop BB217_4 Depth=1
                                        ; =>  This Loop Header: Depth=2
                                        ;       Child Loop BB217_22 Depth 3
                                        ;         Child Loop BB217_23 Depth 4
                                        ;         Child Loop BB217_25 Depth 4
                                        ;           Child Loop BB217_26 Depth 5
                                        ;         Child Loop BB217_30 Depth 4
                                        ;           Child Loop BB217_32 Depth 5
	s_getpc_b64 s[22:23]
	s_wait_alu 0xfffe
	s_sext_i32_i16 s23, s23
	s_add_co_u32 s22, s22, __const._ZL30rocblas_trsm_small_left_deviceILi16ELi16ELb1E19rocblas_complex_numIdES1_PKPKS1_PKPS1_Ev13rocblas_fill_18rocblas_operation_17rocblas_diagonal_iiT3_T4_lilT5_lili.step_sizes@rel32@lo+12
	s_wait_alu 0xfffe
	s_add_co_ci_u32 s23, s23, __const._ZL30rocblas_trsm_small_left_deviceILi16ELi16ELb1E19rocblas_complex_numIdES1_PKPKS1_PKPS1_Ev13rocblas_fill_18rocblas_operation_17rocblas_diagonal_iiT3_T4_lilT5_lili.step_sizes@rel32@hi+24
	s_lshl_b64 s[24:25], s[16:17], 2
	s_wait_alu 0xfffe
	s_add_nc_u64 s[22:23], s[22:23], s[24:25]
	s_load_b32 s26, s[22:23], 0x0
	s_wait_kmcnt 0x0
	s_add_co_i32 s27, s26, -1
	s_wait_alu 0xfffe
	s_cmp_lt_i32 s18, s27
	s_cbranch_scc1 .LBB217_18
; %bb.20:                               ;   in Loop: Header=BB217_19 Depth=2
	s_lshl_b32 s19, s18, 8
	s_lshl_b32 s22, s26, 8
	s_max_i32 s38, s26, 1
	s_add_co_i32 s39, s34, s19
	s_wait_alu 0xfffe
	s_sub_co_i32 s40, 0, s22
	s_mul_i32 s41, s18, 0x110
	s_mul_i32 s42, s26, 0xfffffef0
	s_branch .LBB217_22
.LBB217_21:                             ;   in Loop: Header=BB217_22 Depth=3
	s_sub_co_i32 s18, s18, s26
	s_add_co_i32 s39, s39, s40
	s_add_co_i32 s41, s41, s42
	s_cmp_lt_i32 s18, s27
	s_cbranch_scc1 .LBB217_18
.LBB217_22:                             ;   Parent Loop BB217_4 Depth=1
                                        ;     Parent Loop BB217_19 Depth=2
                                        ; =>    This Loop Header: Depth=3
                                        ;         Child Loop BB217_23 Depth 4
                                        ;         Child Loop BB217_25 Depth 4
                                        ;           Child Loop BB217_26 Depth 5
                                        ;         Child Loop BB217_30 Depth 4
                                        ;           Child Loop BB217_32 Depth 5
	s_ashr_i32 s19, s18, 31
	s_delay_alu instid0(SALU_CYCLE_1)
	s_lshl_b64 s[22:23], s[18:19], 4
	s_wait_alu 0xfffe
	v_add_co_u32 v0, vcc_lo, v4, s22
	s_wait_alu 0xfffd
	v_add_co_ci_u32_e64 v1, null, s23, v5, vcc_lo
	s_mov_b32 s22, 8
	s_mov_b32 s23, s38
.LBB217_23:                             ;   Parent Loop BB217_4 Depth=1
                                        ;     Parent Loop BB217_19 Depth=2
                                        ;       Parent Loop BB217_22 Depth=3
                                        ; =>      This Inner Loop Header: Depth=4
	flat_load_b128 v[19:22], v[0:1] offset:-8
	v_add_co_u32 v0, vcc_lo, v0, -16
	s_wait_alu 0xfffd
	v_add_co_ci_u32_e64 v1, null, -1, v1, vcc_lo
	s_wait_alu 0xfffe
	s_add_co_i32 s23, s23, -1
	s_mov_b32 s24, s22
	s_add_co_i32 s22, s22, 16
	s_wait_alu 0xfffe
	s_cmp_eq_u32 s23, 0
	s_wait_loadcnt_dscnt 0x0
	v_mul_f64_e32 v[2:3], s[6:7], v[21:22]
	v_mul_f64_e32 v[23:24], s[4:5], v[21:22]
	s_delay_alu instid0(VALU_DEP_2) | instskip(NEXT) | instid1(VALU_DEP_2)
	v_fma_f64 v[21:22], s[4:5], v[19:20], -v[2:3]
	v_fma_f64 v[23:24], s[6:7], v[19:20], v[23:24]
	scratch_store_b128 off, v[21:24], s24 offset:-8
	s_cbranch_scc0 .LBB217_23
; %bb.24:                               ;   in Loop: Header=BB217_22 Depth=3
	s_cmp_le_i32 s29, s18
	s_mov_b32 s24, s39
	s_mov_b32 s22, s29
	s_cbranch_scc1 .LBB217_28
.LBB217_25:                             ;   Parent Loop BB217_4 Depth=1
                                        ;     Parent Loop BB217_19 Depth=2
                                        ;       Parent Loop BB217_22 Depth=3
                                        ; =>      This Loop Header: Depth=4
                                        ;           Child Loop BB217_26 Depth 5
	s_wait_alu 0xfffe
	s_ashr_i32 s23, s22, 31
	s_mov_b32 s25, s24
	s_wait_alu 0xfffe
	s_lshl_b64 s[44:45], s[22:23], 4
	s_mov_b32 s23, s33
	s_wait_alu 0xfffe
	v_add_co_u32 v0, vcc_lo, v6, s44
	s_wait_alu 0xfffd
	v_add_co_ci_u32_e64 v1, null, s45, v7, vcc_lo
	s_mov_b32 s43, s38
	flat_load_b128 v[0:3], v[0:1]
.LBB217_26:                             ;   Parent Loop BB217_4 Depth=1
                                        ;     Parent Loop BB217_19 Depth=2
                                        ;       Parent Loop BB217_22 Depth=3
                                        ;         Parent Loop BB217_25 Depth=4
                                        ; =>        This Inner Loop Header: Depth=5
	scratch_load_b128 v[19:22], off, s23 offset:-8
	v_mov_b32_e32 v23, s25
	s_wait_alu 0xfffe
	s_add_co_i32 s43, s43, -1
	s_addk_co_i32 s25, 0xff00
	ds_load_b128 v[23:26], v23
	s_wait_loadcnt_dscnt 0x100
	v_mul_f64_e32 v[27:28], v[2:3], v[25:26]
	v_mul_f64_e32 v[25:26], v[0:1], v[25:26]
	s_delay_alu instid0(VALU_DEP_2) | instskip(NEXT) | instid1(VALU_DEP_2)
	v_fma_f64 v[27:28], v[0:1], v[23:24], -v[27:28]
	v_fma_f64 v[23:24], v[2:3], v[23:24], v[25:26]
	s_wait_loadcnt 0x0
	s_delay_alu instid0(VALU_DEP_2) | instskip(NEXT) | instid1(VALU_DEP_2)
	v_add_f64_e64 v[19:20], v[19:20], -v[27:28]
	v_add_f64_e64 v[21:22], v[21:22], -v[23:24]
	scratch_store_b128 off, v[19:22], s23 offset:-8
	s_add_co_i32 s23, s23, 16
	s_wait_alu 0xfffe
	s_cmp_eq_u32 s43, 0
	s_cbranch_scc0 .LBB217_26
; %bb.27:                               ;   in Loop: Header=BB217_25 Depth=4
	s_add_co_i32 s22, s22, -1
	s_add_co_i32 s24, s24, -16
	s_wait_alu 0xfffe
	s_cmp_le_i32 s22, s18
	s_cbranch_scc0 .LBB217_25
.LBB217_28:                             ;   in Loop: Header=BB217_22 Depth=3
	s_mov_b32 s43, 0
	s_mov_b32 s44, s41
	s_branch .LBB217_30
.LBB217_29:                             ;   in Loop: Header=BB217_30 Depth=4
	s_wait_alu 0xfffe
	s_mulk_i32 s24, 0x110
	s_lshl_b64 s[22:23], s[22:23], 4
	s_wait_alu 0xfffe
	v_mov_b32_e32 v19, s24
	s_lshl_b32 s24, s43, 4
	s_add_co_i32 s43, s43, 1
	s_addk_co_i32 s44, 0xff00
	s_wait_alu 0xfffe
	s_cmp_eq_u32 s43, s38
	ds_load_b128 v[19:22], v19
	s_wait_loadcnt_dscnt 0x0
	v_mul_f64_e32 v[23:24], v[21:22], v[2:3]
	v_mul_f64_e32 v[2:3], v[19:20], v[2:3]
	s_delay_alu instid0(VALU_DEP_2) | instskip(NEXT) | instid1(VALU_DEP_2)
	v_fma_f64 v[19:20], v[19:20], v[0:1], -v[23:24]
	v_fma_f64 v[21:22], v[21:22], v[0:1], v[2:3]
	v_add_co_u32 v0, vcc_lo, v6, s22
	s_wait_alu 0xfffd
	v_add_co_ci_u32_e64 v1, null, s23, v7, vcc_lo
	scratch_store_b128 off, v[19:22], s24
	flat_store_b128 v[0:1], v[19:22]
	s_cbranch_scc1 .LBB217_21
.LBB217_30:                             ;   Parent Loop BB217_4 Depth=1
                                        ;     Parent Loop BB217_19 Depth=2
                                        ;       Parent Loop BB217_22 Depth=3
                                        ; =>      This Loop Header: Depth=4
                                        ;           Child Loop BB217_32 Depth 5
	s_wait_alu 0xfffe
	s_cmp_lg_u32 s43, 0
	s_cbranch_scc0 .LBB217_34
; %bb.31:                               ;   in Loop: Header=BB217_30 Depth=4
	s_lshl_b32 s22, s43, 4
	s_mov_b32 s23, s33
	scratch_load_b128 v[0:3], off, s22
	s_mov_b32 s24, s44
	s_mov_b32 s25, s43
.LBB217_32:                             ;   Parent Loop BB217_4 Depth=1
                                        ;     Parent Loop BB217_19 Depth=2
                                        ;       Parent Loop BB217_22 Depth=3
                                        ;         Parent Loop BB217_30 Depth=4
                                        ; =>        This Inner Loop Header: Depth=5
	scratch_load_b128 v[19:22], off, s23 offset:-8
	s_wait_alu 0xfffe
	v_mov_b32_e32 v23, s24
	s_add_co_i32 s25, s25, -1
	s_add_co_i32 s24, s24, -16
	s_add_co_i32 s23, s23, 16
	s_wait_alu 0xfffe
	s_cmp_eq_u32 s25, 0
	ds_load_b128 v[23:26], v23
	s_wait_loadcnt_dscnt 0x0
	v_mul_f64_e32 v[27:28], v[25:26], v[21:22]
	v_mul_f64_e32 v[21:22], v[23:24], v[21:22]
	s_delay_alu instid0(VALU_DEP_2) | instskip(NEXT) | instid1(VALU_DEP_2)
	v_fma_f64 v[23:24], v[23:24], v[19:20], -v[27:28]
	v_fma_f64 v[19:20], v[25:26], v[19:20], v[21:22]
	s_delay_alu instid0(VALU_DEP_2) | instskip(NEXT) | instid1(VALU_DEP_2)
	v_add_f64_e64 v[0:1], v[0:1], -v[23:24]
	v_add_f64_e64 v[2:3], v[2:3], -v[19:20]
	scratch_store_b128 off, v[0:3], s22
	s_cbranch_scc0 .LBB217_32
; %bb.33:                               ;   in Loop: Header=BB217_30 Depth=4
	s_sub_co_i32 s24, s18, s43
	s_wait_alu 0xfffe
	s_ashr_i32 s25, s24, 31
	s_wait_alu 0xfffe
	s_mov_b64 s[22:23], s[24:25]
	s_branch .LBB217_29
.LBB217_34:                             ;   in Loop: Header=BB217_30 Depth=4
                                        ; implicit-def: $vgpr0_vgpr1
                                        ; implicit-def: $sgpr24
                                        ; implicit-def: $sgpr22_sgpr23
	s_cbranch_execz .LBB217_29
; %bb.35:                               ;   in Loop: Header=BB217_30 Depth=4
	scratch_load_b128 v[0:3], off, off
	s_mov_b64 s[22:23], s[18:19]
	s_mov_b32 s24, s18
	s_branch .LBB217_29
.LBB217_36:                             ;   in Loop: Header=BB217_4 Depth=1
	s_mov_b32 s16, 0
.LBB217_37:                             ;   in Loop: Header=BB217_4 Depth=1
	s_wait_alu 0xfffe
	s_and_b32 vcc_lo, exec_lo, s16
	s_wait_alu 0xfffe
	s_cbranch_vccz .LBB217_2
; %bb.38:                               ;   in Loop: Header=BB217_4 Depth=1
	v_add_co_u32 v10, vcc_lo, v10, v18
	s_wait_alu 0xfffd
	v_add_co_ci_u32_e64 v11, null, v11, v17, vcc_lo
	s_mov_b32 s18, 0
	s_mov_b32 s22, 0
	s_branch .LBB217_40
.LBB217_39:                             ;   in Loop: Header=BB217_40 Depth=2
	s_cmp_lt_i32 s18, s28
	s_cselect_b32 s16, -1, 0
	s_add_co_i32 s19, s22, 1
	s_cmp_lt_u32 s22, 2
	s_cselect_b32 s22, -1, 0
	s_wait_alu 0xfffe
	s_and_b32 s16, s16, s22
	s_mov_b32 s22, s19
	s_wait_alu 0xfffe
	s_and_not1_b32 vcc_lo, exec_lo, s16
	s_wait_alu 0xfffe
	s_cbranch_vccnz .LBB217_2
.LBB217_40:                             ;   Parent Loop BB217_4 Depth=1
                                        ; =>  This Loop Header: Depth=2
                                        ;       Child Loop BB217_43 Depth 3
                                        ;         Child Loop BB217_44 Depth 4
                                        ;         Child Loop BB217_47 Depth 4
                                        ;           Child Loop BB217_48 Depth 5
                                        ;         Child Loop BB217_52 Depth 4
                                        ;           Child Loop BB217_54 Depth 5
	s_mov_b32 s23, s17
	s_getpc_b64 s[24:25]
	s_wait_alu 0xfffe
	s_sext_i32_i16 s25, s25
	s_add_co_u32 s24, s24, __const._ZL30rocblas_trsm_small_left_deviceILi16ELi16ELb1E19rocblas_complex_numIdES1_PKPKS1_PKPS1_Ev13rocblas_fill_18rocblas_operation_17rocblas_diagonal_iiT3_T4_lilT5_lili.step_sizes@rel32@lo+12
	s_wait_alu 0xfffe
	s_add_co_ci_u32 s25, s25, __const._ZL30rocblas_trsm_small_left_deviceILi16ELi16ELb1E19rocblas_complex_numIdES1_PKPKS1_PKPS1_Ev13rocblas_fill_18rocblas_operation_17rocblas_diagonal_iiT3_T4_lilT5_lili.step_sizes@rel32@hi+24
	s_lshl_b64 s[26:27], s[22:23], 2
	s_wait_alu 0xfffe
	s_add_nc_u64 s[24:25], s[24:25], s[26:27]
	s_load_b32 s24, s[24:25], 0x0
	s_wait_kmcnt 0x0
	s_add_co_i32 s23, s24, -1
	s_wait_alu 0xfffe
	s_add_co_i32 s16, s23, s18
	s_wait_alu 0xfffe
	s_cmp_ge_i32 s16, s28
	s_cbranch_scc1 .LBB217_39
; %bb.41:                               ;   in Loop: Header=BB217_40 Depth=2
	s_ashr_i32 s19, s18, 31
	s_ashr_i32 s25, s24, 31
	s_lshl_b64 s[26:27], s[18:19], 4
	s_max_i32 s38, s24, 1
	s_wait_alu 0xfffe
	v_add_co_u32 v4, vcc_lo, v10, s26
	s_wait_alu 0xfffd
	v_add_co_ci_u32_e64 v5, null, s27, v11, vcc_lo
	s_lshl_b64 s[26:27], s[24:25], 4
	s_lshl_b32 s19, s18, 4
	s_lshl_b32 s25, s24, 4
	s_mul_i32 s39, s18, 0x110
	s_mul_i32 s40, s24, 0x110
	s_branch .LBB217_43
.LBB217_42:                             ;   in Loop: Header=BB217_43 Depth=3
	v_add_co_u32 v4, vcc_lo, v4, s26
	s_add_co_i32 s18, s18, s24
	s_wait_alu 0xfffd
	v_add_co_ci_u32_e64 v5, null, s27, v5, vcc_lo
	s_add_co_i32 s16, s23, s18
	s_add_co_i32 s19, s19, s25
	;; [unrolled: 1-line block ×3, first 2 shown]
	s_wait_alu 0xfffe
	s_cmp_ge_i32 s16, s28
	s_cbranch_scc1 .LBB217_39
.LBB217_43:                             ;   Parent Loop BB217_4 Depth=1
                                        ;     Parent Loop BB217_40 Depth=2
                                        ; =>    This Loop Header: Depth=3
                                        ;         Child Loop BB217_44 Depth 4
                                        ;         Child Loop BB217_47 Depth 4
                                        ;           Child Loop BB217_48 Depth 5
                                        ;         Child Loop BB217_52 Depth 4
                                        ;           Child Loop BB217_54 Depth 5
	v_dual_mov_b32 v0, v4 :: v_dual_mov_b32 v1, v5
	s_mov_b32 s16, 8
	s_mov_b32 s41, s38
.LBB217_44:                             ;   Parent Loop BB217_4 Depth=1
                                        ;     Parent Loop BB217_40 Depth=2
                                        ;       Parent Loop BB217_43 Depth=3
                                        ; =>      This Inner Loop Header: Depth=4
	flat_load_b128 v[19:22], v[0:1] offset:-8
	v_add_co_u32 v0, vcc_lo, v0, 16
	s_wait_alu 0xfffd
	v_add_co_ci_u32_e64 v1, null, 0, v1, vcc_lo
	s_add_co_i32 s41, s41, -1
	s_wait_alu 0xfffe
	s_mov_b32 s42, s16
	s_add_co_i32 s16, s16, 16
	s_cmp_eq_u32 s41, 0
	s_wait_loadcnt_dscnt 0x0
	v_mul_f64_e32 v[2:3], s[6:7], v[21:22]
	v_mul_f64_e32 v[23:24], s[4:5], v[21:22]
	s_delay_alu instid0(VALU_DEP_2) | instskip(NEXT) | instid1(VALU_DEP_2)
	v_fma_f64 v[21:22], s[4:5], v[19:20], -v[2:3]
	v_fma_f64 v[23:24], s[6:7], v[19:20], v[23:24]
	scratch_store_b128 off, v[21:24], s42 offset:-8
	s_cbranch_scc0 .LBB217_44
; %bb.45:                               ;   in Loop: Header=BB217_43 Depth=3
	s_cmp_lt_i32 s18, 1
	s_cbranch_scc1 .LBB217_50
; %bb.46:                               ;   in Loop: Header=BB217_43 Depth=3
	s_mov_b32 s16, 0
	s_mov_b32 s41, s19
.LBB217_47:                             ;   Parent Loop BB217_4 Depth=1
                                        ;     Parent Loop BB217_40 Depth=2
                                        ;       Parent Loop BB217_43 Depth=3
                                        ; =>      This Loop Header: Depth=4
                                        ;           Child Loop BB217_48 Depth 5
	s_wait_alu 0xfffe
	s_lshl_b64 s[42:43], s[16:17], 4
	s_mov_b32 s44, s38
	s_wait_alu 0xfffe
	v_add_co_u32 v0, vcc_lo, v6, s42
	s_wait_alu 0xfffd
	v_add_co_ci_u32_e64 v1, null, s43, v7, vcc_lo
	s_mov_b32 s42, s33
	s_mov_b32 s43, s41
	flat_load_b128 v[0:3], v[0:1]
.LBB217_48:                             ;   Parent Loop BB217_4 Depth=1
                                        ;     Parent Loop BB217_40 Depth=2
                                        ;       Parent Loop BB217_43 Depth=3
                                        ;         Parent Loop BB217_47 Depth=4
                                        ; =>        This Inner Loop Header: Depth=5
	scratch_load_b128 v[19:22], off, s42 offset:-8
	s_wait_alu 0xfffe
	v_mov_b32_e32 v23, s43
	s_add_co_i32 s44, s44, -1
	s_add_co_i32 s43, s43, 16
	ds_load_b128 v[23:26], v23
	s_wait_loadcnt_dscnt 0x100
	v_mul_f64_e32 v[27:28], v[2:3], v[25:26]
	v_mul_f64_e32 v[25:26], v[0:1], v[25:26]
	s_delay_alu instid0(VALU_DEP_2) | instskip(NEXT) | instid1(VALU_DEP_2)
	v_fma_f64 v[27:28], v[0:1], v[23:24], -v[27:28]
	v_fma_f64 v[23:24], v[2:3], v[23:24], v[25:26]
	s_wait_loadcnt 0x0
	s_delay_alu instid0(VALU_DEP_2) | instskip(NEXT) | instid1(VALU_DEP_2)
	v_add_f64_e64 v[19:20], v[19:20], -v[27:28]
	v_add_f64_e64 v[21:22], v[21:22], -v[23:24]
	scratch_store_b128 off, v[19:22], s42 offset:-8
	s_add_co_i32 s42, s42, 16
	s_wait_alu 0xfffe
	s_cmp_eq_u32 s44, 0
	s_cbranch_scc0 .LBB217_48
; %bb.49:                               ;   in Loop: Header=BB217_47 Depth=4
	s_add_co_i32 s16, s16, 1
	s_addk_co_i32 s41, 0x100
	s_wait_alu 0xfffe
	s_cmp_eq_u32 s16, s18
	s_cbranch_scc0 .LBB217_47
.LBB217_50:                             ;   in Loop: Header=BB217_43 Depth=3
	s_mov_b32 s16, 0
	s_mov_b32 s41, s39
	s_branch .LBB217_52
.LBB217_51:                             ;   in Loop: Header=BB217_52 Depth=4
	s_add_co_i32 s42, s16, s18
	s_lshl_b32 s44, s16, 4
	s_wait_alu 0xfffe
	s_mul_i32 s43, s42, 0x110
	s_add_co_i32 s16, s16, 1
	s_wait_alu 0xfffe
	v_mov_b32_e32 v19, s43
	s_ashr_i32 s43, s42, 31
	s_add_co_i32 s41, s41, 16
	s_wait_alu 0xfffe
	s_lshl_b64 s[42:43], s[42:43], 4
	s_cmp_eq_u32 s16, s38
	ds_load_b128 v[19:22], v19
	s_wait_loadcnt_dscnt 0x0
	v_mul_f64_e32 v[23:24], v[21:22], v[2:3]
	v_mul_f64_e32 v[2:3], v[19:20], v[2:3]
	s_delay_alu instid0(VALU_DEP_2) | instskip(NEXT) | instid1(VALU_DEP_2)
	v_fma_f64 v[19:20], v[19:20], v[0:1], -v[23:24]
	v_fma_f64 v[21:22], v[21:22], v[0:1], v[2:3]
	s_wait_alu 0xfffe
	v_add_co_u32 v0, vcc_lo, v6, s42
	s_wait_alu 0xfffd
	v_add_co_ci_u32_e64 v1, null, s43, v7, vcc_lo
	scratch_store_b128 off, v[19:22], s44
	flat_store_b128 v[0:1], v[19:22]
	s_cbranch_scc1 .LBB217_42
.LBB217_52:                             ;   Parent Loop BB217_4 Depth=1
                                        ;     Parent Loop BB217_40 Depth=2
                                        ;       Parent Loop BB217_43 Depth=3
                                        ; =>      This Loop Header: Depth=4
                                        ;           Child Loop BB217_54 Depth 5
	s_wait_alu 0xfffe
	s_cmp_lg_u32 s16, 0
	s_cbranch_scc0 .LBB217_56
; %bb.53:                               ;   in Loop: Header=BB217_52 Depth=4
	s_lshl_b32 s42, s16, 4
	s_mov_b32 s43, s33
	scratch_load_b128 v[0:3], off, s42
	s_mov_b32 s44, s41
	s_mov_b32 s45, s16
.LBB217_54:                             ;   Parent Loop BB217_4 Depth=1
                                        ;     Parent Loop BB217_40 Depth=2
                                        ;       Parent Loop BB217_43 Depth=3
                                        ;         Parent Loop BB217_52 Depth=4
                                        ; =>        This Inner Loop Header: Depth=5
	scratch_load_b128 v[19:22], off, s43 offset:-8
	s_wait_alu 0xfffe
	v_mov_b32_e32 v23, s44
	s_add_co_i32 s45, s45, -1
	s_addk_co_i32 s44, 0x100
	s_add_co_i32 s43, s43, 16
	s_wait_alu 0xfffe
	s_cmp_eq_u32 s45, 0
	ds_load_b128 v[23:26], v23
	s_wait_loadcnt_dscnt 0x0
	v_mul_f64_e32 v[27:28], v[25:26], v[21:22]
	v_mul_f64_e32 v[21:22], v[23:24], v[21:22]
	s_delay_alu instid0(VALU_DEP_2) | instskip(NEXT) | instid1(VALU_DEP_2)
	v_fma_f64 v[23:24], v[23:24], v[19:20], -v[27:28]
	v_fma_f64 v[19:20], v[25:26], v[19:20], v[21:22]
	s_delay_alu instid0(VALU_DEP_2) | instskip(NEXT) | instid1(VALU_DEP_2)
	v_add_f64_e64 v[0:1], v[0:1], -v[23:24]
	v_add_f64_e64 v[2:3], v[2:3], -v[19:20]
	scratch_store_b128 off, v[0:3], s42
	s_cbranch_scc0 .LBB217_54
; %bb.55:                               ;   in Loop: Header=BB217_52 Depth=4
	s_branch .LBB217_51
.LBB217_56:                             ;   in Loop: Header=BB217_52 Depth=4
                                        ; implicit-def: $vgpr0_vgpr1
	s_cbranch_execz .LBB217_51
; %bb.57:                               ;   in Loop: Header=BB217_52 Depth=4
	scratch_load_b128 v[0:3], off, off
	s_branch .LBB217_51
.LBB217_58:
	s_or_b32 exec_lo, exec_lo, s35
	s_and_saveexec_b32 s0, s36
	s_wait_alu 0xfffe
	s_xor_b32 s0, exec_lo, s0
.LBB217_59:
	s_endpgm
	.section	.rodata,"a",@progbits
	.p2align	6, 0x0
	.amdhsa_kernel _ZL30rocblas_trsm_small_left_deviceILi16ELi16ELb1E19rocblas_complex_numIdES1_PKPKS1_PKPS1_Ev13rocblas_fill_18rocblas_operation_17rocblas_diagonal_iiT3_T4_lilT5_lili
		.amdhsa_group_segment_fixed_size 4096
		.amdhsa_private_segment_fixed_size 272
		.amdhsa_kernarg_size 368
		.amdhsa_user_sgpr_count 2
		.amdhsa_user_sgpr_dispatch_ptr 0
		.amdhsa_user_sgpr_queue_ptr 0
		.amdhsa_user_sgpr_kernarg_segment_ptr 1
		.amdhsa_user_sgpr_dispatch_id 0
		.amdhsa_user_sgpr_private_segment_size 0
		.amdhsa_wavefront_size32 1
		.amdhsa_uses_dynamic_stack 0
		.amdhsa_enable_private_segment 1
		.amdhsa_system_sgpr_workgroup_id_x 1
		.amdhsa_system_sgpr_workgroup_id_y 0
		.amdhsa_system_sgpr_workgroup_id_z 1
		.amdhsa_system_sgpr_workgroup_info 0
		.amdhsa_system_vgpr_workitem_id 0
		.amdhsa_next_free_vgpr 169
		.amdhsa_next_free_sgpr 46
		.amdhsa_reserve_vcc 1
		.amdhsa_float_round_mode_32 0
		.amdhsa_float_round_mode_16_64 0
		.amdhsa_float_denorm_mode_32 3
		.amdhsa_float_denorm_mode_16_64 3
		.amdhsa_fp16_overflow 0
		.amdhsa_workgroup_processor_mode 1
		.amdhsa_memory_ordered 1
		.amdhsa_forward_progress 1
		.amdhsa_inst_pref_size 25
		.amdhsa_round_robin_scheduling 0
		.amdhsa_exception_fp_ieee_invalid_op 0
		.amdhsa_exception_fp_denorm_src 0
		.amdhsa_exception_fp_ieee_div_zero 0
		.amdhsa_exception_fp_ieee_overflow 0
		.amdhsa_exception_fp_ieee_underflow 0
		.amdhsa_exception_fp_ieee_inexact 0
		.amdhsa_exception_int_div_zero 0
	.end_amdhsa_kernel
	.section	.text._ZL30rocblas_trsm_small_left_deviceILi16ELi16ELb1E19rocblas_complex_numIdES1_PKPKS1_PKPS1_Ev13rocblas_fill_18rocblas_operation_17rocblas_diagonal_iiT3_T4_lilT5_lili,"axG",@progbits,_ZL30rocblas_trsm_small_left_deviceILi16ELi16ELb1E19rocblas_complex_numIdES1_PKPKS1_PKPS1_Ev13rocblas_fill_18rocblas_operation_17rocblas_diagonal_iiT3_T4_lilT5_lili,comdat
.Lfunc_end217:
	.size	_ZL30rocblas_trsm_small_left_deviceILi16ELi16ELb1E19rocblas_complex_numIdES1_PKPKS1_PKPS1_Ev13rocblas_fill_18rocblas_operation_17rocblas_diagonal_iiT3_T4_lilT5_lili, .Lfunc_end217-_ZL30rocblas_trsm_small_left_deviceILi16ELi16ELb1E19rocblas_complex_numIdES1_PKPKS1_PKPS1_Ev13rocblas_fill_18rocblas_operation_17rocblas_diagonal_iiT3_T4_lilT5_lili
                                        ; -- End function
	.set _ZL30rocblas_trsm_small_left_deviceILi16ELi16ELb1E19rocblas_complex_numIdES1_PKPKS1_PKPS1_Ev13rocblas_fill_18rocblas_operation_17rocblas_diagonal_iiT3_T4_lilT5_lili.num_vgpr, 29
	.set _ZL30rocblas_trsm_small_left_deviceILi16ELi16ELb1E19rocblas_complex_numIdES1_PKPKS1_PKPS1_Ev13rocblas_fill_18rocblas_operation_17rocblas_diagonal_iiT3_T4_lilT5_lili.num_agpr, 0
	.set _ZL30rocblas_trsm_small_left_deviceILi16ELi16ELb1E19rocblas_complex_numIdES1_PKPKS1_PKPS1_Ev13rocblas_fill_18rocblas_operation_17rocblas_diagonal_iiT3_T4_lilT5_lili.numbered_sgpr, 46
	.set _ZL30rocblas_trsm_small_left_deviceILi16ELi16ELb1E19rocblas_complex_numIdES1_PKPKS1_PKPS1_Ev13rocblas_fill_18rocblas_operation_17rocblas_diagonal_iiT3_T4_lilT5_lili.num_named_barrier, 0
	.set _ZL30rocblas_trsm_small_left_deviceILi16ELi16ELb1E19rocblas_complex_numIdES1_PKPKS1_PKPS1_Ev13rocblas_fill_18rocblas_operation_17rocblas_diagonal_iiT3_T4_lilT5_lili.private_seg_size, 272
	.set _ZL30rocblas_trsm_small_left_deviceILi16ELi16ELb1E19rocblas_complex_numIdES1_PKPKS1_PKPS1_Ev13rocblas_fill_18rocblas_operation_17rocblas_diagonal_iiT3_T4_lilT5_lili.uses_vcc, 1
	.set _ZL30rocblas_trsm_small_left_deviceILi16ELi16ELb1E19rocblas_complex_numIdES1_PKPKS1_PKPS1_Ev13rocblas_fill_18rocblas_operation_17rocblas_diagonal_iiT3_T4_lilT5_lili.uses_flat_scratch, 0
	.set _ZL30rocblas_trsm_small_left_deviceILi16ELi16ELb1E19rocblas_complex_numIdES1_PKPKS1_PKPS1_Ev13rocblas_fill_18rocblas_operation_17rocblas_diagonal_iiT3_T4_lilT5_lili.has_dyn_sized_stack, 0
	.set _ZL30rocblas_trsm_small_left_deviceILi16ELi16ELb1E19rocblas_complex_numIdES1_PKPKS1_PKPS1_Ev13rocblas_fill_18rocblas_operation_17rocblas_diagonal_iiT3_T4_lilT5_lili.has_recursion, 0
	.set _ZL30rocblas_trsm_small_left_deviceILi16ELi16ELb1E19rocblas_complex_numIdES1_PKPKS1_PKPS1_Ev13rocblas_fill_18rocblas_operation_17rocblas_diagonal_iiT3_T4_lilT5_lili.has_indirect_call, 0
	.section	.AMDGPU.csdata,"",@progbits
; Kernel info:
; codeLenInByte = 3132
; TotalNumSgprs: 48
; NumVgprs: 29
; ScratchSize: 272
; MemoryBound: 0
; FloatMode: 240
; IeeeMode: 1
; LDSByteSize: 4096 bytes/workgroup (compile time only)
; SGPRBlocks: 0
; VGPRBlocks: 21
; NumSGPRsForWavesPerEU: 48
; NumVGPRsForWavesPerEU: 169
; Occupancy: 8
; WaveLimiterHint : 1
; COMPUTE_PGM_RSRC2:SCRATCH_EN: 1
; COMPUTE_PGM_RSRC2:USER_SGPR: 2
; COMPUTE_PGM_RSRC2:TRAP_HANDLER: 0
; COMPUTE_PGM_RSRC2:TGID_X_EN: 1
; COMPUTE_PGM_RSRC2:TGID_Y_EN: 0
; COMPUTE_PGM_RSRC2:TGID_Z_EN: 1
; COMPUTE_PGM_RSRC2:TIDIG_COMP_CNT: 0
	.section	.text._ZL31rocblas_trsm_small_right_deviceI19rocblas_complex_numIdES1_PKPKS1_PKPS1_Li16EEv13rocblas_fill_18rocblas_operation_17rocblas_diagonal_iiT0_T1_lilT2_lili,"axG",@progbits,_ZL31rocblas_trsm_small_right_deviceI19rocblas_complex_numIdES1_PKPKS1_PKPS1_Li16EEv13rocblas_fill_18rocblas_operation_17rocblas_diagonal_iiT0_T1_lilT2_lili,comdat
	.globl	_ZL31rocblas_trsm_small_right_deviceI19rocblas_complex_numIdES1_PKPKS1_PKPS1_Li16EEv13rocblas_fill_18rocblas_operation_17rocblas_diagonal_iiT0_T1_lilT2_lili ; -- Begin function _ZL31rocblas_trsm_small_right_deviceI19rocblas_complex_numIdES1_PKPKS1_PKPS1_Li16EEv13rocblas_fill_18rocblas_operation_17rocblas_diagonal_iiT0_T1_lilT2_lili
	.p2align	8
	.type	_ZL31rocblas_trsm_small_right_deviceI19rocblas_complex_numIdES1_PKPKS1_PKPS1_Li16EEv13rocblas_fill_18rocblas_operation_17rocblas_diagonal_iiT0_T1_lilT2_lili,@function
_ZL31rocblas_trsm_small_right_deviceI19rocblas_complex_numIdES1_PKPKS1_PKPS1_Li16EEv13rocblas_fill_18rocblas_operation_17rocblas_diagonal_iiT0_T1_lilT2_lili: ; @_ZL31rocblas_trsm_small_right_deviceI19rocblas_complex_numIdES1_PKPKS1_PKPS1_Li16EEv13rocblas_fill_18rocblas_operation_17rocblas_diagonal_iiT0_T1_lilT2_lili
; %bb.0:
	s_load_b32 s26, s[0:1], 0x68
	s_lshr_b32 s2, ttmp7, 16
	s_wait_kmcnt 0x0
	s_cmp_ge_u32 s2, s26
	s_cbranch_scc1 .LBB218_147
; %bb.1:
	s_clause 0x6
	s_load_b32 s22, s[0:1], 0x38
	s_load_b32 s24, s[0:1], 0x58
	s_load_b128 s[16:19], s[0:1], 0x0
	s_load_b32 s27, s[0:1], 0x10
	s_load_b32 s3, s[0:1], 0x70
	s_load_b128 s[12:15], s[0:1], 0x48
	s_load_b256 s[4:11], s[0:1], 0x18
	s_mov_b32 s20, ttmp9
	v_lshlrev_b32_e32 v29, 4, v0
	v_dual_mov_b32 v1, 0 :: v_dual_lshlrev_b32 v2, 8, v0
	s_delay_alu instid0(VALU_DEP_1)
	v_dual_mov_b32 v2, 0x3ff00000 :: v_dual_add_nc_u32 v37, v29, v2
	v_or_b32_e32 v30, 0x1000, v29
	s_wait_kmcnt 0x0
	s_ashr_i32 s23, s22, 31
	s_ashr_i32 s25, s24, 31
	s_cmp_lg_u32 s16, 0x7a
	s_cselect_b32 s31, -1, 0
	s_cmp_eq_u32 s17, 0x71
	s_cselect_b32 s0, -1, 0
	s_min_i32 s28, s27, 16
	s_lshl_b32 s1, ttmp9, 4
	s_add_co_i32 s3, s3, -1
	s_add_co_i32 s29, s28, -1
	s_sub_co_i32 s1, s19, s1
	s_cmp_ge_u32 ttmp9, s3
	s_mov_b32 s3, 0
	s_cselect_b32 s1, s1, 16
	s_ashr_i32 s21, ttmp9, 31
	v_cmp_gt_i32_e32 vcc_lo, s1, v0
	s_lshl_b64 s[20:21], s[20:21], 8
	s_cmp_eq_u32 s18, 0x84
	s_cselect_b32 s30, -1, 0
	s_cmp_gt_i32 s27, 0
	s_cselect_b32 s18, -1, 0
	s_cmp_lg_u32 s17, 0x6f
	s_cselect_b32 s17, -1, 0
	s_cmp_lg_u32 s16, 0x79
	s_cselect_b32 s1, -1, 0
	s_or_b32 s31, s31, s17
	s_wait_alu 0xfffe
	s_or_b32 s33, s1, s17
	s_cmp_gt_i32 s27, 3
	v_cndmask_b32_e64 v31, 0, 1, s1
	s_cselect_b32 s34, -1, 0
	s_lshl_b64 s[16:17], s[10:11], 4
	s_lshl_b64 s[14:15], s[14:15], 4
	v_add_co_u32 v3, s16, s16, v29
	s_lshl_b64 s[10:11], s[22:23], 4
	s_wait_alu 0xf1ff
	v_add_co_ci_u32_e64 v32, null, s17, 0, s16
	s_add_nc_u64 s[16:17], s[20:21], s[14:15]
	s_lshl_b32 s23, s28, 8
	v_or_b32_e32 v33, 8, v3
	s_wait_alu 0xfffe
	v_add_co_u32 v3, s16, s16, v29
	v_or_b32_e32 v4, s23, v29
	v_cmp_gt_i32_e64 s1, s28, v0
	s_wait_alu 0xf1ff
	v_add_co_ci_u32_e64 v34, null, s17, 0, s16
	v_or_b32_e32 v35, 8, v3
	v_add_nc_u32_e32 v36, 0xf00, v4
	v_lshlrev_b32_e32 v0, 4, v0
	s_and_b32 s35, vcc_lo, s18
	s_mul_i32 s18, s28, 0x110
	s_lshl_b64 s[16:17], s[24:25], 4
	s_lshl_b32 s25, s28, 4
	s_add_co_i32 s22, s18, 0xfffffec0
	s_addk_co_i32 s23, 0xff00
	s_add_co_i32 s24, s18, 0xfffffbf0
	s_add_co_i32 s25, s25, -16
	s_branch .LBB218_3
.LBB218_2:                              ;   in Loop: Header=BB218_3 Depth=1
	s_wait_alu 0xfffe
	s_or_b32 exec_lo, exec_lo, s18
	s_add_co_i32 s2, s2, 0x10000
	s_delay_alu instid0(SALU_CYCLE_1)
	s_cmp_lt_u32 s2, s26
	s_cbranch_scc0 .LBB218_147
.LBB218_3:                              ; =>This Loop Header: Depth=1
                                        ;     Child Loop BB218_5 Depth 2
                                        ;     Child Loop BB218_10 Depth 2
	;; [unrolled: 1-line block ×3, first 2 shown]
                                        ;       Child Loop BB218_17 Depth 3
                                        ;     Child Loop BB218_39 Depth 2
                                        ;       Child Loop BB218_40 Depth 3
                                        ;     Child Loop BB218_48 Depth 2
	;; [unrolled: 2-line block ×8, first 2 shown]
	s_lshl_b64 s[18:19], s[2:3], 3
	s_wait_alu 0xfffe
	s_add_nc_u64 s[36:37], s[12:13], s[18:19]
	global_load_b64 v[27:28], v1, s[36:37]
	s_and_saveexec_b32 s36, s1
	s_cbranch_execz .LBB218_8
; %bb.4:                                ;   in Loop: Header=BB218_3 Depth=1
	s_add_nc_u64 s[18:19], s[8:9], s[18:19]
	v_mov_b32_e32 v5, v29
	global_load_b64 v[3:4], v1, s[18:19]
	s_mov_b32 s18, s28
	s_wait_loadcnt 0x0
	v_add_co_u32 v3, vcc_lo, v3, v33
	s_wait_alu 0xfffd
	v_add_co_ci_u32_e64 v4, null, v4, v32, vcc_lo
.LBB218_5:                              ;   Parent Loop BB218_3 Depth=1
                                        ; =>  This Inner Loop Header: Depth=2
	flat_load_b128 v[6:9], v[3:4] offset:-8
	v_add_co_u32 v3, vcc_lo, v3, s10
	s_wait_alu 0xfffd
	v_add_co_ci_u32_e64 v4, null, s11, v4, vcc_lo
	s_wait_alu 0xfffe
	s_add_co_i32 s18, s18, -1
	s_wait_alu 0xfffe
	s_cmp_eq_u32 s18, 0
	s_wait_loadcnt_dscnt 0x0
	v_xor_b32_e32 v10, 0x80000000, v9
	s_delay_alu instid0(VALU_DEP_1)
	v_cndmask_b32_e64 v9, v9, v10, s0
	ds_store_b128 v5, v[6:9]
	v_add_nc_u32_e32 v5, 0x100, v5
	s_cbranch_scc0 .LBB218_5
; %bb.6:                                ;   in Loop: Header=BB218_3 Depth=1
	s_and_b32 vcc_lo, exec_lo, s30
	s_wait_alu 0xfffe
	s_cbranch_vccz .LBB218_8
; %bb.7:                                ;   in Loop: Header=BB218_3 Depth=1
	v_dual_mov_b32 v3, v1 :: v_dual_mov_b32 v4, v1
	ds_store_b128 v37, v[1:4]
.LBB218_8:                              ;   in Loop: Header=BB218_3 Depth=1
	s_wait_alu 0xfffe
	s_or_b32 exec_lo, exec_lo, s36
	s_and_saveexec_b32 s18, s35
	s_cbranch_execz .LBB218_11
; %bb.9:                                ;   in Loop: Header=BB218_3 Depth=1
	s_wait_loadcnt 0x0
	v_add_co_u32 v3, vcc_lo, v27, v35
	s_wait_alu 0xfffd
	v_add_co_ci_u32_e64 v4, null, v28, v34, vcc_lo
	v_mov_b32_e32 v5, v30
	s_mov_b32 s19, s27
.LBB218_10:                             ;   Parent Loop BB218_3 Depth=1
                                        ; =>  This Inner Loop Header: Depth=2
	flat_load_b128 v[6:9], v[3:4] offset:-8
	s_wait_alu 0xfffe
	v_add_co_u32 v3, vcc_lo, v3, s16
	s_wait_alu 0xfffd
	v_add_co_ci_u32_e64 v4, null, s17, v4, vcc_lo
	s_add_co_i32 s19, s19, -1
	s_wait_alu 0xfffe
	s_cmp_lg_u32 s19, 0
	s_wait_loadcnt_dscnt 0x0
	v_mul_f64_e32 v[10:11], s[6:7], v[8:9]
	v_mul_f64_e32 v[12:13], s[4:5], v[8:9]
	s_delay_alu instid0(VALU_DEP_2) | instskip(NEXT) | instid1(VALU_DEP_2)
	v_fma_f64 v[8:9], s[4:5], v[6:7], -v[10:11]
	v_fma_f64 v[10:11], s[6:7], v[6:7], v[12:13]
	ds_store_b128 v5, v[8:11]
	v_add_nc_u32_e32 v5, 0x100, v5
	s_cbranch_scc1 .LBB218_10
.LBB218_11:                             ;   in Loop: Header=BB218_3 Depth=1
	s_wait_alu 0xfffe
	s_or_b32 exec_lo, exec_lo, s18
	s_delay_alu instid0(SALU_CYCLE_1)
	s_and_b32 vcc_lo, exec_lo, s33
	s_mov_b32 s18, -1
	; wave barrier
	s_wait_loadcnt_dscnt 0x0
	global_inv scope:SCOPE_SE
	s_wait_alu 0xfffe
	s_cbranch_vccz .LBB218_112
; %bb.12:                               ;   in Loop: Header=BB218_3 Depth=1
	s_and_b32 vcc_lo, exec_lo, s31
	s_wait_alu 0xfffe
	s_cbranch_vccz .LBB218_79
; %bb.13:                               ;   in Loop: Header=BB218_3 Depth=1
	v_cmp_ne_u32_e32 vcc_lo, 1, v31
	s_cbranch_vccnz .LBB218_46
; %bb.14:                               ;   in Loop: Header=BB218_3 Depth=1
	s_and_not1_b32 vcc_lo, exec_lo, s34
	s_mov_b32 s36, 0
	s_wait_alu 0xfffe
	s_cbranch_vccnz .LBB218_36
; %bb.15:                               ;   in Loop: Header=BB218_3 Depth=1
	s_mov_b32 s18, 0
	s_mov_b32 s19, 0
.LBB218_16:                             ;   Parent Loop BB218_3 Depth=1
                                        ; =>  This Loop Header: Depth=2
                                        ;       Child Loop BB218_17 Depth 3
	s_wait_alu 0xfffe
	s_lshl_b32 s38, s19, 8
	s_or_b32 s37, s19, 1
	s_wait_alu 0xfffe
	v_add_nc_u32_e32 v41, s38, v30
	s_or_b32 s40, s19, 2
	v_lshl_add_u32 v40, s37, 8, v30
	s_or_b32 s36, s38, 0x300
	s_wait_alu 0xfffe
	v_lshl_add_u32 v39, s40, 8, v30
	v_dual_mov_b32 v11, v30 :: v_dual_add_nc_u32 v38, s36, v30
	ds_load_b128 v[19:22], v41
	ds_load_b128 v[15:18], v40
	;; [unrolled: 1-line block ×4, first 2 shown]
	s_cmp_eq_u32 s19, 0
	s_mov_b32 s36, s18
	s_mov_b32 s39, s19
	s_cbranch_scc1 .LBB218_18
.LBB218_17:                             ;   Parent Loop BB218_3 Depth=1
                                        ;     Parent Loop BB218_16 Depth=2
                                        ; =>    This Inner Loop Header: Depth=3
	s_wait_alu 0xfffe
	v_mov_b32_e32 v12, s36
	s_add_co_i32 s39, s39, -1
	s_addk_co_i32 s36, 0x100
	s_wait_alu 0xfffe
	s_cmp_eq_u32 s39, 0
	ds_load_b128 v[23:26], v11
	ds_load_b128 v[42:45], v12
	ds_load_b128 v[46:49], v12 offset:16
	ds_load_b128 v[50:53], v12 offset:32
	;; [unrolled: 1-line block ×3, first 2 shown]
	v_add_nc_u32_e32 v11, 0x100, v11
	s_wait_dscnt 0x3
	v_mul_f64_e32 v[12:13], v[25:26], v[44:45]
	v_mul_f64_e32 v[44:45], v[23:24], v[44:45]
	s_wait_dscnt 0x2
	v_mul_f64_e32 v[58:59], v[25:26], v[48:49]
	v_mul_f64_e32 v[48:49], v[23:24], v[48:49]
	;; [unrolled: 3-line block ×4, first 2 shown]
	v_fma_f64 v[12:13], v[23:24], v[42:43], -v[12:13]
	v_fma_f64 v[42:43], v[25:26], v[42:43], v[44:45]
	v_fma_f64 v[44:45], v[23:24], v[46:47], -v[58:59]
	v_fma_f64 v[46:47], v[25:26], v[46:47], v[48:49]
	;; [unrolled: 2-line block ×4, first 2 shown]
	v_add_f64_e64 v[19:20], v[19:20], -v[12:13]
	v_add_f64_e64 v[21:22], v[21:22], -v[42:43]
	;; [unrolled: 1-line block ×8, first 2 shown]
	s_cbranch_scc0 .LBB218_17
.LBB218_18:                             ;   in Loop: Header=BB218_16 Depth=2
	s_lshl_b32 s36, s19, 4
	s_lshl_b32 s39, s37, 4
	s_wait_alu 0xfffe
	s_add_co_i32 s38, s36, s38
	s_lshl_b32 s37, s40, 4
	s_wait_alu 0xfffe
	v_mov_b32_e32 v11, s38
	ds_load_b128 v[23:26], v11
                                        ; implicit-def: $vgpr13_vgpr14
	s_wait_dscnt 0x0
	v_cmp_ngt_f64_e64 s40, |v[23:24]|, |v[25:26]|
	s_and_b32 vcc_lo, exec_lo, s40
	s_mov_b32 s40, -1
	s_wait_alu 0xfffe
	s_cbranch_vccz .LBB218_20
; %bb.19:                               ;   in Loop: Header=BB218_16 Depth=2
	v_div_scale_f64 v[11:12], null, v[25:26], v[25:26], v[23:24]
	v_div_scale_f64 v[44:45], vcc_lo, v[23:24], v[25:26], v[23:24]
	s_mov_b32 s40, 0
	v_rcp_f64_e32 v[13:14], v[11:12]
	s_delay_alu instid0(TRANS32_DEP_1) | instskip(NEXT) | instid1(VALU_DEP_1)
	v_fma_f64 v[42:43], -v[11:12], v[13:14], 1.0
	v_fma_f64 v[13:14], v[13:14], v[42:43], v[13:14]
	s_delay_alu instid0(VALU_DEP_1) | instskip(NEXT) | instid1(VALU_DEP_1)
	v_fma_f64 v[42:43], -v[11:12], v[13:14], 1.0
	v_fma_f64 v[13:14], v[13:14], v[42:43], v[13:14]
	s_delay_alu instid0(VALU_DEP_1) | instskip(NEXT) | instid1(VALU_DEP_1)
	v_mul_f64_e32 v[42:43], v[44:45], v[13:14]
	v_fma_f64 v[11:12], -v[11:12], v[42:43], v[44:45]
	s_wait_alu 0xfffd
	s_delay_alu instid0(VALU_DEP_1) | instskip(NEXT) | instid1(VALU_DEP_1)
	v_div_fmas_f64 v[11:12], v[11:12], v[13:14], v[42:43]
	v_div_fixup_f64 v[11:12], v[11:12], v[25:26], v[23:24]
	s_delay_alu instid0(VALU_DEP_1) | instskip(NEXT) | instid1(VALU_DEP_1)
	v_fma_f64 v[13:14], v[23:24], v[11:12], v[25:26]
	v_div_scale_f64 v[42:43], null, v[13:14], v[13:14], 1.0
	v_div_scale_f64 v[48:49], vcc_lo, 1.0, v[13:14], 1.0
	s_delay_alu instid0(VALU_DEP_2) | instskip(NEXT) | instid1(TRANS32_DEP_1)
	v_rcp_f64_e32 v[44:45], v[42:43]
	v_fma_f64 v[46:47], -v[42:43], v[44:45], 1.0
	s_delay_alu instid0(VALU_DEP_1) | instskip(NEXT) | instid1(VALU_DEP_1)
	v_fma_f64 v[44:45], v[44:45], v[46:47], v[44:45]
	v_fma_f64 v[46:47], -v[42:43], v[44:45], 1.0
	s_delay_alu instid0(VALU_DEP_1) | instskip(NEXT) | instid1(VALU_DEP_1)
	v_fma_f64 v[44:45], v[44:45], v[46:47], v[44:45]
	v_mul_f64_e32 v[46:47], v[48:49], v[44:45]
	s_delay_alu instid0(VALU_DEP_1) | instskip(SKIP_1) | instid1(VALU_DEP_1)
	v_fma_f64 v[42:43], -v[42:43], v[46:47], v[48:49]
	s_wait_alu 0xfffd
	v_div_fmas_f64 v[42:43], v[42:43], v[44:45], v[46:47]
	v_fma_f64 v[44:45], v[19:20], v[11:12], v[21:22]
	s_delay_alu instid0(VALU_DEP_2) | instskip(SKIP_1) | instid1(VALU_DEP_2)
	v_div_fixup_f64 v[13:14], v[42:43], v[13:14], 1.0
	v_fma_f64 v[42:43], v[21:22], v[11:12], -v[19:20]
	v_mul_f64_e32 v[11:12], v[44:45], v[13:14]
	s_delay_alu instid0(VALU_DEP_2)
	v_mul_f64_e32 v[13:14], v[42:43], v[13:14]
.LBB218_20:                             ;   in Loop: Header=BB218_16 Depth=2
	s_wait_alu 0xfffe
	s_and_not1_b32 vcc_lo, exec_lo, s40
	s_wait_alu 0xfffe
	s_cbranch_vccnz .LBB218_22
; %bb.21:                               ;   in Loop: Header=BB218_16 Depth=2
	v_div_scale_f64 v[11:12], null, v[23:24], v[23:24], v[25:26]
	v_div_scale_f64 v[44:45], vcc_lo, v[25:26], v[23:24], v[25:26]
	s_delay_alu instid0(VALU_DEP_2) | instskip(NEXT) | instid1(TRANS32_DEP_1)
	v_rcp_f64_e32 v[13:14], v[11:12]
	v_fma_f64 v[42:43], -v[11:12], v[13:14], 1.0
	s_delay_alu instid0(VALU_DEP_1) | instskip(NEXT) | instid1(VALU_DEP_1)
	v_fma_f64 v[13:14], v[13:14], v[42:43], v[13:14]
	v_fma_f64 v[42:43], -v[11:12], v[13:14], 1.0
	s_delay_alu instid0(VALU_DEP_1) | instskip(NEXT) | instid1(VALU_DEP_1)
	v_fma_f64 v[13:14], v[13:14], v[42:43], v[13:14]
	v_mul_f64_e32 v[42:43], v[44:45], v[13:14]
	s_delay_alu instid0(VALU_DEP_1) | instskip(SKIP_1) | instid1(VALU_DEP_1)
	v_fma_f64 v[11:12], -v[11:12], v[42:43], v[44:45]
	s_wait_alu 0xfffd
	v_div_fmas_f64 v[11:12], v[11:12], v[13:14], v[42:43]
	s_delay_alu instid0(VALU_DEP_1) | instskip(NEXT) | instid1(VALU_DEP_1)
	v_div_fixup_f64 v[11:12], v[11:12], v[23:24], v[25:26]
	v_fma_f64 v[13:14], v[25:26], v[11:12], v[23:24]
	s_delay_alu instid0(VALU_DEP_1) | instskip(SKIP_1) | instid1(VALU_DEP_2)
	v_div_scale_f64 v[23:24], null, v[13:14], v[13:14], 1.0
	v_div_scale_f64 v[44:45], vcc_lo, 1.0, v[13:14], 1.0
	v_rcp_f64_e32 v[25:26], v[23:24]
	s_delay_alu instid0(TRANS32_DEP_1) | instskip(NEXT) | instid1(VALU_DEP_1)
	v_fma_f64 v[42:43], -v[23:24], v[25:26], 1.0
	v_fma_f64 v[25:26], v[25:26], v[42:43], v[25:26]
	s_delay_alu instid0(VALU_DEP_1) | instskip(NEXT) | instid1(VALU_DEP_1)
	v_fma_f64 v[42:43], -v[23:24], v[25:26], 1.0
	v_fma_f64 v[25:26], v[25:26], v[42:43], v[25:26]
	s_delay_alu instid0(VALU_DEP_1) | instskip(NEXT) | instid1(VALU_DEP_1)
	v_mul_f64_e32 v[42:43], v[44:45], v[25:26]
	v_fma_f64 v[23:24], -v[23:24], v[42:43], v[44:45]
	s_wait_alu 0xfffd
	s_delay_alu instid0(VALU_DEP_1) | instskip(SKIP_2) | instid1(VALU_DEP_3)
	v_div_fmas_f64 v[23:24], v[23:24], v[25:26], v[42:43]
	v_fma_f64 v[25:26], v[21:22], v[11:12], v[19:20]
	v_fma_f64 v[19:20], -v[19:20], v[11:12], v[21:22]
	v_div_fixup_f64 v[13:14], v[23:24], v[13:14], 1.0
	s_delay_alu instid0(VALU_DEP_1) | instskip(NEXT) | instid1(VALU_DEP_3)
	v_mul_f64_e32 v[11:12], v[25:26], v[13:14]
	v_mul_f64_e32 v[13:14], v[19:20], v[13:14]
.LBB218_22:                             ;   in Loop: Header=BB218_16 Depth=2
	s_sub_co_i32 s38, s38, s36
	s_wait_alu 0xfffe
	s_add_co_i32 s38, s38, s36
	s_wait_alu 0xfffe
	v_mov_b32_e32 v19, s38
	ds_load_b128 v[23:26], v19 offset:16
	ds_load_b128 v[19:22], v19 offset:272
	ds_store_b128 v41, v[11:14]
	s_wait_dscnt 0x2
	v_mul_f64_e32 v[42:43], v[13:14], v[25:26]
	v_mul_f64_e32 v[25:26], v[11:12], v[25:26]
	s_wait_dscnt 0x1
	v_cmp_ngt_f64_e64 s40, |v[19:20]|, |v[21:22]|
	s_delay_alu instid0(VALU_DEP_3) | instskip(NEXT) | instid1(VALU_DEP_3)
	v_fma_f64 v[42:43], v[11:12], v[23:24], -v[42:43]
	v_fma_f64 v[25:26], v[13:14], v[23:24], v[25:26]
	s_and_b32 vcc_lo, exec_lo, s40
	s_mov_b32 s40, -1
	s_delay_alu instid0(VALU_DEP_2) | instskip(NEXT) | instid1(VALU_DEP_2)
	v_add_f64_e64 v[23:24], v[15:16], -v[42:43]
	v_add_f64_e64 v[25:26], v[17:18], -v[25:26]
                                        ; implicit-def: $vgpr17_vgpr18
	s_wait_alu 0xfffe
	s_cbranch_vccz .LBB218_24
; %bb.23:                               ;   in Loop: Header=BB218_16 Depth=2
	v_div_scale_f64 v[15:16], null, v[21:22], v[21:22], v[19:20]
	v_div_scale_f64 v[43:44], vcc_lo, v[19:20], v[21:22], v[19:20]
	s_mov_b32 s40, 0
	v_rcp_f64_e32 v[17:18], v[15:16]
	s_delay_alu instid0(TRANS32_DEP_1) | instskip(NEXT) | instid1(VALU_DEP_1)
	v_fma_f64 v[41:42], -v[15:16], v[17:18], 1.0
	v_fma_f64 v[17:18], v[17:18], v[41:42], v[17:18]
	s_delay_alu instid0(VALU_DEP_1) | instskip(NEXT) | instid1(VALU_DEP_1)
	v_fma_f64 v[41:42], -v[15:16], v[17:18], 1.0
	v_fma_f64 v[17:18], v[17:18], v[41:42], v[17:18]
	s_delay_alu instid0(VALU_DEP_1) | instskip(NEXT) | instid1(VALU_DEP_1)
	v_mul_f64_e32 v[41:42], v[43:44], v[17:18]
	v_fma_f64 v[15:16], -v[15:16], v[41:42], v[43:44]
	s_wait_alu 0xfffd
	s_delay_alu instid0(VALU_DEP_1) | instskip(NEXT) | instid1(VALU_DEP_1)
	v_div_fmas_f64 v[15:16], v[15:16], v[17:18], v[41:42]
	v_div_fixup_f64 v[15:16], v[15:16], v[21:22], v[19:20]
	s_delay_alu instid0(VALU_DEP_1) | instskip(NEXT) | instid1(VALU_DEP_1)
	v_fma_f64 v[17:18], v[19:20], v[15:16], v[21:22]
	v_div_scale_f64 v[41:42], null, v[17:18], v[17:18], 1.0
	v_div_scale_f64 v[47:48], vcc_lo, 1.0, v[17:18], 1.0
	s_delay_alu instid0(VALU_DEP_2) | instskip(NEXT) | instid1(TRANS32_DEP_1)
	v_rcp_f64_e32 v[43:44], v[41:42]
	v_fma_f64 v[45:46], -v[41:42], v[43:44], 1.0
	s_delay_alu instid0(VALU_DEP_1) | instskip(NEXT) | instid1(VALU_DEP_1)
	v_fma_f64 v[43:44], v[43:44], v[45:46], v[43:44]
	v_fma_f64 v[45:46], -v[41:42], v[43:44], 1.0
	s_delay_alu instid0(VALU_DEP_1) | instskip(NEXT) | instid1(VALU_DEP_1)
	v_fma_f64 v[43:44], v[43:44], v[45:46], v[43:44]
	v_mul_f64_e32 v[45:46], v[47:48], v[43:44]
	s_delay_alu instid0(VALU_DEP_1) | instskip(SKIP_1) | instid1(VALU_DEP_1)
	v_fma_f64 v[41:42], -v[41:42], v[45:46], v[47:48]
	s_wait_alu 0xfffd
	v_div_fmas_f64 v[41:42], v[41:42], v[43:44], v[45:46]
	v_fma_f64 v[43:44], v[15:16], v[23:24], v[25:26]
	s_delay_alu instid0(VALU_DEP_2) | instskip(SKIP_1) | instid1(VALU_DEP_2)
	v_div_fixup_f64 v[17:18], v[41:42], v[17:18], 1.0
	v_fma_f64 v[41:42], v[15:16], v[25:26], -v[23:24]
	v_mul_f64_e32 v[15:16], v[43:44], v[17:18]
	s_delay_alu instid0(VALU_DEP_2)
	v_mul_f64_e32 v[17:18], v[41:42], v[17:18]
.LBB218_24:                             ;   in Loop: Header=BB218_16 Depth=2
	s_wait_alu 0xfffe
	s_and_not1_b32 vcc_lo, exec_lo, s40
	s_wait_alu 0xfffe
	s_cbranch_vccnz .LBB218_26
; %bb.25:                               ;   in Loop: Header=BB218_16 Depth=2
	v_div_scale_f64 v[15:16], null, v[19:20], v[19:20], v[21:22]
	v_div_scale_f64 v[43:44], vcc_lo, v[21:22], v[19:20], v[21:22]
	s_delay_alu instid0(VALU_DEP_2) | instskip(NEXT) | instid1(TRANS32_DEP_1)
	v_rcp_f64_e32 v[17:18], v[15:16]
	v_fma_f64 v[41:42], -v[15:16], v[17:18], 1.0
	s_delay_alu instid0(VALU_DEP_1) | instskip(NEXT) | instid1(VALU_DEP_1)
	v_fma_f64 v[17:18], v[17:18], v[41:42], v[17:18]
	v_fma_f64 v[41:42], -v[15:16], v[17:18], 1.0
	s_delay_alu instid0(VALU_DEP_1) | instskip(NEXT) | instid1(VALU_DEP_1)
	v_fma_f64 v[17:18], v[17:18], v[41:42], v[17:18]
	v_mul_f64_e32 v[41:42], v[43:44], v[17:18]
	s_delay_alu instid0(VALU_DEP_1) | instskip(SKIP_1) | instid1(VALU_DEP_1)
	v_fma_f64 v[15:16], -v[15:16], v[41:42], v[43:44]
	s_wait_alu 0xfffd
	v_div_fmas_f64 v[15:16], v[15:16], v[17:18], v[41:42]
	s_delay_alu instid0(VALU_DEP_1) | instskip(NEXT) | instid1(VALU_DEP_1)
	v_div_fixup_f64 v[15:16], v[15:16], v[19:20], v[21:22]
	v_fma_f64 v[17:18], v[21:22], v[15:16], v[19:20]
	s_delay_alu instid0(VALU_DEP_1) | instskip(SKIP_1) | instid1(VALU_DEP_2)
	v_div_scale_f64 v[19:20], null, v[17:18], v[17:18], 1.0
	v_div_scale_f64 v[43:44], vcc_lo, 1.0, v[17:18], 1.0
	v_rcp_f64_e32 v[21:22], v[19:20]
	s_delay_alu instid0(TRANS32_DEP_1) | instskip(NEXT) | instid1(VALU_DEP_1)
	v_fma_f64 v[41:42], -v[19:20], v[21:22], 1.0
	v_fma_f64 v[21:22], v[21:22], v[41:42], v[21:22]
	s_delay_alu instid0(VALU_DEP_1) | instskip(NEXT) | instid1(VALU_DEP_1)
	v_fma_f64 v[41:42], -v[19:20], v[21:22], 1.0
	v_fma_f64 v[21:22], v[21:22], v[41:42], v[21:22]
	s_delay_alu instid0(VALU_DEP_1) | instskip(NEXT) | instid1(VALU_DEP_1)
	v_mul_f64_e32 v[41:42], v[43:44], v[21:22]
	v_fma_f64 v[19:20], -v[19:20], v[41:42], v[43:44]
	s_wait_alu 0xfffd
	s_delay_alu instid0(VALU_DEP_1) | instskip(SKIP_1) | instid1(VALU_DEP_2)
	v_div_fmas_f64 v[19:20], v[19:20], v[21:22], v[41:42]
	v_fma_f64 v[21:22], v[15:16], v[25:26], v[23:24]
	v_div_fixup_f64 v[17:18], v[19:20], v[17:18], 1.0
	v_fma_f64 v[19:20], -v[15:16], v[23:24], v[25:26]
	s_delay_alu instid0(VALU_DEP_2) | instskip(NEXT) | instid1(VALU_DEP_2)
	v_mul_f64_e32 v[15:16], v[21:22], v[17:18]
	v_mul_f64_e32 v[17:18], v[19:20], v[17:18]
.LBB218_26:                             ;   in Loop: Header=BB218_16 Depth=2
	v_mov_b32_e32 v23, s38
	s_add_co_i32 s40, s38, 0x110
	ds_load_b128 v[19:22], v23 offset:32
	ds_load_b128 v[23:26], v23 offset:544
	s_wait_alu 0xfffe
	s_sub_co_i32 s39, s40, s39
	ds_store_b128 v40, v[15:18]
	s_wait_alu 0xfffe
	s_add_co_i32 s39, s39, s36
	s_wait_alu 0xfffe
	v_mov_b32_e32 v41, s39
	ds_load_b128 v[41:44], v41 offset:32
	s_wait_dscnt 0x3
	v_mul_f64_e32 v[45:46], v[13:14], v[21:22]
	v_mul_f64_e32 v[21:22], v[11:12], v[21:22]
	s_wait_dscnt 0x2
	v_cmp_ngt_f64_e64 s41, |v[23:24]|, |v[25:26]|
	s_wait_dscnt 0x0
	v_mul_f64_e32 v[47:48], v[17:18], v[43:44]
	v_mul_f64_e32 v[43:44], v[15:16], v[43:44]
	v_fma_f64 v[45:46], v[11:12], v[19:20], -v[45:46]
	v_fma_f64 v[19:20], v[13:14], v[19:20], v[21:22]
	s_and_b32 vcc_lo, exec_lo, s41
	s_mov_b32 s41, -1
	s_delay_alu instid0(VALU_DEP_4) | instskip(NEXT) | instid1(VALU_DEP_4)
	v_fma_f64 v[21:22], v[15:16], v[41:42], -v[47:48]
	v_fma_f64 v[41:42], v[17:18], v[41:42], v[43:44]
	s_delay_alu instid0(VALU_DEP_4) | instskip(NEXT) | instid1(VALU_DEP_4)
	v_add_f64_e64 v[7:8], v[7:8], -v[45:46]
	v_add_f64_e64 v[9:10], v[9:10], -v[19:20]
	s_delay_alu instid0(VALU_DEP_2) | instskip(NEXT) | instid1(VALU_DEP_2)
	v_add_f64_e64 v[7:8], v[7:8], -v[21:22]
	v_add_f64_e64 v[9:10], v[9:10], -v[41:42]
                                        ; implicit-def: $vgpr21_vgpr22
	s_wait_alu 0xfffe
	s_cbranch_vccz .LBB218_28
; %bb.27:                               ;   in Loop: Header=BB218_16 Depth=2
	v_div_scale_f64 v[19:20], null, v[25:26], v[25:26], v[23:24]
	v_div_scale_f64 v[42:43], vcc_lo, v[23:24], v[25:26], v[23:24]
	s_mov_b32 s41, 0
	v_rcp_f64_e32 v[21:22], v[19:20]
	s_delay_alu instid0(TRANS32_DEP_1) | instskip(NEXT) | instid1(VALU_DEP_1)
	v_fma_f64 v[40:41], -v[19:20], v[21:22], 1.0
	v_fma_f64 v[21:22], v[21:22], v[40:41], v[21:22]
	s_delay_alu instid0(VALU_DEP_1) | instskip(NEXT) | instid1(VALU_DEP_1)
	v_fma_f64 v[40:41], -v[19:20], v[21:22], 1.0
	v_fma_f64 v[21:22], v[21:22], v[40:41], v[21:22]
	s_delay_alu instid0(VALU_DEP_1) | instskip(NEXT) | instid1(VALU_DEP_1)
	v_mul_f64_e32 v[40:41], v[42:43], v[21:22]
	v_fma_f64 v[19:20], -v[19:20], v[40:41], v[42:43]
	s_wait_alu 0xfffd
	s_delay_alu instid0(VALU_DEP_1) | instskip(NEXT) | instid1(VALU_DEP_1)
	v_div_fmas_f64 v[19:20], v[19:20], v[21:22], v[40:41]
	v_div_fixup_f64 v[19:20], v[19:20], v[25:26], v[23:24]
	s_delay_alu instid0(VALU_DEP_1) | instskip(NEXT) | instid1(VALU_DEP_1)
	v_fma_f64 v[21:22], v[23:24], v[19:20], v[25:26]
	v_div_scale_f64 v[40:41], null, v[21:22], v[21:22], 1.0
	v_div_scale_f64 v[46:47], vcc_lo, 1.0, v[21:22], 1.0
	s_delay_alu instid0(VALU_DEP_2) | instskip(NEXT) | instid1(TRANS32_DEP_1)
	v_rcp_f64_e32 v[42:43], v[40:41]
	v_fma_f64 v[44:45], -v[40:41], v[42:43], 1.0
	s_delay_alu instid0(VALU_DEP_1) | instskip(NEXT) | instid1(VALU_DEP_1)
	v_fma_f64 v[42:43], v[42:43], v[44:45], v[42:43]
	v_fma_f64 v[44:45], -v[40:41], v[42:43], 1.0
	s_delay_alu instid0(VALU_DEP_1) | instskip(NEXT) | instid1(VALU_DEP_1)
	v_fma_f64 v[42:43], v[42:43], v[44:45], v[42:43]
	v_mul_f64_e32 v[44:45], v[46:47], v[42:43]
	s_delay_alu instid0(VALU_DEP_1) | instskip(SKIP_1) | instid1(VALU_DEP_1)
	v_fma_f64 v[40:41], -v[40:41], v[44:45], v[46:47]
	s_wait_alu 0xfffd
	v_div_fmas_f64 v[40:41], v[40:41], v[42:43], v[44:45]
	v_fma_f64 v[42:43], v[19:20], v[7:8], v[9:10]
	s_delay_alu instid0(VALU_DEP_2) | instskip(SKIP_1) | instid1(VALU_DEP_2)
	v_div_fixup_f64 v[21:22], v[40:41], v[21:22], 1.0
	v_fma_f64 v[40:41], v[19:20], v[9:10], -v[7:8]
	v_mul_f64_e32 v[19:20], v[42:43], v[21:22]
	s_delay_alu instid0(VALU_DEP_2)
	v_mul_f64_e32 v[21:22], v[40:41], v[21:22]
.LBB218_28:                             ;   in Loop: Header=BB218_16 Depth=2
	s_wait_alu 0xfffe
	s_and_not1_b32 vcc_lo, exec_lo, s41
	s_wait_alu 0xfffe
	s_cbranch_vccnz .LBB218_30
; %bb.29:                               ;   in Loop: Header=BB218_16 Depth=2
	v_div_scale_f64 v[19:20], null, v[23:24], v[23:24], v[25:26]
	v_div_scale_f64 v[42:43], vcc_lo, v[25:26], v[23:24], v[25:26]
	s_delay_alu instid0(VALU_DEP_2) | instskip(NEXT) | instid1(TRANS32_DEP_1)
	v_rcp_f64_e32 v[21:22], v[19:20]
	v_fma_f64 v[40:41], -v[19:20], v[21:22], 1.0
	s_delay_alu instid0(VALU_DEP_1) | instskip(NEXT) | instid1(VALU_DEP_1)
	v_fma_f64 v[21:22], v[21:22], v[40:41], v[21:22]
	v_fma_f64 v[40:41], -v[19:20], v[21:22], 1.0
	s_delay_alu instid0(VALU_DEP_1) | instskip(NEXT) | instid1(VALU_DEP_1)
	v_fma_f64 v[21:22], v[21:22], v[40:41], v[21:22]
	v_mul_f64_e32 v[40:41], v[42:43], v[21:22]
	s_delay_alu instid0(VALU_DEP_1) | instskip(SKIP_1) | instid1(VALU_DEP_1)
	v_fma_f64 v[19:20], -v[19:20], v[40:41], v[42:43]
	s_wait_alu 0xfffd
	v_div_fmas_f64 v[19:20], v[19:20], v[21:22], v[40:41]
	s_delay_alu instid0(VALU_DEP_1) | instskip(NEXT) | instid1(VALU_DEP_1)
	v_div_fixup_f64 v[19:20], v[19:20], v[23:24], v[25:26]
	v_fma_f64 v[21:22], v[25:26], v[19:20], v[23:24]
	s_delay_alu instid0(VALU_DEP_1) | instskip(SKIP_1) | instid1(VALU_DEP_2)
	v_div_scale_f64 v[23:24], null, v[21:22], v[21:22], 1.0
	v_div_scale_f64 v[42:43], vcc_lo, 1.0, v[21:22], 1.0
	v_rcp_f64_e32 v[25:26], v[23:24]
	s_delay_alu instid0(TRANS32_DEP_1) | instskip(NEXT) | instid1(VALU_DEP_1)
	v_fma_f64 v[40:41], -v[23:24], v[25:26], 1.0
	v_fma_f64 v[25:26], v[25:26], v[40:41], v[25:26]
	s_delay_alu instid0(VALU_DEP_1) | instskip(NEXT) | instid1(VALU_DEP_1)
	v_fma_f64 v[40:41], -v[23:24], v[25:26], 1.0
	v_fma_f64 v[25:26], v[25:26], v[40:41], v[25:26]
	s_delay_alu instid0(VALU_DEP_1) | instskip(NEXT) | instid1(VALU_DEP_1)
	v_mul_f64_e32 v[40:41], v[42:43], v[25:26]
	v_fma_f64 v[23:24], -v[23:24], v[40:41], v[42:43]
	s_wait_alu 0xfffd
	s_delay_alu instid0(VALU_DEP_1) | instskip(SKIP_2) | instid1(VALU_DEP_3)
	v_div_fmas_f64 v[23:24], v[23:24], v[25:26], v[40:41]
	v_fma_f64 v[25:26], v[19:20], v[9:10], v[7:8]
	v_fma_f64 v[7:8], -v[19:20], v[7:8], v[9:10]
	v_div_fixup_f64 v[21:22], v[23:24], v[21:22], 1.0
	s_delay_alu instid0(VALU_DEP_1) | instskip(NEXT) | instid1(VALU_DEP_3)
	v_mul_f64_e32 v[19:20], v[25:26], v[21:22]
	v_mul_f64_e32 v[21:22], v[7:8], v[21:22]
.LBB218_30:                             ;   in Loop: Header=BB218_16 Depth=2
	v_dual_mov_b32 v7, s38 :: v_dual_mov_b32 v40, s39
	s_sub_co_i32 s37, s40, s37
	ds_load_b128 v[23:26], v7 offset:48
	ds_load_b128 v[7:10], v7 offset:816
	;; [unrolled: 1-line block ×3, first 2 shown]
	s_wait_alu 0xfffe
	s_add_co_i32 s36, s37, s36
	ds_store_b128 v39, v[19:22]
	s_wait_alu 0xfffe
	v_mov_b32_e32 v44, s36
	ds_load_b128 v[44:47], v44 offset:320
	s_wait_dscnt 0x4
	v_mul_f64_e32 v[48:49], v[13:14], v[25:26]
	v_mul_f64_e32 v[25:26], v[11:12], v[25:26]
	s_wait_dscnt 0x2
	v_mul_f64_e32 v[50:51], v[17:18], v[42:43]
	v_mul_f64_e32 v[42:43], v[15:16], v[42:43]
	v_cmp_ngt_f64_e64 s36, |v[7:8]|, |v[9:10]|
	v_fma_f64 v[11:12], v[11:12], v[23:24], -v[48:49]
	v_fma_f64 v[13:14], v[13:14], v[23:24], v[25:26]
	s_wait_dscnt 0x0
	v_mul_f64_e32 v[23:24], v[21:22], v[46:47]
	v_mul_f64_e32 v[25:26], v[19:20], v[46:47]
	v_fma_f64 v[15:16], v[15:16], v[40:41], -v[50:51]
	v_fma_f64 v[17:18], v[17:18], v[40:41], v[42:43]
	s_and_b32 vcc_lo, exec_lo, s36
	s_mov_b32 s36, -1
	v_add_f64_e64 v[3:4], v[3:4], -v[11:12]
	v_add_f64_e64 v[5:6], v[5:6], -v[13:14]
	v_fma_f64 v[11:12], v[19:20], v[44:45], -v[23:24]
	v_fma_f64 v[13:14], v[21:22], v[44:45], v[25:26]
	s_delay_alu instid0(VALU_DEP_4) | instskip(NEXT) | instid1(VALU_DEP_4)
	v_add_f64_e64 v[3:4], v[3:4], -v[15:16]
	v_add_f64_e64 v[5:6], v[5:6], -v[17:18]
	s_delay_alu instid0(VALU_DEP_2) | instskip(NEXT) | instid1(VALU_DEP_2)
	v_add_f64_e64 v[11:12], v[3:4], -v[11:12]
	v_add_f64_e64 v[13:14], v[5:6], -v[13:14]
                                        ; implicit-def: $vgpr5_vgpr6
	s_wait_alu 0xfffe
	s_cbranch_vccz .LBB218_32
; %bb.31:                               ;   in Loop: Header=BB218_16 Depth=2
	v_div_scale_f64 v[3:4], null, v[9:10], v[9:10], v[7:8]
	v_div_scale_f64 v[17:18], vcc_lo, v[7:8], v[9:10], v[7:8]
	s_mov_b32 s36, 0
	v_rcp_f64_e32 v[5:6], v[3:4]
	s_delay_alu instid0(TRANS32_DEP_1) | instskip(NEXT) | instid1(VALU_DEP_1)
	v_fma_f64 v[15:16], -v[3:4], v[5:6], 1.0
	v_fma_f64 v[5:6], v[5:6], v[15:16], v[5:6]
	s_delay_alu instid0(VALU_DEP_1) | instskip(NEXT) | instid1(VALU_DEP_1)
	v_fma_f64 v[15:16], -v[3:4], v[5:6], 1.0
	v_fma_f64 v[5:6], v[5:6], v[15:16], v[5:6]
	s_delay_alu instid0(VALU_DEP_1) | instskip(NEXT) | instid1(VALU_DEP_1)
	v_mul_f64_e32 v[15:16], v[17:18], v[5:6]
	v_fma_f64 v[3:4], -v[3:4], v[15:16], v[17:18]
	s_wait_alu 0xfffd
	s_delay_alu instid0(VALU_DEP_1) | instskip(NEXT) | instid1(VALU_DEP_1)
	v_div_fmas_f64 v[3:4], v[3:4], v[5:6], v[15:16]
	v_div_fixup_f64 v[3:4], v[3:4], v[9:10], v[7:8]
	s_delay_alu instid0(VALU_DEP_1) | instskip(NEXT) | instid1(VALU_DEP_1)
	v_fma_f64 v[5:6], v[7:8], v[3:4], v[9:10]
	v_div_scale_f64 v[15:16], null, v[5:6], v[5:6], 1.0
	v_div_scale_f64 v[21:22], vcc_lo, 1.0, v[5:6], 1.0
	s_delay_alu instid0(VALU_DEP_2) | instskip(NEXT) | instid1(TRANS32_DEP_1)
	v_rcp_f64_e32 v[17:18], v[15:16]
	v_fma_f64 v[19:20], -v[15:16], v[17:18], 1.0
	s_delay_alu instid0(VALU_DEP_1) | instskip(NEXT) | instid1(VALU_DEP_1)
	v_fma_f64 v[17:18], v[17:18], v[19:20], v[17:18]
	v_fma_f64 v[19:20], -v[15:16], v[17:18], 1.0
	s_delay_alu instid0(VALU_DEP_1) | instskip(NEXT) | instid1(VALU_DEP_1)
	v_fma_f64 v[17:18], v[17:18], v[19:20], v[17:18]
	v_mul_f64_e32 v[19:20], v[21:22], v[17:18]
	s_delay_alu instid0(VALU_DEP_1) | instskip(SKIP_1) | instid1(VALU_DEP_1)
	v_fma_f64 v[15:16], -v[15:16], v[19:20], v[21:22]
	s_wait_alu 0xfffd
	v_div_fmas_f64 v[15:16], v[15:16], v[17:18], v[19:20]
	v_fma_f64 v[17:18], v[3:4], v[11:12], v[13:14]
	s_delay_alu instid0(VALU_DEP_2) | instskip(SKIP_1) | instid1(VALU_DEP_2)
	v_div_fixup_f64 v[5:6], v[15:16], v[5:6], 1.0
	v_fma_f64 v[15:16], v[3:4], v[13:14], -v[11:12]
	v_mul_f64_e32 v[3:4], v[17:18], v[5:6]
	s_delay_alu instid0(VALU_DEP_2)
	v_mul_f64_e32 v[5:6], v[15:16], v[5:6]
.LBB218_32:                             ;   in Loop: Header=BB218_16 Depth=2
	s_wait_alu 0xfffe
	s_and_not1_b32 vcc_lo, exec_lo, s36
	s_wait_alu 0xfffe
	s_cbranch_vccnz .LBB218_34
; %bb.33:                               ;   in Loop: Header=BB218_16 Depth=2
	v_div_scale_f64 v[3:4], null, v[7:8], v[7:8], v[9:10]
	v_div_scale_f64 v[17:18], vcc_lo, v[9:10], v[7:8], v[9:10]
	s_delay_alu instid0(VALU_DEP_2) | instskip(NEXT) | instid1(TRANS32_DEP_1)
	v_rcp_f64_e32 v[5:6], v[3:4]
	v_fma_f64 v[15:16], -v[3:4], v[5:6], 1.0
	s_delay_alu instid0(VALU_DEP_1) | instskip(NEXT) | instid1(VALU_DEP_1)
	v_fma_f64 v[5:6], v[5:6], v[15:16], v[5:6]
	v_fma_f64 v[15:16], -v[3:4], v[5:6], 1.0
	s_delay_alu instid0(VALU_DEP_1) | instskip(NEXT) | instid1(VALU_DEP_1)
	v_fma_f64 v[5:6], v[5:6], v[15:16], v[5:6]
	v_mul_f64_e32 v[15:16], v[17:18], v[5:6]
	s_delay_alu instid0(VALU_DEP_1) | instskip(SKIP_1) | instid1(VALU_DEP_1)
	v_fma_f64 v[3:4], -v[3:4], v[15:16], v[17:18]
	s_wait_alu 0xfffd
	v_div_fmas_f64 v[3:4], v[3:4], v[5:6], v[15:16]
	s_delay_alu instid0(VALU_DEP_1) | instskip(NEXT) | instid1(VALU_DEP_1)
	v_div_fixup_f64 v[3:4], v[3:4], v[7:8], v[9:10]
	v_fma_f64 v[5:6], v[9:10], v[3:4], v[7:8]
	s_delay_alu instid0(VALU_DEP_1) | instskip(SKIP_1) | instid1(VALU_DEP_2)
	v_div_scale_f64 v[7:8], null, v[5:6], v[5:6], 1.0
	v_div_scale_f64 v[17:18], vcc_lo, 1.0, v[5:6], 1.0
	v_rcp_f64_e32 v[9:10], v[7:8]
	s_delay_alu instid0(TRANS32_DEP_1) | instskip(NEXT) | instid1(VALU_DEP_1)
	v_fma_f64 v[15:16], -v[7:8], v[9:10], 1.0
	v_fma_f64 v[9:10], v[9:10], v[15:16], v[9:10]
	s_delay_alu instid0(VALU_DEP_1) | instskip(NEXT) | instid1(VALU_DEP_1)
	v_fma_f64 v[15:16], -v[7:8], v[9:10], 1.0
	v_fma_f64 v[9:10], v[9:10], v[15:16], v[9:10]
	s_delay_alu instid0(VALU_DEP_1) | instskip(NEXT) | instid1(VALU_DEP_1)
	v_mul_f64_e32 v[15:16], v[17:18], v[9:10]
	v_fma_f64 v[7:8], -v[7:8], v[15:16], v[17:18]
	s_wait_alu 0xfffd
	s_delay_alu instid0(VALU_DEP_1) | instskip(SKIP_1) | instid1(VALU_DEP_2)
	v_div_fmas_f64 v[7:8], v[7:8], v[9:10], v[15:16]
	v_fma_f64 v[9:10], v[3:4], v[13:14], v[11:12]
	v_div_fixup_f64 v[5:6], v[7:8], v[5:6], 1.0
	v_fma_f64 v[7:8], -v[3:4], v[11:12], v[13:14]
	s_delay_alu instid0(VALU_DEP_2) | instskip(NEXT) | instid1(VALU_DEP_2)
	v_mul_f64_e32 v[3:4], v[9:10], v[5:6]
	v_mul_f64_e32 v[5:6], v[7:8], v[5:6]
.LBB218_34:                             ;   in Loop: Header=BB218_16 Depth=2
	s_add_co_i32 s36, s19, 4
	s_add_co_i32 s19, s19, 7
	;; [unrolled: 1-line block ×3, first 2 shown]
	s_wait_alu 0xfffe
	s_cmp_ge_i32 s19, s28
	ds_store_b128 v38, v[3:6]
	s_cbranch_scc1 .LBB218_36
; %bb.35:                               ;   in Loop: Header=BB218_16 Depth=2
	s_mov_b32 s19, s36
	s_branch .LBB218_16
.LBB218_36:                             ;   in Loop: Header=BB218_3 Depth=1
	s_wait_alu 0xfffe
	s_cmp_ge_i32 s36, s28
	s_cbranch_scc1 .LBB218_45
; %bb.37:                               ;   in Loop: Header=BB218_3 Depth=1
	s_lshl_b32 s18, s36, 4
	s_branch .LBB218_39
.LBB218_38:                             ;   in Loop: Header=BB218_39 Depth=2
	s_add_co_i32 s36, s36, 1
	s_add_co_i32 s18, s18, 16
	s_wait_alu 0xfffe
	s_cmp_ge_i32 s36, s28
	ds_store_b128 v15, v[11:14]
	s_cbranch_scc1 .LBB218_45
.LBB218_39:                             ;   Parent Loop BB218_3 Depth=1
                                        ; =>  This Loop Header: Depth=2
                                        ;       Child Loop BB218_40 Depth 3
	s_lshl_b32 s19, s36, 8
	v_mov_b32_e32 v7, v30
	s_wait_alu 0xfffe
	v_add_nc_u32_e32 v15, s19, v30
	s_cmp_eq_u32 s36, 0
	s_mov_b32 s37, s18
	s_mov_b32 s38, s36
	ds_load_b128 v[3:6], v15
	s_cbranch_scc1 .LBB218_41
.LBB218_40:                             ;   Parent Loop BB218_3 Depth=1
                                        ;     Parent Loop BB218_39 Depth=2
                                        ; =>    This Inner Loop Header: Depth=3
	s_wait_alu 0xfffe
	v_mov_b32_e32 v12, s37
	s_add_co_i32 s38, s38, -1
	s_addk_co_i32 s37, 0x100
	s_wait_alu 0xfffe
	s_cmp_eq_u32 s38, 0
	ds_load_b128 v[8:11], v7
	ds_load_b128 v[16:19], v12
	v_add_nc_u32_e32 v7, 0x100, v7
	s_wait_dscnt 0x0
	v_mul_f64_e32 v[12:13], v[18:19], v[10:11]
	v_mul_f64_e32 v[10:11], v[16:17], v[10:11]
	s_delay_alu instid0(VALU_DEP_2) | instskip(NEXT) | instid1(VALU_DEP_2)
	v_fma_f64 v[12:13], v[16:17], v[8:9], -v[12:13]
	v_fma_f64 v[8:9], v[18:19], v[8:9], v[10:11]
	s_delay_alu instid0(VALU_DEP_2) | instskip(NEXT) | instid1(VALU_DEP_2)
	v_add_f64_e64 v[3:4], v[3:4], -v[12:13]
	v_add_f64_e64 v[5:6], v[5:6], -v[8:9]
	s_cbranch_scc0 .LBB218_40
.LBB218_41:                             ;   in Loop: Header=BB218_39 Depth=2
	s_lshl_b32 s37, s36, 4
                                        ; implicit-def: $vgpr11_vgpr12
	s_wait_alu 0xfffe
	s_add_co_i32 s19, s37, s19
	s_wait_alu 0xfffe
	v_mov_b32_e32 v7, s19
	ds_load_b128 v[7:10], v7
	s_wait_dscnt 0x0
	v_cmp_ngt_f64_e64 s19, |v[7:8]|, |v[9:10]|
	s_and_b32 vcc_lo, exec_lo, s19
	s_mov_b32 s19, -1
	s_wait_alu 0xfffe
	s_cbranch_vccz .LBB218_43
; %bb.42:                               ;   in Loop: Header=BB218_39 Depth=2
	v_div_scale_f64 v[11:12], null, v[9:10], v[9:10], v[7:8]
	v_div_scale_f64 v[18:19], vcc_lo, v[7:8], v[9:10], v[7:8]
	s_mov_b32 s19, 0
	v_rcp_f64_e32 v[13:14], v[11:12]
	s_delay_alu instid0(TRANS32_DEP_1) | instskip(NEXT) | instid1(VALU_DEP_1)
	v_fma_f64 v[16:17], -v[11:12], v[13:14], 1.0
	v_fma_f64 v[13:14], v[13:14], v[16:17], v[13:14]
	s_delay_alu instid0(VALU_DEP_1) | instskip(NEXT) | instid1(VALU_DEP_1)
	v_fma_f64 v[16:17], -v[11:12], v[13:14], 1.0
	v_fma_f64 v[13:14], v[13:14], v[16:17], v[13:14]
	s_delay_alu instid0(VALU_DEP_1) | instskip(NEXT) | instid1(VALU_DEP_1)
	v_mul_f64_e32 v[16:17], v[18:19], v[13:14]
	v_fma_f64 v[11:12], -v[11:12], v[16:17], v[18:19]
	s_wait_alu 0xfffd
	s_delay_alu instid0(VALU_DEP_1) | instskip(NEXT) | instid1(VALU_DEP_1)
	v_div_fmas_f64 v[11:12], v[11:12], v[13:14], v[16:17]
	v_div_fixup_f64 v[11:12], v[11:12], v[9:10], v[7:8]
	s_delay_alu instid0(VALU_DEP_1) | instskip(NEXT) | instid1(VALU_DEP_1)
	v_fma_f64 v[13:14], v[7:8], v[11:12], v[9:10]
	v_div_scale_f64 v[16:17], null, v[13:14], v[13:14], 1.0
	v_div_scale_f64 v[22:23], vcc_lo, 1.0, v[13:14], 1.0
	s_delay_alu instid0(VALU_DEP_2) | instskip(NEXT) | instid1(TRANS32_DEP_1)
	v_rcp_f64_e32 v[18:19], v[16:17]
	v_fma_f64 v[20:21], -v[16:17], v[18:19], 1.0
	s_delay_alu instid0(VALU_DEP_1) | instskip(NEXT) | instid1(VALU_DEP_1)
	v_fma_f64 v[18:19], v[18:19], v[20:21], v[18:19]
	v_fma_f64 v[20:21], -v[16:17], v[18:19], 1.0
	s_delay_alu instid0(VALU_DEP_1) | instskip(NEXT) | instid1(VALU_DEP_1)
	v_fma_f64 v[18:19], v[18:19], v[20:21], v[18:19]
	v_mul_f64_e32 v[20:21], v[22:23], v[18:19]
	s_delay_alu instid0(VALU_DEP_1) | instskip(SKIP_1) | instid1(VALU_DEP_1)
	v_fma_f64 v[16:17], -v[16:17], v[20:21], v[22:23]
	s_wait_alu 0xfffd
	v_div_fmas_f64 v[16:17], v[16:17], v[18:19], v[20:21]
	v_fma_f64 v[18:19], v[3:4], v[11:12], v[5:6]
	s_delay_alu instid0(VALU_DEP_2) | instskip(SKIP_1) | instid1(VALU_DEP_2)
	v_div_fixup_f64 v[13:14], v[16:17], v[13:14], 1.0
	v_fma_f64 v[16:17], v[5:6], v[11:12], -v[3:4]
	v_mul_f64_e32 v[11:12], v[18:19], v[13:14]
	s_delay_alu instid0(VALU_DEP_2)
	v_mul_f64_e32 v[13:14], v[16:17], v[13:14]
.LBB218_43:                             ;   in Loop: Header=BB218_39 Depth=2
	s_wait_alu 0xfffe
	s_and_not1_b32 vcc_lo, exec_lo, s19
	s_wait_alu 0xfffe
	s_cbranch_vccnz .LBB218_38
; %bb.44:                               ;   in Loop: Header=BB218_39 Depth=2
	v_div_scale_f64 v[11:12], null, v[7:8], v[7:8], v[9:10]
	v_div_scale_f64 v[18:19], vcc_lo, v[9:10], v[7:8], v[9:10]
	s_delay_alu instid0(VALU_DEP_2) | instskip(NEXT) | instid1(TRANS32_DEP_1)
	v_rcp_f64_e32 v[13:14], v[11:12]
	v_fma_f64 v[16:17], -v[11:12], v[13:14], 1.0
	s_delay_alu instid0(VALU_DEP_1) | instskip(NEXT) | instid1(VALU_DEP_1)
	v_fma_f64 v[13:14], v[13:14], v[16:17], v[13:14]
	v_fma_f64 v[16:17], -v[11:12], v[13:14], 1.0
	s_delay_alu instid0(VALU_DEP_1) | instskip(NEXT) | instid1(VALU_DEP_1)
	v_fma_f64 v[13:14], v[13:14], v[16:17], v[13:14]
	v_mul_f64_e32 v[16:17], v[18:19], v[13:14]
	s_delay_alu instid0(VALU_DEP_1) | instskip(SKIP_1) | instid1(VALU_DEP_1)
	v_fma_f64 v[11:12], -v[11:12], v[16:17], v[18:19]
	s_wait_alu 0xfffd
	v_div_fmas_f64 v[11:12], v[11:12], v[13:14], v[16:17]
	s_delay_alu instid0(VALU_DEP_1) | instskip(NEXT) | instid1(VALU_DEP_1)
	v_div_fixup_f64 v[11:12], v[11:12], v[7:8], v[9:10]
	v_fma_f64 v[7:8], v[9:10], v[11:12], v[7:8]
	s_delay_alu instid0(VALU_DEP_1) | instskip(SKIP_1) | instid1(VALU_DEP_2)
	v_div_scale_f64 v[9:10], null, v[7:8], v[7:8], 1.0
	v_div_scale_f64 v[18:19], vcc_lo, 1.0, v[7:8], 1.0
	v_rcp_f64_e32 v[13:14], v[9:10]
	s_delay_alu instid0(TRANS32_DEP_1) | instskip(NEXT) | instid1(VALU_DEP_1)
	v_fma_f64 v[16:17], -v[9:10], v[13:14], 1.0
	v_fma_f64 v[13:14], v[13:14], v[16:17], v[13:14]
	s_delay_alu instid0(VALU_DEP_1) | instskip(NEXT) | instid1(VALU_DEP_1)
	v_fma_f64 v[16:17], -v[9:10], v[13:14], 1.0
	v_fma_f64 v[13:14], v[13:14], v[16:17], v[13:14]
	s_delay_alu instid0(VALU_DEP_1) | instskip(NEXT) | instid1(VALU_DEP_1)
	v_mul_f64_e32 v[16:17], v[18:19], v[13:14]
	v_fma_f64 v[9:10], -v[9:10], v[16:17], v[18:19]
	s_wait_alu 0xfffd
	s_delay_alu instid0(VALU_DEP_1) | instskip(SKIP_2) | instid1(VALU_DEP_3)
	v_div_fmas_f64 v[9:10], v[9:10], v[13:14], v[16:17]
	v_fma_f64 v[13:14], v[5:6], v[11:12], v[3:4]
	v_fma_f64 v[3:4], -v[3:4], v[11:12], v[5:6]
	v_div_fixup_f64 v[7:8], v[9:10], v[7:8], 1.0
	s_delay_alu instid0(VALU_DEP_1) | instskip(NEXT) | instid1(VALU_DEP_3)
	v_mul_f64_e32 v[11:12], v[13:14], v[7:8]
	v_mul_f64_e32 v[13:14], v[3:4], v[7:8]
	s_branch .LBB218_38
.LBB218_45:                             ;   in Loop: Header=BB218_3 Depth=1
	s_mov_b32 s18, 0
.LBB218_46:                             ;   in Loop: Header=BB218_3 Depth=1
	s_wait_alu 0xfffe
	s_and_b32 vcc_lo, exec_lo, s18
	s_wait_alu 0xfffe
	s_cbranch_vccz .LBB218_78
; %bb.47:                               ;   in Loop: Header=BB218_3 Depth=1
	s_mov_b32 s36, s29
	s_and_not1_b32 vcc_lo, exec_lo, s34
	s_mov_b32 s18, s22
	s_mov_b32 s19, s29
	s_wait_alu 0xfffe
	s_cbranch_vccnz .LBB218_69
.LBB218_48:                             ;   Parent Loop BB218_3 Depth=1
                                        ; =>  This Loop Header: Depth=2
                                        ;       Child Loop BB218_49 Depth 3
	s_wait_alu 0xfffe
	s_add_co_i32 s40, s19, -1
	s_add_co_i32 s36, s19, -3
	v_lshl_add_u32 v41, s19, 8, v30
	s_add_co_i32 s37, s19, -2
	s_wait_alu 0xfffe
	v_lshl_add_u32 v40, s40, 8, v30
	s_lshl_b32 s38, s36, 8
	v_lshl_add_u32 v39, s37, 8, v30
	s_wait_alu 0xfffe
	v_dual_mov_b32 v11, v36 :: v_dual_add_nc_u32 v38, s38, v30
	ds_load_b128 v[19:22], v41
	ds_load_b128 v[15:18], v40
	;; [unrolled: 1-line block ×4, first 2 shown]
	s_cmp_le_i32 s29, s19
	s_mov_b32 s38, s18
	s_mov_b32 s39, s29
	s_cbranch_scc1 .LBB218_50
.LBB218_49:                             ;   Parent Loop BB218_3 Depth=1
                                        ;     Parent Loop BB218_48 Depth=2
                                        ; =>    This Inner Loop Header: Depth=3
	s_wait_alu 0xfffe
	v_mov_b32_e32 v12, s38
	s_add_co_i32 s39, s39, -1
	s_addk_co_i32 s38, 0xff00
	s_wait_alu 0xfffe
	s_cmp_le_i32 s39, s19
	ds_load_b128 v[23:26], v11
	ds_load_b128 v[42:45], v12 offset:48
	ds_load_b128 v[46:49], v12 offset:32
	;; [unrolled: 1-line block ×3, first 2 shown]
	ds_load_b128 v[54:57], v12
	v_add_nc_u32_e32 v11, 0xffffff00, v11
	s_wait_dscnt 0x3
	v_mul_f64_e32 v[12:13], v[25:26], v[44:45]
	v_mul_f64_e32 v[44:45], v[23:24], v[44:45]
	s_wait_dscnt 0x2
	v_mul_f64_e32 v[58:59], v[25:26], v[48:49]
	v_mul_f64_e32 v[48:49], v[23:24], v[48:49]
	;; [unrolled: 3-line block ×4, first 2 shown]
	v_fma_f64 v[12:13], v[23:24], v[42:43], -v[12:13]
	v_fma_f64 v[42:43], v[25:26], v[42:43], v[44:45]
	v_fma_f64 v[44:45], v[23:24], v[46:47], -v[58:59]
	v_fma_f64 v[46:47], v[25:26], v[46:47], v[48:49]
	;; [unrolled: 2-line block ×4, first 2 shown]
	v_add_f64_e64 v[19:20], v[19:20], -v[12:13]
	v_add_f64_e64 v[21:22], v[21:22], -v[42:43]
	;; [unrolled: 1-line block ×8, first 2 shown]
	s_cbranch_scc0 .LBB218_49
.LBB218_50:                             ;   in Loop: Header=BB218_48 Depth=2
	s_lshl_b32 s42, s40, 4
	s_lshl_b32 s38, s37, 4
; %bb.51:                               ;   in Loop: Header=BB218_48 Depth=2
	s_lshl_b32 s41, s19, 4
	s_lshl_b32 s39, s19, 8
	s_wait_alu 0xfffe
	s_add_co_i32 s39, s41, s39
	s_wait_alu 0xfffe
	v_mov_b32_e32 v11, s39
	ds_load_b128 v[23:26], v11
                                        ; implicit-def: $vgpr13_vgpr14
	s_wait_dscnt 0x0
	v_cmp_ngt_f64_e64 s43, |v[23:24]|, |v[25:26]|
	s_and_b32 vcc_lo, exec_lo, s43
	s_mov_b32 s43, -1
	s_wait_alu 0xfffe
	s_cbranch_vccz .LBB218_53
; %bb.52:                               ;   in Loop: Header=BB218_48 Depth=2
	v_div_scale_f64 v[11:12], null, v[25:26], v[25:26], v[23:24]
	v_div_scale_f64 v[44:45], vcc_lo, v[23:24], v[25:26], v[23:24]
	s_mov_b32 s43, 0
	v_rcp_f64_e32 v[13:14], v[11:12]
	s_delay_alu instid0(TRANS32_DEP_1) | instskip(NEXT) | instid1(VALU_DEP_1)
	v_fma_f64 v[42:43], -v[11:12], v[13:14], 1.0
	v_fma_f64 v[13:14], v[13:14], v[42:43], v[13:14]
	s_delay_alu instid0(VALU_DEP_1) | instskip(NEXT) | instid1(VALU_DEP_1)
	v_fma_f64 v[42:43], -v[11:12], v[13:14], 1.0
	v_fma_f64 v[13:14], v[13:14], v[42:43], v[13:14]
	s_delay_alu instid0(VALU_DEP_1) | instskip(NEXT) | instid1(VALU_DEP_1)
	v_mul_f64_e32 v[42:43], v[44:45], v[13:14]
	v_fma_f64 v[11:12], -v[11:12], v[42:43], v[44:45]
	s_wait_alu 0xfffd
	s_delay_alu instid0(VALU_DEP_1) | instskip(NEXT) | instid1(VALU_DEP_1)
	v_div_fmas_f64 v[11:12], v[11:12], v[13:14], v[42:43]
	v_div_fixup_f64 v[11:12], v[11:12], v[25:26], v[23:24]
	s_delay_alu instid0(VALU_DEP_1) | instskip(NEXT) | instid1(VALU_DEP_1)
	v_fma_f64 v[13:14], v[23:24], v[11:12], v[25:26]
	v_div_scale_f64 v[42:43], null, v[13:14], v[13:14], 1.0
	v_div_scale_f64 v[48:49], vcc_lo, 1.0, v[13:14], 1.0
	s_delay_alu instid0(VALU_DEP_2) | instskip(NEXT) | instid1(TRANS32_DEP_1)
	v_rcp_f64_e32 v[44:45], v[42:43]
	v_fma_f64 v[46:47], -v[42:43], v[44:45], 1.0
	s_delay_alu instid0(VALU_DEP_1) | instskip(NEXT) | instid1(VALU_DEP_1)
	v_fma_f64 v[44:45], v[44:45], v[46:47], v[44:45]
	v_fma_f64 v[46:47], -v[42:43], v[44:45], 1.0
	s_delay_alu instid0(VALU_DEP_1) | instskip(NEXT) | instid1(VALU_DEP_1)
	v_fma_f64 v[44:45], v[44:45], v[46:47], v[44:45]
	v_mul_f64_e32 v[46:47], v[48:49], v[44:45]
	s_delay_alu instid0(VALU_DEP_1) | instskip(SKIP_1) | instid1(VALU_DEP_1)
	v_fma_f64 v[42:43], -v[42:43], v[46:47], v[48:49]
	s_wait_alu 0xfffd
	v_div_fmas_f64 v[42:43], v[42:43], v[44:45], v[46:47]
	v_fma_f64 v[44:45], v[19:20], v[11:12], v[21:22]
	s_delay_alu instid0(VALU_DEP_2) | instskip(SKIP_1) | instid1(VALU_DEP_2)
	v_div_fixup_f64 v[13:14], v[42:43], v[13:14], 1.0
	v_fma_f64 v[42:43], v[21:22], v[11:12], -v[19:20]
	v_mul_f64_e32 v[11:12], v[44:45], v[13:14]
	s_delay_alu instid0(VALU_DEP_2)
	v_mul_f64_e32 v[13:14], v[42:43], v[13:14]
.LBB218_53:                             ;   in Loop: Header=BB218_48 Depth=2
	s_wait_alu 0xfffe
	s_and_not1_b32 vcc_lo, exec_lo, s43
	s_wait_alu 0xfffe
	s_cbranch_vccnz .LBB218_55
; %bb.54:                               ;   in Loop: Header=BB218_48 Depth=2
	v_div_scale_f64 v[11:12], null, v[23:24], v[23:24], v[25:26]
	v_div_scale_f64 v[44:45], vcc_lo, v[25:26], v[23:24], v[25:26]
	s_delay_alu instid0(VALU_DEP_2) | instskip(NEXT) | instid1(TRANS32_DEP_1)
	v_rcp_f64_e32 v[13:14], v[11:12]
	v_fma_f64 v[42:43], -v[11:12], v[13:14], 1.0
	s_delay_alu instid0(VALU_DEP_1) | instskip(NEXT) | instid1(VALU_DEP_1)
	v_fma_f64 v[13:14], v[13:14], v[42:43], v[13:14]
	v_fma_f64 v[42:43], -v[11:12], v[13:14], 1.0
	s_delay_alu instid0(VALU_DEP_1) | instskip(NEXT) | instid1(VALU_DEP_1)
	v_fma_f64 v[13:14], v[13:14], v[42:43], v[13:14]
	v_mul_f64_e32 v[42:43], v[44:45], v[13:14]
	s_delay_alu instid0(VALU_DEP_1) | instskip(SKIP_1) | instid1(VALU_DEP_1)
	v_fma_f64 v[11:12], -v[11:12], v[42:43], v[44:45]
	s_wait_alu 0xfffd
	v_div_fmas_f64 v[11:12], v[11:12], v[13:14], v[42:43]
	s_delay_alu instid0(VALU_DEP_1) | instskip(NEXT) | instid1(VALU_DEP_1)
	v_div_fixup_f64 v[11:12], v[11:12], v[23:24], v[25:26]
	v_fma_f64 v[13:14], v[25:26], v[11:12], v[23:24]
	s_delay_alu instid0(VALU_DEP_1) | instskip(SKIP_1) | instid1(VALU_DEP_2)
	v_div_scale_f64 v[23:24], null, v[13:14], v[13:14], 1.0
	v_div_scale_f64 v[44:45], vcc_lo, 1.0, v[13:14], 1.0
	v_rcp_f64_e32 v[25:26], v[23:24]
	s_delay_alu instid0(TRANS32_DEP_1) | instskip(NEXT) | instid1(VALU_DEP_1)
	v_fma_f64 v[42:43], -v[23:24], v[25:26], 1.0
	v_fma_f64 v[25:26], v[25:26], v[42:43], v[25:26]
	s_delay_alu instid0(VALU_DEP_1) | instskip(NEXT) | instid1(VALU_DEP_1)
	v_fma_f64 v[42:43], -v[23:24], v[25:26], 1.0
	v_fma_f64 v[25:26], v[25:26], v[42:43], v[25:26]
	s_delay_alu instid0(VALU_DEP_1) | instskip(NEXT) | instid1(VALU_DEP_1)
	v_mul_f64_e32 v[42:43], v[44:45], v[25:26]
	v_fma_f64 v[23:24], -v[23:24], v[42:43], v[44:45]
	s_wait_alu 0xfffd
	s_delay_alu instid0(VALU_DEP_1) | instskip(SKIP_2) | instid1(VALU_DEP_3)
	v_div_fmas_f64 v[23:24], v[23:24], v[25:26], v[42:43]
	v_fma_f64 v[25:26], v[21:22], v[11:12], v[19:20]
	v_fma_f64 v[19:20], -v[19:20], v[11:12], v[21:22]
	v_div_fixup_f64 v[13:14], v[23:24], v[13:14], 1.0
	s_delay_alu instid0(VALU_DEP_1) | instskip(NEXT) | instid1(VALU_DEP_3)
	v_mul_f64_e32 v[11:12], v[25:26], v[13:14]
	v_mul_f64_e32 v[13:14], v[19:20], v[13:14]
.LBB218_55:                             ;   in Loop: Header=BB218_48 Depth=2
	s_add_co_i32 s43, s39, -16
	s_lshl_b32 s40, s40, 8
	s_wait_alu 0xfffe
	v_mov_b32_e32 v19, s43
	s_add_co_i32 s40, s41, s40
	ds_store_b128 v41, v[11:14]
	s_wait_alu 0xfffe
	s_add_co_i32 s40, s40, -16
	ds_load_b128 v[23:26], v19
	s_wait_alu 0xfffe
	v_mov_b32_e32 v19, s40
	ds_load_b128 v[19:22], v19
	s_wait_dscnt 0x1
	v_mul_f64_e32 v[42:43], v[13:14], v[25:26]
	v_mul_f64_e32 v[25:26], v[11:12], v[25:26]
	s_wait_dscnt 0x0
	v_cmp_ngt_f64_e64 s43, |v[19:20]|, |v[21:22]|
	s_delay_alu instid0(VALU_DEP_3) | instskip(NEXT) | instid1(VALU_DEP_3)
	v_fma_f64 v[42:43], v[11:12], v[23:24], -v[42:43]
	v_fma_f64 v[25:26], v[13:14], v[23:24], v[25:26]
	s_and_b32 vcc_lo, exec_lo, s43
	s_mov_b32 s43, -1
	s_delay_alu instid0(VALU_DEP_2) | instskip(NEXT) | instid1(VALU_DEP_2)
	v_add_f64_e64 v[23:24], v[15:16], -v[42:43]
	v_add_f64_e64 v[25:26], v[17:18], -v[25:26]
                                        ; implicit-def: $vgpr17_vgpr18
	s_wait_alu 0xfffe
	s_cbranch_vccz .LBB218_57
; %bb.56:                               ;   in Loop: Header=BB218_48 Depth=2
	v_div_scale_f64 v[15:16], null, v[21:22], v[21:22], v[19:20]
	v_div_scale_f64 v[43:44], vcc_lo, v[19:20], v[21:22], v[19:20]
	s_mov_b32 s43, 0
	v_rcp_f64_e32 v[17:18], v[15:16]
	s_delay_alu instid0(TRANS32_DEP_1) | instskip(NEXT) | instid1(VALU_DEP_1)
	v_fma_f64 v[41:42], -v[15:16], v[17:18], 1.0
	v_fma_f64 v[17:18], v[17:18], v[41:42], v[17:18]
	s_delay_alu instid0(VALU_DEP_1) | instskip(NEXT) | instid1(VALU_DEP_1)
	v_fma_f64 v[41:42], -v[15:16], v[17:18], 1.0
	v_fma_f64 v[17:18], v[17:18], v[41:42], v[17:18]
	s_delay_alu instid0(VALU_DEP_1) | instskip(NEXT) | instid1(VALU_DEP_1)
	v_mul_f64_e32 v[41:42], v[43:44], v[17:18]
	v_fma_f64 v[15:16], -v[15:16], v[41:42], v[43:44]
	s_wait_alu 0xfffd
	s_delay_alu instid0(VALU_DEP_1) | instskip(NEXT) | instid1(VALU_DEP_1)
	v_div_fmas_f64 v[15:16], v[15:16], v[17:18], v[41:42]
	v_div_fixup_f64 v[15:16], v[15:16], v[21:22], v[19:20]
	s_delay_alu instid0(VALU_DEP_1) | instskip(NEXT) | instid1(VALU_DEP_1)
	v_fma_f64 v[17:18], v[19:20], v[15:16], v[21:22]
	v_div_scale_f64 v[41:42], null, v[17:18], v[17:18], 1.0
	v_div_scale_f64 v[47:48], vcc_lo, 1.0, v[17:18], 1.0
	s_delay_alu instid0(VALU_DEP_2) | instskip(NEXT) | instid1(TRANS32_DEP_1)
	v_rcp_f64_e32 v[43:44], v[41:42]
	v_fma_f64 v[45:46], -v[41:42], v[43:44], 1.0
	s_delay_alu instid0(VALU_DEP_1) | instskip(NEXT) | instid1(VALU_DEP_1)
	v_fma_f64 v[43:44], v[43:44], v[45:46], v[43:44]
	v_fma_f64 v[45:46], -v[41:42], v[43:44], 1.0
	s_delay_alu instid0(VALU_DEP_1) | instskip(NEXT) | instid1(VALU_DEP_1)
	v_fma_f64 v[43:44], v[43:44], v[45:46], v[43:44]
	v_mul_f64_e32 v[45:46], v[47:48], v[43:44]
	s_delay_alu instid0(VALU_DEP_1) | instskip(SKIP_1) | instid1(VALU_DEP_1)
	v_fma_f64 v[41:42], -v[41:42], v[45:46], v[47:48]
	s_wait_alu 0xfffd
	v_div_fmas_f64 v[41:42], v[41:42], v[43:44], v[45:46]
	v_fma_f64 v[43:44], v[15:16], v[23:24], v[25:26]
	s_delay_alu instid0(VALU_DEP_2) | instskip(SKIP_1) | instid1(VALU_DEP_2)
	v_div_fixup_f64 v[17:18], v[41:42], v[17:18], 1.0
	v_fma_f64 v[41:42], v[15:16], v[25:26], -v[23:24]
	v_mul_f64_e32 v[15:16], v[43:44], v[17:18]
	s_delay_alu instid0(VALU_DEP_2)
	v_mul_f64_e32 v[17:18], v[41:42], v[17:18]
.LBB218_57:                             ;   in Loop: Header=BB218_48 Depth=2
	s_wait_alu 0xfffe
	s_and_not1_b32 vcc_lo, exec_lo, s43
	s_wait_alu 0xfffe
	s_cbranch_vccnz .LBB218_59
; %bb.58:                               ;   in Loop: Header=BB218_48 Depth=2
	v_div_scale_f64 v[15:16], null, v[19:20], v[19:20], v[21:22]
	v_div_scale_f64 v[43:44], vcc_lo, v[21:22], v[19:20], v[21:22]
	s_delay_alu instid0(VALU_DEP_2) | instskip(NEXT) | instid1(TRANS32_DEP_1)
	v_rcp_f64_e32 v[17:18], v[15:16]
	v_fma_f64 v[41:42], -v[15:16], v[17:18], 1.0
	s_delay_alu instid0(VALU_DEP_1) | instskip(NEXT) | instid1(VALU_DEP_1)
	v_fma_f64 v[17:18], v[17:18], v[41:42], v[17:18]
	v_fma_f64 v[41:42], -v[15:16], v[17:18], 1.0
	s_delay_alu instid0(VALU_DEP_1) | instskip(NEXT) | instid1(VALU_DEP_1)
	v_fma_f64 v[17:18], v[17:18], v[41:42], v[17:18]
	v_mul_f64_e32 v[41:42], v[43:44], v[17:18]
	s_delay_alu instid0(VALU_DEP_1) | instskip(SKIP_1) | instid1(VALU_DEP_1)
	v_fma_f64 v[15:16], -v[15:16], v[41:42], v[43:44]
	s_wait_alu 0xfffd
	v_div_fmas_f64 v[15:16], v[15:16], v[17:18], v[41:42]
	s_delay_alu instid0(VALU_DEP_1) | instskip(NEXT) | instid1(VALU_DEP_1)
	v_div_fixup_f64 v[15:16], v[15:16], v[19:20], v[21:22]
	v_fma_f64 v[17:18], v[21:22], v[15:16], v[19:20]
	s_delay_alu instid0(VALU_DEP_1) | instskip(SKIP_1) | instid1(VALU_DEP_2)
	v_div_scale_f64 v[19:20], null, v[17:18], v[17:18], 1.0
	v_div_scale_f64 v[43:44], vcc_lo, 1.0, v[17:18], 1.0
	v_rcp_f64_e32 v[21:22], v[19:20]
	s_delay_alu instid0(TRANS32_DEP_1) | instskip(NEXT) | instid1(VALU_DEP_1)
	v_fma_f64 v[41:42], -v[19:20], v[21:22], 1.0
	v_fma_f64 v[21:22], v[21:22], v[41:42], v[21:22]
	s_delay_alu instid0(VALU_DEP_1) | instskip(NEXT) | instid1(VALU_DEP_1)
	v_fma_f64 v[41:42], -v[19:20], v[21:22], 1.0
	v_fma_f64 v[21:22], v[21:22], v[41:42], v[21:22]
	s_delay_alu instid0(VALU_DEP_1) | instskip(NEXT) | instid1(VALU_DEP_1)
	v_mul_f64_e32 v[41:42], v[43:44], v[21:22]
	v_fma_f64 v[19:20], -v[19:20], v[41:42], v[43:44]
	s_wait_alu 0xfffd
	s_delay_alu instid0(VALU_DEP_1) | instskip(SKIP_1) | instid1(VALU_DEP_2)
	v_div_fmas_f64 v[19:20], v[19:20], v[21:22], v[41:42]
	v_fma_f64 v[21:22], v[15:16], v[25:26], v[23:24]
	v_div_fixup_f64 v[17:18], v[19:20], v[17:18], 1.0
	v_fma_f64 v[19:20], -v[15:16], v[23:24], v[25:26]
	s_delay_alu instid0(VALU_DEP_2) | instskip(NEXT) | instid1(VALU_DEP_2)
	v_mul_f64_e32 v[15:16], v[21:22], v[17:18]
	v_mul_f64_e32 v[17:18], v[19:20], v[17:18]
.LBB218_59:                             ;   in Loop: Header=BB218_48 Depth=2
	s_sub_co_i32 s43, s39, 32
	s_sub_co_i32 s40, s40, s42
	s_wait_alu 0xfffe
	v_mov_b32_e32 v19, s43
	s_add_co_i32 s42, s40, s38
	s_lshl_b32 s37, s37, 8
	s_wait_alu 0xfffe
	v_mov_b32_e32 v23, s42
	s_add_co_i32 s41, s41, s37
	ds_load_b128 v[19:22], v19
	s_wait_alu 0xfffe
	s_sub_co_i32 s37, s41, 32
	ds_store_b128 v40, v[15:18]
	ds_load_b128 v[23:26], v23
	s_wait_dscnt 0x2
	v_mul_f64_e32 v[41:42], v[13:14], v[21:22]
	v_mul_f64_e32 v[21:22], v[11:12], v[21:22]
	s_wait_dscnt 0x0
	v_mul_f64_e32 v[43:44], v[17:18], v[25:26]
	v_mul_f64_e32 v[25:26], v[15:16], v[25:26]
	s_delay_alu instid0(VALU_DEP_4) | instskip(NEXT) | instid1(VALU_DEP_4)
	v_fma_f64 v[41:42], v[11:12], v[19:20], -v[41:42]
	v_fma_f64 v[19:20], v[13:14], v[19:20], v[21:22]
	s_delay_alu instid0(VALU_DEP_4) | instskip(NEXT) | instid1(VALU_DEP_4)
	v_fma_f64 v[43:44], v[15:16], v[23:24], -v[43:44]
	v_fma_f64 v[25:26], v[17:18], v[23:24], v[25:26]
	s_delay_alu instid0(VALU_DEP_4) | instskip(NEXT) | instid1(VALU_DEP_4)
	v_add_f64_e64 v[7:8], v[7:8], -v[41:42]
	v_add_f64_e64 v[9:10], v[9:10], -v[19:20]
	s_wait_alu 0xfffe
	v_mov_b32_e32 v19, s37
	ds_load_b128 v[19:22], v19
	s_wait_dscnt 0x0
	v_cmp_ngt_f64_e64 s41, |v[19:20]|, |v[21:22]|
	v_add_f64_e64 v[23:24], v[7:8], -v[43:44]
	v_add_f64_e64 v[25:26], v[9:10], -v[25:26]
                                        ; implicit-def: $vgpr9_vgpr10
	s_and_b32 vcc_lo, exec_lo, s41
	s_mov_b32 s41, -1
	s_wait_alu 0xfffe
	s_cbranch_vccz .LBB218_61
; %bb.60:                               ;   in Loop: Header=BB218_48 Depth=2
	v_div_scale_f64 v[7:8], null, v[21:22], v[21:22], v[19:20]
	v_div_scale_f64 v[42:43], vcc_lo, v[19:20], v[21:22], v[19:20]
	s_mov_b32 s41, 0
	v_rcp_f64_e32 v[9:10], v[7:8]
	s_delay_alu instid0(TRANS32_DEP_1) | instskip(NEXT) | instid1(VALU_DEP_1)
	v_fma_f64 v[40:41], -v[7:8], v[9:10], 1.0
	v_fma_f64 v[9:10], v[9:10], v[40:41], v[9:10]
	s_delay_alu instid0(VALU_DEP_1) | instskip(NEXT) | instid1(VALU_DEP_1)
	v_fma_f64 v[40:41], -v[7:8], v[9:10], 1.0
	v_fma_f64 v[9:10], v[9:10], v[40:41], v[9:10]
	s_delay_alu instid0(VALU_DEP_1) | instskip(NEXT) | instid1(VALU_DEP_1)
	v_mul_f64_e32 v[40:41], v[42:43], v[9:10]
	v_fma_f64 v[7:8], -v[7:8], v[40:41], v[42:43]
	s_wait_alu 0xfffd
	s_delay_alu instid0(VALU_DEP_1) | instskip(NEXT) | instid1(VALU_DEP_1)
	v_div_fmas_f64 v[7:8], v[7:8], v[9:10], v[40:41]
	v_div_fixup_f64 v[7:8], v[7:8], v[21:22], v[19:20]
	s_delay_alu instid0(VALU_DEP_1) | instskip(NEXT) | instid1(VALU_DEP_1)
	v_fma_f64 v[9:10], v[19:20], v[7:8], v[21:22]
	v_div_scale_f64 v[40:41], null, v[9:10], v[9:10], 1.0
	v_div_scale_f64 v[46:47], vcc_lo, 1.0, v[9:10], 1.0
	s_delay_alu instid0(VALU_DEP_2) | instskip(NEXT) | instid1(TRANS32_DEP_1)
	v_rcp_f64_e32 v[42:43], v[40:41]
	v_fma_f64 v[44:45], -v[40:41], v[42:43], 1.0
	s_delay_alu instid0(VALU_DEP_1) | instskip(NEXT) | instid1(VALU_DEP_1)
	v_fma_f64 v[42:43], v[42:43], v[44:45], v[42:43]
	v_fma_f64 v[44:45], -v[40:41], v[42:43], 1.0
	s_delay_alu instid0(VALU_DEP_1) | instskip(NEXT) | instid1(VALU_DEP_1)
	v_fma_f64 v[42:43], v[42:43], v[44:45], v[42:43]
	v_mul_f64_e32 v[44:45], v[46:47], v[42:43]
	s_delay_alu instid0(VALU_DEP_1) | instskip(SKIP_1) | instid1(VALU_DEP_1)
	v_fma_f64 v[40:41], -v[40:41], v[44:45], v[46:47]
	s_wait_alu 0xfffd
	v_div_fmas_f64 v[40:41], v[40:41], v[42:43], v[44:45]
	v_fma_f64 v[42:43], v[7:8], v[23:24], v[25:26]
	s_delay_alu instid0(VALU_DEP_2) | instskip(SKIP_1) | instid1(VALU_DEP_2)
	v_div_fixup_f64 v[9:10], v[40:41], v[9:10], 1.0
	v_fma_f64 v[40:41], v[7:8], v[25:26], -v[23:24]
	v_mul_f64_e32 v[7:8], v[42:43], v[9:10]
	s_delay_alu instid0(VALU_DEP_2)
	v_mul_f64_e32 v[9:10], v[40:41], v[9:10]
.LBB218_61:                             ;   in Loop: Header=BB218_48 Depth=2
	s_wait_alu 0xfffe
	s_and_not1_b32 vcc_lo, exec_lo, s41
	s_wait_alu 0xfffe
	s_cbranch_vccnz .LBB218_63
; %bb.62:                               ;   in Loop: Header=BB218_48 Depth=2
	v_div_scale_f64 v[7:8], null, v[19:20], v[19:20], v[21:22]
	v_div_scale_f64 v[42:43], vcc_lo, v[21:22], v[19:20], v[21:22]
	s_delay_alu instid0(VALU_DEP_2) | instskip(NEXT) | instid1(TRANS32_DEP_1)
	v_rcp_f64_e32 v[9:10], v[7:8]
	v_fma_f64 v[40:41], -v[7:8], v[9:10], 1.0
	s_delay_alu instid0(VALU_DEP_1) | instskip(NEXT) | instid1(VALU_DEP_1)
	v_fma_f64 v[9:10], v[9:10], v[40:41], v[9:10]
	v_fma_f64 v[40:41], -v[7:8], v[9:10], 1.0
	s_delay_alu instid0(VALU_DEP_1) | instskip(NEXT) | instid1(VALU_DEP_1)
	v_fma_f64 v[9:10], v[9:10], v[40:41], v[9:10]
	v_mul_f64_e32 v[40:41], v[42:43], v[9:10]
	s_delay_alu instid0(VALU_DEP_1) | instskip(SKIP_1) | instid1(VALU_DEP_1)
	v_fma_f64 v[7:8], -v[7:8], v[40:41], v[42:43]
	s_wait_alu 0xfffd
	v_div_fmas_f64 v[7:8], v[7:8], v[9:10], v[40:41]
	s_delay_alu instid0(VALU_DEP_1) | instskip(NEXT) | instid1(VALU_DEP_1)
	v_div_fixup_f64 v[7:8], v[7:8], v[19:20], v[21:22]
	v_fma_f64 v[9:10], v[21:22], v[7:8], v[19:20]
	s_delay_alu instid0(VALU_DEP_1) | instskip(SKIP_1) | instid1(VALU_DEP_2)
	v_div_scale_f64 v[19:20], null, v[9:10], v[9:10], 1.0
	v_div_scale_f64 v[42:43], vcc_lo, 1.0, v[9:10], 1.0
	v_rcp_f64_e32 v[21:22], v[19:20]
	s_delay_alu instid0(TRANS32_DEP_1) | instskip(NEXT) | instid1(VALU_DEP_1)
	v_fma_f64 v[40:41], -v[19:20], v[21:22], 1.0
	v_fma_f64 v[21:22], v[21:22], v[40:41], v[21:22]
	s_delay_alu instid0(VALU_DEP_1) | instskip(NEXT) | instid1(VALU_DEP_1)
	v_fma_f64 v[40:41], -v[19:20], v[21:22], 1.0
	v_fma_f64 v[21:22], v[21:22], v[40:41], v[21:22]
	s_delay_alu instid0(VALU_DEP_1) | instskip(NEXT) | instid1(VALU_DEP_1)
	v_mul_f64_e32 v[40:41], v[42:43], v[21:22]
	v_fma_f64 v[19:20], -v[19:20], v[40:41], v[42:43]
	s_wait_alu 0xfffd
	s_delay_alu instid0(VALU_DEP_1) | instskip(SKIP_1) | instid1(VALU_DEP_2)
	v_div_fmas_f64 v[19:20], v[19:20], v[21:22], v[40:41]
	v_fma_f64 v[21:22], v[7:8], v[25:26], v[23:24]
	v_div_fixup_f64 v[9:10], v[19:20], v[9:10], 1.0
	v_fma_f64 v[19:20], -v[7:8], v[23:24], v[25:26]
	s_delay_alu instid0(VALU_DEP_2) | instskip(NEXT) | instid1(VALU_DEP_2)
	v_mul_f64_e32 v[7:8], v[21:22], v[9:10]
	v_mul_f64_e32 v[9:10], v[19:20], v[9:10]
.LBB218_63:                             ;   in Loop: Header=BB218_48 Depth=2
	s_sub_co_i32 s39, s39, 48
	s_lshl_b32 s36, s36, 4
	s_wait_alu 0xfffe
	v_mov_b32_e32 v19, s39
	s_add_co_i32 s39, s40, s36
	s_sub_co_i32 s38, s37, s38
	s_wait_alu 0xfffe
	v_mov_b32_e32 v23, s39
	s_add_co_i32 s36, s38, s36
	ds_load_b128 v[19:22], v19
	ds_store_b128 v39, v[7:10]
	ds_load_b128 v[23:26], v23
	s_wait_dscnt 0x2
	v_mul_f64_e32 v[40:41], v[13:14], v[21:22]
	v_mul_f64_e32 v[21:22], v[11:12], v[21:22]
	s_delay_alu instid0(VALU_DEP_2) | instskip(SKIP_2) | instid1(VALU_DEP_3)
	v_fma_f64 v[40:41], v[11:12], v[19:20], -v[40:41]
	s_wait_alu 0xfffe
	v_mov_b32_e32 v11, s36
	v_fma_f64 v[44:45], v[13:14], v[19:20], v[21:22]
	s_add_co_i32 s36, s37, 0xfffffef0
	ds_load_b128 v[19:22], v11
	s_wait_dscnt 0x1
	v_mul_f64_e32 v[42:43], v[17:18], v[25:26]
	v_mul_f64_e32 v[25:26], v[15:16], v[25:26]
	s_wait_alu 0xfffe
	v_mov_b32_e32 v11, s36
	ds_load_b128 v[11:14], v11
	s_wait_dscnt 0x1
	v_mul_f64_e32 v[46:47], v[9:10], v[21:22]
	v_mul_f64_e32 v[21:22], v[7:8], v[21:22]
	s_wait_dscnt 0x0
	v_cmp_ngt_f64_e64 s36, |v[11:12]|, |v[13:14]|
	v_add_f64_e64 v[3:4], v[3:4], -v[40:41]
	v_add_f64_e64 v[5:6], v[5:6], -v[44:45]
	v_fma_f64 v[15:16], v[15:16], v[23:24], -v[42:43]
	v_fma_f64 v[17:18], v[17:18], v[23:24], v[25:26]
	v_fma_f64 v[23:24], v[7:8], v[19:20], -v[46:47]
	v_fma_f64 v[19:20], v[9:10], v[19:20], v[21:22]
	s_and_b32 vcc_lo, exec_lo, s36
	s_mov_b32 s36, -1
	s_delay_alu instid0(VALU_DEP_4) | instskip(NEXT) | instid1(VALU_DEP_4)
	v_add_f64_e64 v[3:4], v[3:4], -v[15:16]
	v_add_f64_e64 v[5:6], v[5:6], -v[17:18]
	s_delay_alu instid0(VALU_DEP_2) | instskip(NEXT) | instid1(VALU_DEP_2)
	v_add_f64_e64 v[15:16], v[3:4], -v[23:24]
	v_add_f64_e64 v[17:18], v[5:6], -v[19:20]
                                        ; implicit-def: $vgpr5_vgpr6
	s_wait_alu 0xfffe
	s_cbranch_vccz .LBB218_65
; %bb.64:                               ;   in Loop: Header=BB218_48 Depth=2
	v_div_scale_f64 v[3:4], null, v[13:14], v[13:14], v[11:12]
	v_div_scale_f64 v[9:10], vcc_lo, v[11:12], v[13:14], v[11:12]
	s_mov_b32 s36, 0
	v_rcp_f64_e32 v[5:6], v[3:4]
	s_delay_alu instid0(TRANS32_DEP_1) | instskip(NEXT) | instid1(VALU_DEP_1)
	v_fma_f64 v[7:8], -v[3:4], v[5:6], 1.0
	v_fma_f64 v[5:6], v[5:6], v[7:8], v[5:6]
	s_delay_alu instid0(VALU_DEP_1) | instskip(NEXT) | instid1(VALU_DEP_1)
	v_fma_f64 v[7:8], -v[3:4], v[5:6], 1.0
	v_fma_f64 v[5:6], v[5:6], v[7:8], v[5:6]
	s_delay_alu instid0(VALU_DEP_1) | instskip(NEXT) | instid1(VALU_DEP_1)
	v_mul_f64_e32 v[7:8], v[9:10], v[5:6]
	v_fma_f64 v[3:4], -v[3:4], v[7:8], v[9:10]
	s_wait_alu 0xfffd
	s_delay_alu instid0(VALU_DEP_1) | instskip(NEXT) | instid1(VALU_DEP_1)
	v_div_fmas_f64 v[3:4], v[3:4], v[5:6], v[7:8]
	v_div_fixup_f64 v[3:4], v[3:4], v[13:14], v[11:12]
	s_delay_alu instid0(VALU_DEP_1) | instskip(NEXT) | instid1(VALU_DEP_1)
	v_fma_f64 v[5:6], v[11:12], v[3:4], v[13:14]
	v_div_scale_f64 v[7:8], null, v[5:6], v[5:6], 1.0
	v_div_scale_f64 v[21:22], vcc_lo, 1.0, v[5:6], 1.0
	s_delay_alu instid0(VALU_DEP_2) | instskip(NEXT) | instid1(TRANS32_DEP_1)
	v_rcp_f64_e32 v[9:10], v[7:8]
	v_fma_f64 v[19:20], -v[7:8], v[9:10], 1.0
	s_delay_alu instid0(VALU_DEP_1) | instskip(NEXT) | instid1(VALU_DEP_1)
	v_fma_f64 v[9:10], v[9:10], v[19:20], v[9:10]
	v_fma_f64 v[19:20], -v[7:8], v[9:10], 1.0
	s_delay_alu instid0(VALU_DEP_1) | instskip(NEXT) | instid1(VALU_DEP_1)
	v_fma_f64 v[9:10], v[9:10], v[19:20], v[9:10]
	v_mul_f64_e32 v[19:20], v[21:22], v[9:10]
	s_delay_alu instid0(VALU_DEP_1) | instskip(SKIP_1) | instid1(VALU_DEP_1)
	v_fma_f64 v[7:8], -v[7:8], v[19:20], v[21:22]
	s_wait_alu 0xfffd
	v_div_fmas_f64 v[7:8], v[7:8], v[9:10], v[19:20]
	v_fma_f64 v[9:10], v[3:4], v[15:16], v[17:18]
	s_delay_alu instid0(VALU_DEP_2) | instskip(SKIP_1) | instid1(VALU_DEP_2)
	v_div_fixup_f64 v[5:6], v[7:8], v[5:6], 1.0
	v_fma_f64 v[7:8], v[3:4], v[17:18], -v[15:16]
	v_mul_f64_e32 v[3:4], v[9:10], v[5:6]
	s_delay_alu instid0(VALU_DEP_2)
	v_mul_f64_e32 v[5:6], v[7:8], v[5:6]
.LBB218_65:                             ;   in Loop: Header=BB218_48 Depth=2
	s_wait_alu 0xfffe
	s_and_not1_b32 vcc_lo, exec_lo, s36
	s_wait_alu 0xfffe
	s_cbranch_vccnz .LBB218_67
; %bb.66:                               ;   in Loop: Header=BB218_48 Depth=2
	v_div_scale_f64 v[3:4], null, v[11:12], v[11:12], v[13:14]
	v_div_scale_f64 v[9:10], vcc_lo, v[13:14], v[11:12], v[13:14]
	s_delay_alu instid0(VALU_DEP_2) | instskip(NEXT) | instid1(TRANS32_DEP_1)
	v_rcp_f64_e32 v[5:6], v[3:4]
	v_fma_f64 v[7:8], -v[3:4], v[5:6], 1.0
	s_delay_alu instid0(VALU_DEP_1) | instskip(NEXT) | instid1(VALU_DEP_1)
	v_fma_f64 v[5:6], v[5:6], v[7:8], v[5:6]
	v_fma_f64 v[7:8], -v[3:4], v[5:6], 1.0
	s_delay_alu instid0(VALU_DEP_1) | instskip(NEXT) | instid1(VALU_DEP_1)
	v_fma_f64 v[5:6], v[5:6], v[7:8], v[5:6]
	v_mul_f64_e32 v[7:8], v[9:10], v[5:6]
	s_delay_alu instid0(VALU_DEP_1) | instskip(SKIP_1) | instid1(VALU_DEP_1)
	v_fma_f64 v[3:4], -v[3:4], v[7:8], v[9:10]
	s_wait_alu 0xfffd
	v_div_fmas_f64 v[3:4], v[3:4], v[5:6], v[7:8]
	s_delay_alu instid0(VALU_DEP_1) | instskip(NEXT) | instid1(VALU_DEP_1)
	v_div_fixup_f64 v[3:4], v[3:4], v[11:12], v[13:14]
	v_fma_f64 v[5:6], v[13:14], v[3:4], v[11:12]
	s_delay_alu instid0(VALU_DEP_1) | instskip(SKIP_1) | instid1(VALU_DEP_2)
	v_div_scale_f64 v[7:8], null, v[5:6], v[5:6], 1.0
	v_div_scale_f64 v[13:14], vcc_lo, 1.0, v[5:6], 1.0
	v_rcp_f64_e32 v[9:10], v[7:8]
	s_delay_alu instid0(TRANS32_DEP_1) | instskip(NEXT) | instid1(VALU_DEP_1)
	v_fma_f64 v[11:12], -v[7:8], v[9:10], 1.0
	v_fma_f64 v[9:10], v[9:10], v[11:12], v[9:10]
	s_delay_alu instid0(VALU_DEP_1) | instskip(NEXT) | instid1(VALU_DEP_1)
	v_fma_f64 v[11:12], -v[7:8], v[9:10], 1.0
	v_fma_f64 v[9:10], v[9:10], v[11:12], v[9:10]
	s_delay_alu instid0(VALU_DEP_1) | instskip(NEXT) | instid1(VALU_DEP_1)
	v_mul_f64_e32 v[11:12], v[13:14], v[9:10]
	v_fma_f64 v[7:8], -v[7:8], v[11:12], v[13:14]
	s_wait_alu 0xfffd
	s_delay_alu instid0(VALU_DEP_1) | instskip(SKIP_1) | instid1(VALU_DEP_2)
	v_div_fmas_f64 v[7:8], v[7:8], v[9:10], v[11:12]
	v_fma_f64 v[9:10], v[3:4], v[17:18], v[15:16]
	v_div_fixup_f64 v[5:6], v[7:8], v[5:6], 1.0
	v_fma_f64 v[7:8], -v[3:4], v[15:16], v[17:18]
	s_delay_alu instid0(VALU_DEP_2) | instskip(NEXT) | instid1(VALU_DEP_2)
	v_mul_f64_e32 v[3:4], v[9:10], v[5:6]
	v_mul_f64_e32 v[5:6], v[7:8], v[5:6]
.LBB218_67:                             ;   in Loop: Header=BB218_48 Depth=2
	s_add_co_i32 s36, s19, -4
	s_sub_co_i32 s18, s18, 64
	s_cmp_lt_i32 s19, 7
	ds_store_b128 v38, v[3:6]
	s_cbranch_scc1 .LBB218_69
; %bb.68:                               ;   in Loop: Header=BB218_48 Depth=2
	s_wait_alu 0xfffe
	s_mov_b32 s19, s36
	s_branch .LBB218_48
.LBB218_69:                             ;   in Loop: Header=BB218_3 Depth=1
	s_wait_alu 0xfffe
	s_cmp_lt_i32 s36, 0
	s_cbranch_scc1 .LBB218_78
; %bb.70:                               ;   in Loop: Header=BB218_3 Depth=1
	s_lshl_b32 s18, s36, 4
	s_wait_alu 0xfffe
	s_add_co_i32 s18, s23, s18
	s_branch .LBB218_72
.LBB218_71:                             ;   in Loop: Header=BB218_72 Depth=2
	s_add_co_i32 s19, s36, -1
	s_add_co_i32 s18, s18, -16
	s_cmp_lt_i32 s36, 1
	s_wait_alu 0xfffe
	s_mov_b32 s36, s19
	ds_store_b128 v15, v[11:14]
	s_cbranch_scc1 .LBB218_78
.LBB218_72:                             ;   Parent Loop BB218_3 Depth=1
                                        ; =>  This Loop Header: Depth=2
                                        ;       Child Loop BB218_73 Depth 3
	s_wait_alu 0xfffe
	s_lshl_b32 s19, s36, 8
	v_mov_b32_e32 v7, v36
	s_wait_alu 0xfffe
	v_add_nc_u32_e32 v15, s19, v30
	s_cmp_le_i32 s29, s36
	s_mov_b32 s37, s18
	s_mov_b32 s38, s29
	ds_load_b128 v[3:6], v15
	s_cbranch_scc1 .LBB218_74
.LBB218_73:                             ;   Parent Loop BB218_3 Depth=1
                                        ;     Parent Loop BB218_72 Depth=2
                                        ; =>    This Inner Loop Header: Depth=3
	s_wait_alu 0xfffe
	v_mov_b32_e32 v12, s37
	s_add_co_i32 s38, s38, -1
	s_addk_co_i32 s37, 0xff00
	s_wait_alu 0xfffe
	s_cmp_le_i32 s38, s36
	ds_load_b128 v[8:11], v7
	ds_load_b128 v[16:19], v12
	v_add_nc_u32_e32 v7, 0xffffff00, v7
	s_wait_dscnt 0x0
	v_mul_f64_e32 v[12:13], v[18:19], v[10:11]
	v_mul_f64_e32 v[10:11], v[16:17], v[10:11]
	s_delay_alu instid0(VALU_DEP_2) | instskip(NEXT) | instid1(VALU_DEP_2)
	v_fma_f64 v[12:13], v[16:17], v[8:9], -v[12:13]
	v_fma_f64 v[8:9], v[18:19], v[8:9], v[10:11]
	s_delay_alu instid0(VALU_DEP_2) | instskip(NEXT) | instid1(VALU_DEP_2)
	v_add_f64_e64 v[3:4], v[3:4], -v[12:13]
	v_add_f64_e64 v[5:6], v[5:6], -v[8:9]
	s_cbranch_scc0 .LBB218_73
.LBB218_74:                             ;   in Loop: Header=BB218_72 Depth=2
	s_lshl_b32 s37, s36, 4
                                        ; implicit-def: $vgpr11_vgpr12
	s_wait_alu 0xfffe
	s_add_co_i32 s19, s37, s19
	s_wait_alu 0xfffe
	v_mov_b32_e32 v7, s19
	ds_load_b128 v[7:10], v7
	s_wait_dscnt 0x0
	v_cmp_ngt_f64_e64 s19, |v[7:8]|, |v[9:10]|
	s_and_b32 vcc_lo, exec_lo, s19
	s_mov_b32 s19, -1
	s_wait_alu 0xfffe
	s_cbranch_vccz .LBB218_76
; %bb.75:                               ;   in Loop: Header=BB218_72 Depth=2
	v_div_scale_f64 v[11:12], null, v[9:10], v[9:10], v[7:8]
	v_div_scale_f64 v[18:19], vcc_lo, v[7:8], v[9:10], v[7:8]
	s_mov_b32 s19, 0
	v_rcp_f64_e32 v[13:14], v[11:12]
	s_delay_alu instid0(TRANS32_DEP_1) | instskip(NEXT) | instid1(VALU_DEP_1)
	v_fma_f64 v[16:17], -v[11:12], v[13:14], 1.0
	v_fma_f64 v[13:14], v[13:14], v[16:17], v[13:14]
	s_delay_alu instid0(VALU_DEP_1) | instskip(NEXT) | instid1(VALU_DEP_1)
	v_fma_f64 v[16:17], -v[11:12], v[13:14], 1.0
	v_fma_f64 v[13:14], v[13:14], v[16:17], v[13:14]
	s_delay_alu instid0(VALU_DEP_1) | instskip(NEXT) | instid1(VALU_DEP_1)
	v_mul_f64_e32 v[16:17], v[18:19], v[13:14]
	v_fma_f64 v[11:12], -v[11:12], v[16:17], v[18:19]
	s_wait_alu 0xfffd
	s_delay_alu instid0(VALU_DEP_1) | instskip(NEXT) | instid1(VALU_DEP_1)
	v_div_fmas_f64 v[11:12], v[11:12], v[13:14], v[16:17]
	v_div_fixup_f64 v[11:12], v[11:12], v[9:10], v[7:8]
	s_delay_alu instid0(VALU_DEP_1) | instskip(NEXT) | instid1(VALU_DEP_1)
	v_fma_f64 v[13:14], v[7:8], v[11:12], v[9:10]
	v_div_scale_f64 v[16:17], null, v[13:14], v[13:14], 1.0
	v_div_scale_f64 v[22:23], vcc_lo, 1.0, v[13:14], 1.0
	s_delay_alu instid0(VALU_DEP_2) | instskip(NEXT) | instid1(TRANS32_DEP_1)
	v_rcp_f64_e32 v[18:19], v[16:17]
	v_fma_f64 v[20:21], -v[16:17], v[18:19], 1.0
	s_delay_alu instid0(VALU_DEP_1) | instskip(NEXT) | instid1(VALU_DEP_1)
	v_fma_f64 v[18:19], v[18:19], v[20:21], v[18:19]
	v_fma_f64 v[20:21], -v[16:17], v[18:19], 1.0
	s_delay_alu instid0(VALU_DEP_1) | instskip(NEXT) | instid1(VALU_DEP_1)
	v_fma_f64 v[18:19], v[18:19], v[20:21], v[18:19]
	v_mul_f64_e32 v[20:21], v[22:23], v[18:19]
	s_delay_alu instid0(VALU_DEP_1) | instskip(SKIP_1) | instid1(VALU_DEP_1)
	v_fma_f64 v[16:17], -v[16:17], v[20:21], v[22:23]
	s_wait_alu 0xfffd
	v_div_fmas_f64 v[16:17], v[16:17], v[18:19], v[20:21]
	v_fma_f64 v[18:19], v[3:4], v[11:12], v[5:6]
	s_delay_alu instid0(VALU_DEP_2) | instskip(SKIP_1) | instid1(VALU_DEP_2)
	v_div_fixup_f64 v[13:14], v[16:17], v[13:14], 1.0
	v_fma_f64 v[16:17], v[5:6], v[11:12], -v[3:4]
	v_mul_f64_e32 v[11:12], v[18:19], v[13:14]
	s_delay_alu instid0(VALU_DEP_2)
	v_mul_f64_e32 v[13:14], v[16:17], v[13:14]
.LBB218_76:                             ;   in Loop: Header=BB218_72 Depth=2
	s_wait_alu 0xfffe
	s_and_not1_b32 vcc_lo, exec_lo, s19
	s_wait_alu 0xfffe
	s_cbranch_vccnz .LBB218_71
; %bb.77:                               ;   in Loop: Header=BB218_72 Depth=2
	v_div_scale_f64 v[11:12], null, v[7:8], v[7:8], v[9:10]
	v_div_scale_f64 v[18:19], vcc_lo, v[9:10], v[7:8], v[9:10]
	s_delay_alu instid0(VALU_DEP_2) | instskip(NEXT) | instid1(TRANS32_DEP_1)
	v_rcp_f64_e32 v[13:14], v[11:12]
	v_fma_f64 v[16:17], -v[11:12], v[13:14], 1.0
	s_delay_alu instid0(VALU_DEP_1) | instskip(NEXT) | instid1(VALU_DEP_1)
	v_fma_f64 v[13:14], v[13:14], v[16:17], v[13:14]
	v_fma_f64 v[16:17], -v[11:12], v[13:14], 1.0
	s_delay_alu instid0(VALU_DEP_1) | instskip(NEXT) | instid1(VALU_DEP_1)
	v_fma_f64 v[13:14], v[13:14], v[16:17], v[13:14]
	v_mul_f64_e32 v[16:17], v[18:19], v[13:14]
	s_delay_alu instid0(VALU_DEP_1) | instskip(SKIP_1) | instid1(VALU_DEP_1)
	v_fma_f64 v[11:12], -v[11:12], v[16:17], v[18:19]
	s_wait_alu 0xfffd
	v_div_fmas_f64 v[11:12], v[11:12], v[13:14], v[16:17]
	s_delay_alu instid0(VALU_DEP_1) | instskip(NEXT) | instid1(VALU_DEP_1)
	v_div_fixup_f64 v[11:12], v[11:12], v[7:8], v[9:10]
	v_fma_f64 v[7:8], v[9:10], v[11:12], v[7:8]
	s_delay_alu instid0(VALU_DEP_1) | instskip(SKIP_1) | instid1(VALU_DEP_2)
	v_div_scale_f64 v[9:10], null, v[7:8], v[7:8], 1.0
	v_div_scale_f64 v[18:19], vcc_lo, 1.0, v[7:8], 1.0
	v_rcp_f64_e32 v[13:14], v[9:10]
	s_delay_alu instid0(TRANS32_DEP_1) | instskip(NEXT) | instid1(VALU_DEP_1)
	v_fma_f64 v[16:17], -v[9:10], v[13:14], 1.0
	v_fma_f64 v[13:14], v[13:14], v[16:17], v[13:14]
	s_delay_alu instid0(VALU_DEP_1) | instskip(NEXT) | instid1(VALU_DEP_1)
	v_fma_f64 v[16:17], -v[9:10], v[13:14], 1.0
	v_fma_f64 v[13:14], v[13:14], v[16:17], v[13:14]
	s_delay_alu instid0(VALU_DEP_1) | instskip(NEXT) | instid1(VALU_DEP_1)
	v_mul_f64_e32 v[16:17], v[18:19], v[13:14]
	v_fma_f64 v[9:10], -v[9:10], v[16:17], v[18:19]
	s_wait_alu 0xfffd
	s_delay_alu instid0(VALU_DEP_1) | instskip(SKIP_2) | instid1(VALU_DEP_3)
	v_div_fmas_f64 v[9:10], v[9:10], v[13:14], v[16:17]
	v_fma_f64 v[13:14], v[5:6], v[11:12], v[3:4]
	v_fma_f64 v[3:4], -v[3:4], v[11:12], v[5:6]
	v_div_fixup_f64 v[7:8], v[9:10], v[7:8], 1.0
	s_delay_alu instid0(VALU_DEP_1) | instskip(NEXT) | instid1(VALU_DEP_3)
	v_mul_f64_e32 v[11:12], v[13:14], v[7:8]
	v_mul_f64_e32 v[13:14], v[3:4], v[7:8]
	s_branch .LBB218_71
.LBB218_78:                             ;   in Loop: Header=BB218_3 Depth=1
	s_mov_b32 s18, 0
.LBB218_79:                             ;   in Loop: Header=BB218_3 Depth=1
	s_wait_alu 0xfffe
	s_and_not1_b32 vcc_lo, exec_lo, s18
	s_wait_alu 0xfffe
	s_cbranch_vccnz .LBB218_111
; %bb.80:                               ;   in Loop: Header=BB218_3 Depth=1
	s_mov_b32 s36, s29
	s_and_not1_b32 vcc_lo, exec_lo, s34
	s_mov_b32 s18, s24
	s_mov_b32 s19, s29
	s_wait_alu 0xfffe
	s_cbranch_vccnz .LBB218_102
.LBB218_81:                             ;   Parent Loop BB218_3 Depth=1
                                        ; =>  This Loop Header: Depth=2
                                        ;       Child Loop BB218_82 Depth 3
	s_wait_alu 0xfffe
	s_add_co_i32 s36, s19, -1
	v_lshl_add_u32 v41, s19, 8, v30
	s_add_co_i32 s37, s19, -2
	s_wait_alu 0xfffe
	v_lshl_add_u32 v40, s36, 8, v30
	s_add_co_i32 s38, s19, -3
	v_lshl_add_u32 v39, s37, 8, v30
	s_wait_alu 0xfffe
	v_lshl_add_u32 v38, s38, 8, v30
	ds_load_b128 v[19:22], v41
	ds_load_b128 v[15:18], v40
	;; [unrolled: 1-line block ×4, first 2 shown]
	v_mov_b32_e32 v11, v36
	s_cmp_le_i32 s29, s19
	s_mov_b32 s39, s18
	s_mov_b32 s40, s29
	s_cbranch_scc1 .LBB218_83
.LBB218_82:                             ;   Parent Loop BB218_3 Depth=1
                                        ;     Parent Loop BB218_81 Depth=2
                                        ; =>    This Inner Loop Header: Depth=3
	s_wait_alu 0xfffe
	v_mov_b32_e32 v12, s39
	s_add_co_i32 s40, s40, -1
	s_add_co_i32 s39, s39, -16
	s_wait_alu 0xfffe
	s_cmp_le_i32 s40, s19
	ds_load_b128 v[23:26], v11
	ds_load_b128 v[42:45], v12 offset:768
	ds_load_b128 v[46:49], v12 offset:512
	ds_load_b128 v[50:53], v12 offset:256
	ds_load_b128 v[54:57], v12
	v_add_nc_u32_e32 v11, 0xffffff00, v11
	s_wait_dscnt 0x3
	v_mul_f64_e32 v[12:13], v[25:26], v[44:45]
	v_mul_f64_e32 v[44:45], v[23:24], v[44:45]
	s_wait_dscnt 0x2
	v_mul_f64_e32 v[58:59], v[25:26], v[48:49]
	v_mul_f64_e32 v[48:49], v[23:24], v[48:49]
	;; [unrolled: 3-line block ×4, first 2 shown]
	v_fma_f64 v[12:13], v[23:24], v[42:43], -v[12:13]
	v_fma_f64 v[42:43], v[25:26], v[42:43], v[44:45]
	v_fma_f64 v[44:45], v[23:24], v[46:47], -v[58:59]
	v_fma_f64 v[46:47], v[25:26], v[46:47], v[48:49]
	;; [unrolled: 2-line block ×4, first 2 shown]
	v_add_f64_e64 v[19:20], v[19:20], -v[12:13]
	v_add_f64_e64 v[21:22], v[21:22], -v[42:43]
	;; [unrolled: 1-line block ×8, first 2 shown]
	s_cbranch_scc0 .LBB218_82
.LBB218_83:                             ;   in Loop: Header=BB218_81 Depth=2
	s_lshl_b32 s39, s36, 4
	s_lshl_b32 s37, s37, 4
	;; [unrolled: 1-line block ×3, first 2 shown]
; %bb.84:                               ;   in Loop: Header=BB218_81 Depth=2
	s_mul_i32 s38, s19, 0x110
	s_wait_alu 0xfffe
	v_mov_b32_e32 v11, s38
	ds_load_b128 v[23:26], v11
                                        ; implicit-def: $vgpr13_vgpr14
	s_wait_dscnt 0x0
	v_cmp_ngt_f64_e64 s38, |v[23:24]|, |v[25:26]|
	s_and_b32 vcc_lo, exec_lo, s38
	s_mov_b32 s38, -1
	s_wait_alu 0xfffe
	s_cbranch_vccz .LBB218_86
; %bb.85:                               ;   in Loop: Header=BB218_81 Depth=2
	v_div_scale_f64 v[11:12], null, v[25:26], v[25:26], v[23:24]
	v_div_scale_f64 v[44:45], vcc_lo, v[23:24], v[25:26], v[23:24]
	s_mov_b32 s38, 0
	v_rcp_f64_e32 v[13:14], v[11:12]
	s_delay_alu instid0(TRANS32_DEP_1) | instskip(NEXT) | instid1(VALU_DEP_1)
	v_fma_f64 v[42:43], -v[11:12], v[13:14], 1.0
	v_fma_f64 v[13:14], v[13:14], v[42:43], v[13:14]
	s_delay_alu instid0(VALU_DEP_1) | instskip(NEXT) | instid1(VALU_DEP_1)
	v_fma_f64 v[42:43], -v[11:12], v[13:14], 1.0
	v_fma_f64 v[13:14], v[13:14], v[42:43], v[13:14]
	s_delay_alu instid0(VALU_DEP_1) | instskip(NEXT) | instid1(VALU_DEP_1)
	v_mul_f64_e32 v[42:43], v[44:45], v[13:14]
	v_fma_f64 v[11:12], -v[11:12], v[42:43], v[44:45]
	s_wait_alu 0xfffd
	s_delay_alu instid0(VALU_DEP_1) | instskip(NEXT) | instid1(VALU_DEP_1)
	v_div_fmas_f64 v[11:12], v[11:12], v[13:14], v[42:43]
	v_div_fixup_f64 v[11:12], v[11:12], v[25:26], v[23:24]
	s_delay_alu instid0(VALU_DEP_1) | instskip(NEXT) | instid1(VALU_DEP_1)
	v_fma_f64 v[13:14], v[23:24], v[11:12], v[25:26]
	v_div_scale_f64 v[42:43], null, v[13:14], v[13:14], 1.0
	v_div_scale_f64 v[48:49], vcc_lo, 1.0, v[13:14], 1.0
	s_delay_alu instid0(VALU_DEP_2) | instskip(NEXT) | instid1(TRANS32_DEP_1)
	v_rcp_f64_e32 v[44:45], v[42:43]
	v_fma_f64 v[46:47], -v[42:43], v[44:45], 1.0
	s_delay_alu instid0(VALU_DEP_1) | instskip(NEXT) | instid1(VALU_DEP_1)
	v_fma_f64 v[44:45], v[44:45], v[46:47], v[44:45]
	v_fma_f64 v[46:47], -v[42:43], v[44:45], 1.0
	s_delay_alu instid0(VALU_DEP_1) | instskip(NEXT) | instid1(VALU_DEP_1)
	v_fma_f64 v[44:45], v[44:45], v[46:47], v[44:45]
	v_mul_f64_e32 v[46:47], v[48:49], v[44:45]
	s_delay_alu instid0(VALU_DEP_1) | instskip(SKIP_1) | instid1(VALU_DEP_1)
	v_fma_f64 v[42:43], -v[42:43], v[46:47], v[48:49]
	s_wait_alu 0xfffd
	v_div_fmas_f64 v[42:43], v[42:43], v[44:45], v[46:47]
	v_fma_f64 v[44:45], v[19:20], v[11:12], v[21:22]
	s_delay_alu instid0(VALU_DEP_2) | instskip(SKIP_1) | instid1(VALU_DEP_2)
	v_div_fixup_f64 v[13:14], v[42:43], v[13:14], 1.0
	v_fma_f64 v[42:43], v[21:22], v[11:12], -v[19:20]
	v_mul_f64_e32 v[11:12], v[44:45], v[13:14]
	s_delay_alu instid0(VALU_DEP_2)
	v_mul_f64_e32 v[13:14], v[42:43], v[13:14]
.LBB218_86:                             ;   in Loop: Header=BB218_81 Depth=2
	s_wait_alu 0xfffe
	s_and_not1_b32 vcc_lo, exec_lo, s38
	s_wait_alu 0xfffe
	s_cbranch_vccnz .LBB218_88
; %bb.87:                               ;   in Loop: Header=BB218_81 Depth=2
	v_div_scale_f64 v[11:12], null, v[23:24], v[23:24], v[25:26]
	v_div_scale_f64 v[44:45], vcc_lo, v[25:26], v[23:24], v[25:26]
	s_delay_alu instid0(VALU_DEP_2) | instskip(NEXT) | instid1(TRANS32_DEP_1)
	v_rcp_f64_e32 v[13:14], v[11:12]
	v_fma_f64 v[42:43], -v[11:12], v[13:14], 1.0
	s_delay_alu instid0(VALU_DEP_1) | instskip(NEXT) | instid1(VALU_DEP_1)
	v_fma_f64 v[13:14], v[13:14], v[42:43], v[13:14]
	v_fma_f64 v[42:43], -v[11:12], v[13:14], 1.0
	s_delay_alu instid0(VALU_DEP_1) | instskip(NEXT) | instid1(VALU_DEP_1)
	v_fma_f64 v[13:14], v[13:14], v[42:43], v[13:14]
	v_mul_f64_e32 v[42:43], v[44:45], v[13:14]
	s_delay_alu instid0(VALU_DEP_1) | instskip(SKIP_1) | instid1(VALU_DEP_1)
	v_fma_f64 v[11:12], -v[11:12], v[42:43], v[44:45]
	s_wait_alu 0xfffd
	v_div_fmas_f64 v[11:12], v[11:12], v[13:14], v[42:43]
	s_delay_alu instid0(VALU_DEP_1) | instskip(NEXT) | instid1(VALU_DEP_1)
	v_div_fixup_f64 v[11:12], v[11:12], v[23:24], v[25:26]
	v_fma_f64 v[13:14], v[25:26], v[11:12], v[23:24]
	s_delay_alu instid0(VALU_DEP_1) | instskip(SKIP_1) | instid1(VALU_DEP_2)
	v_div_scale_f64 v[23:24], null, v[13:14], v[13:14], 1.0
	v_div_scale_f64 v[44:45], vcc_lo, 1.0, v[13:14], 1.0
	v_rcp_f64_e32 v[25:26], v[23:24]
	s_delay_alu instid0(TRANS32_DEP_1) | instskip(NEXT) | instid1(VALU_DEP_1)
	v_fma_f64 v[42:43], -v[23:24], v[25:26], 1.0
	v_fma_f64 v[25:26], v[25:26], v[42:43], v[25:26]
	s_delay_alu instid0(VALU_DEP_1) | instskip(NEXT) | instid1(VALU_DEP_1)
	v_fma_f64 v[42:43], -v[23:24], v[25:26], 1.0
	v_fma_f64 v[25:26], v[25:26], v[42:43], v[25:26]
	s_delay_alu instid0(VALU_DEP_1) | instskip(NEXT) | instid1(VALU_DEP_1)
	v_mul_f64_e32 v[42:43], v[44:45], v[25:26]
	v_fma_f64 v[23:24], -v[23:24], v[42:43], v[44:45]
	s_wait_alu 0xfffd
	s_delay_alu instid0(VALU_DEP_1) | instskip(SKIP_2) | instid1(VALU_DEP_3)
	v_div_fmas_f64 v[23:24], v[23:24], v[25:26], v[42:43]
	v_fma_f64 v[25:26], v[21:22], v[11:12], v[19:20]
	v_fma_f64 v[19:20], -v[19:20], v[11:12], v[21:22]
	v_div_fixup_f64 v[13:14], v[23:24], v[13:14], 1.0
	s_delay_alu instid0(VALU_DEP_1) | instskip(NEXT) | instid1(VALU_DEP_3)
	v_mul_f64_e32 v[11:12], v[25:26], v[13:14]
	v_mul_f64_e32 v[13:14], v[19:20], v[13:14]
.LBB218_88:                             ;   in Loop: Header=BB218_81 Depth=2
	s_lshl_b32 s40, s39, 4
	s_lshl_b32 s38, s19, 4
	s_wait_alu 0xfffe
	s_add_co_i32 s39, s40, s39
	s_add_co_i32 s41, s40, s38
	ds_store_b128 v41, v[11:14]
	s_wait_alu 0xfffe
	v_mov_b32_e32 v19, s41
	ds_load_b128 v[23:26], v19
	v_mov_b32_e32 v19, s39
	ds_load_b128 v[19:22], v19
	s_wait_dscnt 0x1
	v_mul_f64_e32 v[42:43], v[13:14], v[25:26]
	v_mul_f64_e32 v[25:26], v[11:12], v[25:26]
	s_wait_dscnt 0x0
	v_cmp_ngt_f64_e64 s39, |v[19:20]|, |v[21:22]|
	s_delay_alu instid0(VALU_DEP_3) | instskip(NEXT) | instid1(VALU_DEP_3)
	v_fma_f64 v[42:43], v[11:12], v[23:24], -v[42:43]
	v_fma_f64 v[25:26], v[13:14], v[23:24], v[25:26]
	s_and_b32 vcc_lo, exec_lo, s39
	s_mov_b32 s39, -1
	s_delay_alu instid0(VALU_DEP_2) | instskip(NEXT) | instid1(VALU_DEP_2)
	v_add_f64_e64 v[23:24], v[15:16], -v[42:43]
	v_add_f64_e64 v[25:26], v[17:18], -v[25:26]
                                        ; implicit-def: $vgpr17_vgpr18
	s_wait_alu 0xfffe
	s_cbranch_vccz .LBB218_90
; %bb.89:                               ;   in Loop: Header=BB218_81 Depth=2
	v_div_scale_f64 v[15:16], null, v[21:22], v[21:22], v[19:20]
	v_div_scale_f64 v[43:44], vcc_lo, v[19:20], v[21:22], v[19:20]
	s_mov_b32 s39, 0
	v_rcp_f64_e32 v[17:18], v[15:16]
	s_delay_alu instid0(TRANS32_DEP_1) | instskip(NEXT) | instid1(VALU_DEP_1)
	v_fma_f64 v[41:42], -v[15:16], v[17:18], 1.0
	v_fma_f64 v[17:18], v[17:18], v[41:42], v[17:18]
	s_delay_alu instid0(VALU_DEP_1) | instskip(NEXT) | instid1(VALU_DEP_1)
	v_fma_f64 v[41:42], -v[15:16], v[17:18], 1.0
	v_fma_f64 v[17:18], v[17:18], v[41:42], v[17:18]
	s_delay_alu instid0(VALU_DEP_1) | instskip(NEXT) | instid1(VALU_DEP_1)
	v_mul_f64_e32 v[41:42], v[43:44], v[17:18]
	v_fma_f64 v[15:16], -v[15:16], v[41:42], v[43:44]
	s_wait_alu 0xfffd
	s_delay_alu instid0(VALU_DEP_1) | instskip(NEXT) | instid1(VALU_DEP_1)
	v_div_fmas_f64 v[15:16], v[15:16], v[17:18], v[41:42]
	v_div_fixup_f64 v[15:16], v[15:16], v[21:22], v[19:20]
	s_delay_alu instid0(VALU_DEP_1) | instskip(NEXT) | instid1(VALU_DEP_1)
	v_fma_f64 v[17:18], v[19:20], v[15:16], v[21:22]
	v_div_scale_f64 v[41:42], null, v[17:18], v[17:18], 1.0
	v_div_scale_f64 v[47:48], vcc_lo, 1.0, v[17:18], 1.0
	s_delay_alu instid0(VALU_DEP_2) | instskip(NEXT) | instid1(TRANS32_DEP_1)
	v_rcp_f64_e32 v[43:44], v[41:42]
	v_fma_f64 v[45:46], -v[41:42], v[43:44], 1.0
	s_delay_alu instid0(VALU_DEP_1) | instskip(NEXT) | instid1(VALU_DEP_1)
	v_fma_f64 v[43:44], v[43:44], v[45:46], v[43:44]
	v_fma_f64 v[45:46], -v[41:42], v[43:44], 1.0
	s_delay_alu instid0(VALU_DEP_1) | instskip(NEXT) | instid1(VALU_DEP_1)
	v_fma_f64 v[43:44], v[43:44], v[45:46], v[43:44]
	v_mul_f64_e32 v[45:46], v[47:48], v[43:44]
	s_delay_alu instid0(VALU_DEP_1) | instskip(SKIP_1) | instid1(VALU_DEP_1)
	v_fma_f64 v[41:42], -v[41:42], v[45:46], v[47:48]
	s_wait_alu 0xfffd
	v_div_fmas_f64 v[41:42], v[41:42], v[43:44], v[45:46]
	v_fma_f64 v[43:44], v[15:16], v[23:24], v[25:26]
	s_delay_alu instid0(VALU_DEP_2) | instskip(SKIP_1) | instid1(VALU_DEP_2)
	v_div_fixup_f64 v[17:18], v[41:42], v[17:18], 1.0
	v_fma_f64 v[41:42], v[15:16], v[25:26], -v[23:24]
	v_mul_f64_e32 v[15:16], v[43:44], v[17:18]
	s_delay_alu instid0(VALU_DEP_2)
	v_mul_f64_e32 v[17:18], v[41:42], v[17:18]
.LBB218_90:                             ;   in Loop: Header=BB218_81 Depth=2
	s_wait_alu 0xfffe
	s_and_not1_b32 vcc_lo, exec_lo, s39
	s_wait_alu 0xfffe
	s_cbranch_vccnz .LBB218_92
; %bb.91:                               ;   in Loop: Header=BB218_81 Depth=2
	v_div_scale_f64 v[15:16], null, v[19:20], v[19:20], v[21:22]
	v_div_scale_f64 v[43:44], vcc_lo, v[21:22], v[19:20], v[21:22]
	s_delay_alu instid0(VALU_DEP_2) | instskip(NEXT) | instid1(TRANS32_DEP_1)
	v_rcp_f64_e32 v[17:18], v[15:16]
	v_fma_f64 v[41:42], -v[15:16], v[17:18], 1.0
	s_delay_alu instid0(VALU_DEP_1) | instskip(NEXT) | instid1(VALU_DEP_1)
	v_fma_f64 v[17:18], v[17:18], v[41:42], v[17:18]
	v_fma_f64 v[41:42], -v[15:16], v[17:18], 1.0
	s_delay_alu instid0(VALU_DEP_1) | instskip(NEXT) | instid1(VALU_DEP_1)
	v_fma_f64 v[17:18], v[17:18], v[41:42], v[17:18]
	v_mul_f64_e32 v[41:42], v[43:44], v[17:18]
	s_delay_alu instid0(VALU_DEP_1) | instskip(SKIP_1) | instid1(VALU_DEP_1)
	v_fma_f64 v[15:16], -v[15:16], v[41:42], v[43:44]
	s_wait_alu 0xfffd
	v_div_fmas_f64 v[15:16], v[15:16], v[17:18], v[41:42]
	s_delay_alu instid0(VALU_DEP_1) | instskip(NEXT) | instid1(VALU_DEP_1)
	v_div_fixup_f64 v[15:16], v[15:16], v[19:20], v[21:22]
	v_fma_f64 v[17:18], v[21:22], v[15:16], v[19:20]
	s_delay_alu instid0(VALU_DEP_1) | instskip(SKIP_1) | instid1(VALU_DEP_2)
	v_div_scale_f64 v[19:20], null, v[17:18], v[17:18], 1.0
	v_div_scale_f64 v[43:44], vcc_lo, 1.0, v[17:18], 1.0
	v_rcp_f64_e32 v[21:22], v[19:20]
	s_delay_alu instid0(TRANS32_DEP_1) | instskip(NEXT) | instid1(VALU_DEP_1)
	v_fma_f64 v[41:42], -v[19:20], v[21:22], 1.0
	v_fma_f64 v[21:22], v[21:22], v[41:42], v[21:22]
	s_delay_alu instid0(VALU_DEP_1) | instskip(NEXT) | instid1(VALU_DEP_1)
	v_fma_f64 v[41:42], -v[19:20], v[21:22], 1.0
	v_fma_f64 v[21:22], v[21:22], v[41:42], v[21:22]
	s_delay_alu instid0(VALU_DEP_1) | instskip(NEXT) | instid1(VALU_DEP_1)
	v_mul_f64_e32 v[41:42], v[43:44], v[21:22]
	v_fma_f64 v[19:20], -v[19:20], v[41:42], v[43:44]
	s_wait_alu 0xfffd
	s_delay_alu instid0(VALU_DEP_1) | instskip(SKIP_1) | instid1(VALU_DEP_2)
	v_div_fmas_f64 v[19:20], v[19:20], v[21:22], v[41:42]
	v_fma_f64 v[21:22], v[15:16], v[25:26], v[23:24]
	v_div_fixup_f64 v[17:18], v[19:20], v[17:18], 1.0
	v_fma_f64 v[19:20], -v[15:16], v[23:24], v[25:26]
	s_delay_alu instid0(VALU_DEP_2) | instskip(NEXT) | instid1(VALU_DEP_2)
	v_mul_f64_e32 v[15:16], v[21:22], v[17:18]
	v_mul_f64_e32 v[17:18], v[19:20], v[17:18]
.LBB218_92:                             ;   in Loop: Header=BB218_81 Depth=2
	s_lshl_b32 s39, s37, 4
	ds_store_b128 v40, v[15:18]
	s_wait_alu 0xfffe
	s_add_co_i32 s40, s39, s38
	s_add_co_i32 s37, s39, s37
	s_wait_alu 0xfffe
	v_mov_b32_e32 v19, s40
	s_add_co_i32 s40, s40, -16
	s_wait_alu 0xfffe
	v_mov_b32_e32 v23, s40
	ds_load_b128 v[19:22], v19
	ds_load_b128 v[23:26], v23
	s_wait_dscnt 0x1
	v_mul_f64_e32 v[41:42], v[13:14], v[21:22]
	v_mul_f64_e32 v[21:22], v[11:12], v[21:22]
	s_wait_dscnt 0x0
	v_mul_f64_e32 v[43:44], v[17:18], v[25:26]
	v_mul_f64_e32 v[25:26], v[15:16], v[25:26]
	s_delay_alu instid0(VALU_DEP_4) | instskip(NEXT) | instid1(VALU_DEP_4)
	v_fma_f64 v[41:42], v[11:12], v[19:20], -v[41:42]
	v_fma_f64 v[19:20], v[13:14], v[19:20], v[21:22]
	s_delay_alu instid0(VALU_DEP_4) | instskip(NEXT) | instid1(VALU_DEP_4)
	v_fma_f64 v[43:44], v[15:16], v[23:24], -v[43:44]
	v_fma_f64 v[25:26], v[17:18], v[23:24], v[25:26]
	s_delay_alu instid0(VALU_DEP_4) | instskip(NEXT) | instid1(VALU_DEP_4)
	v_add_f64_e64 v[7:8], v[7:8], -v[41:42]
	v_add_f64_e64 v[9:10], v[9:10], -v[19:20]
	v_mov_b32_e32 v19, s37
	ds_load_b128 v[19:22], v19
	s_wait_dscnt 0x0
	v_cmp_ngt_f64_e64 s37, |v[19:20]|, |v[21:22]|
	v_add_f64_e64 v[23:24], v[7:8], -v[43:44]
	v_add_f64_e64 v[25:26], v[9:10], -v[25:26]
                                        ; implicit-def: $vgpr9_vgpr10
	s_and_b32 vcc_lo, exec_lo, s37
	s_mov_b32 s37, -1
	s_wait_alu 0xfffe
	s_cbranch_vccz .LBB218_94
; %bb.93:                               ;   in Loop: Header=BB218_81 Depth=2
	v_div_scale_f64 v[7:8], null, v[21:22], v[21:22], v[19:20]
	v_div_scale_f64 v[42:43], vcc_lo, v[19:20], v[21:22], v[19:20]
	s_mov_b32 s37, 0
	v_rcp_f64_e32 v[9:10], v[7:8]
	s_delay_alu instid0(TRANS32_DEP_1) | instskip(NEXT) | instid1(VALU_DEP_1)
	v_fma_f64 v[40:41], -v[7:8], v[9:10], 1.0
	v_fma_f64 v[9:10], v[9:10], v[40:41], v[9:10]
	s_delay_alu instid0(VALU_DEP_1) | instskip(NEXT) | instid1(VALU_DEP_1)
	v_fma_f64 v[40:41], -v[7:8], v[9:10], 1.0
	v_fma_f64 v[9:10], v[9:10], v[40:41], v[9:10]
	s_delay_alu instid0(VALU_DEP_1) | instskip(NEXT) | instid1(VALU_DEP_1)
	v_mul_f64_e32 v[40:41], v[42:43], v[9:10]
	v_fma_f64 v[7:8], -v[7:8], v[40:41], v[42:43]
	s_wait_alu 0xfffd
	s_delay_alu instid0(VALU_DEP_1) | instskip(NEXT) | instid1(VALU_DEP_1)
	v_div_fmas_f64 v[7:8], v[7:8], v[9:10], v[40:41]
	v_div_fixup_f64 v[7:8], v[7:8], v[21:22], v[19:20]
	s_delay_alu instid0(VALU_DEP_1) | instskip(NEXT) | instid1(VALU_DEP_1)
	v_fma_f64 v[9:10], v[19:20], v[7:8], v[21:22]
	v_div_scale_f64 v[40:41], null, v[9:10], v[9:10], 1.0
	v_div_scale_f64 v[46:47], vcc_lo, 1.0, v[9:10], 1.0
	s_delay_alu instid0(VALU_DEP_2) | instskip(NEXT) | instid1(TRANS32_DEP_1)
	v_rcp_f64_e32 v[42:43], v[40:41]
	v_fma_f64 v[44:45], -v[40:41], v[42:43], 1.0
	s_delay_alu instid0(VALU_DEP_1) | instskip(NEXT) | instid1(VALU_DEP_1)
	v_fma_f64 v[42:43], v[42:43], v[44:45], v[42:43]
	v_fma_f64 v[44:45], -v[40:41], v[42:43], 1.0
	s_delay_alu instid0(VALU_DEP_1) | instskip(NEXT) | instid1(VALU_DEP_1)
	v_fma_f64 v[42:43], v[42:43], v[44:45], v[42:43]
	v_mul_f64_e32 v[44:45], v[46:47], v[42:43]
	s_delay_alu instid0(VALU_DEP_1) | instskip(SKIP_1) | instid1(VALU_DEP_1)
	v_fma_f64 v[40:41], -v[40:41], v[44:45], v[46:47]
	s_wait_alu 0xfffd
	v_div_fmas_f64 v[40:41], v[40:41], v[42:43], v[44:45]
	v_fma_f64 v[42:43], v[7:8], v[23:24], v[25:26]
	s_delay_alu instid0(VALU_DEP_2) | instskip(SKIP_1) | instid1(VALU_DEP_2)
	v_div_fixup_f64 v[9:10], v[40:41], v[9:10], 1.0
	v_fma_f64 v[40:41], v[7:8], v[25:26], -v[23:24]
	v_mul_f64_e32 v[7:8], v[42:43], v[9:10]
	s_delay_alu instid0(VALU_DEP_2)
	v_mul_f64_e32 v[9:10], v[40:41], v[9:10]
.LBB218_94:                             ;   in Loop: Header=BB218_81 Depth=2
	s_wait_alu 0xfffe
	s_and_not1_b32 vcc_lo, exec_lo, s37
	s_wait_alu 0xfffe
	s_cbranch_vccnz .LBB218_96
; %bb.95:                               ;   in Loop: Header=BB218_81 Depth=2
	v_div_scale_f64 v[7:8], null, v[19:20], v[19:20], v[21:22]
	v_div_scale_f64 v[42:43], vcc_lo, v[21:22], v[19:20], v[21:22]
	s_delay_alu instid0(VALU_DEP_2) | instskip(NEXT) | instid1(TRANS32_DEP_1)
	v_rcp_f64_e32 v[9:10], v[7:8]
	v_fma_f64 v[40:41], -v[7:8], v[9:10], 1.0
	s_delay_alu instid0(VALU_DEP_1) | instskip(NEXT) | instid1(VALU_DEP_1)
	v_fma_f64 v[9:10], v[9:10], v[40:41], v[9:10]
	v_fma_f64 v[40:41], -v[7:8], v[9:10], 1.0
	s_delay_alu instid0(VALU_DEP_1) | instskip(NEXT) | instid1(VALU_DEP_1)
	v_fma_f64 v[9:10], v[9:10], v[40:41], v[9:10]
	v_mul_f64_e32 v[40:41], v[42:43], v[9:10]
	s_delay_alu instid0(VALU_DEP_1) | instskip(SKIP_1) | instid1(VALU_DEP_1)
	v_fma_f64 v[7:8], -v[7:8], v[40:41], v[42:43]
	s_wait_alu 0xfffd
	v_div_fmas_f64 v[7:8], v[7:8], v[9:10], v[40:41]
	s_delay_alu instid0(VALU_DEP_1) | instskip(NEXT) | instid1(VALU_DEP_1)
	v_div_fixup_f64 v[7:8], v[7:8], v[19:20], v[21:22]
	v_fma_f64 v[9:10], v[21:22], v[7:8], v[19:20]
	s_delay_alu instid0(VALU_DEP_1) | instskip(SKIP_1) | instid1(VALU_DEP_2)
	v_div_scale_f64 v[19:20], null, v[9:10], v[9:10], 1.0
	v_div_scale_f64 v[42:43], vcc_lo, 1.0, v[9:10], 1.0
	v_rcp_f64_e32 v[21:22], v[19:20]
	s_delay_alu instid0(TRANS32_DEP_1) | instskip(NEXT) | instid1(VALU_DEP_1)
	v_fma_f64 v[40:41], -v[19:20], v[21:22], 1.0
	v_fma_f64 v[21:22], v[21:22], v[40:41], v[21:22]
	s_delay_alu instid0(VALU_DEP_1) | instskip(NEXT) | instid1(VALU_DEP_1)
	v_fma_f64 v[40:41], -v[19:20], v[21:22], 1.0
	v_fma_f64 v[21:22], v[21:22], v[40:41], v[21:22]
	s_delay_alu instid0(VALU_DEP_1) | instskip(NEXT) | instid1(VALU_DEP_1)
	v_mul_f64_e32 v[40:41], v[42:43], v[21:22]
	v_fma_f64 v[19:20], -v[19:20], v[40:41], v[42:43]
	s_wait_alu 0xfffd
	s_delay_alu instid0(VALU_DEP_1) | instskip(SKIP_1) | instid1(VALU_DEP_2)
	v_div_fmas_f64 v[19:20], v[19:20], v[21:22], v[40:41]
	v_fma_f64 v[21:22], v[7:8], v[25:26], v[23:24]
	v_div_fixup_f64 v[9:10], v[19:20], v[9:10], 1.0
	v_fma_f64 v[19:20], -v[7:8], v[23:24], v[25:26]
	s_delay_alu instid0(VALU_DEP_2) | instskip(NEXT) | instid1(VALU_DEP_2)
	v_mul_f64_e32 v[7:8], v[21:22], v[9:10]
	v_mul_f64_e32 v[9:10], v[19:20], v[9:10]
.LBB218_96:                             ;   in Loop: Header=BB218_81 Depth=2
	s_lshl_b32 s37, s36, 4
	ds_store_b128 v39, v[7:10]
	s_wait_alu 0xfffe
	s_add_co_i32 s38, s37, s38
	s_add_co_i32 s36, s37, s36
	s_wait_alu 0xfffe
	v_mov_b32_e32 v19, s38
	s_add_co_i32 s39, s38, -16
	s_sub_co_i32 s38, s38, 32
	s_wait_alu 0xfffe
	v_mov_b32_e32 v23, s39
	ds_load_b128 v[19:22], v19
	ds_load_b128 v[23:26], v23
	s_wait_dscnt 0x1
	v_mul_f64_e32 v[40:41], v[13:14], v[21:22]
	v_mul_f64_e32 v[21:22], v[11:12], v[21:22]
	s_delay_alu instid0(VALU_DEP_2) | instskip(SKIP_1) | instid1(VALU_DEP_3)
	v_fma_f64 v[40:41], v[11:12], v[19:20], -v[40:41]
	v_mov_b32_e32 v11, s38
	v_fma_f64 v[44:45], v[13:14], v[19:20], v[21:22]
	ds_load_b128 v[19:22], v11
	s_wait_dscnt 0x1
	v_mul_f64_e32 v[42:43], v[17:18], v[25:26]
	v_mul_f64_e32 v[25:26], v[15:16], v[25:26]
	v_mov_b32_e32 v11, s36
	ds_load_b128 v[11:14], v11
	s_wait_dscnt 0x1
	v_mul_f64_e32 v[46:47], v[9:10], v[21:22]
	v_mul_f64_e32 v[21:22], v[7:8], v[21:22]
	s_wait_dscnt 0x0
	v_cmp_ngt_f64_e64 s36, |v[11:12]|, |v[13:14]|
	v_add_f64_e64 v[3:4], v[3:4], -v[40:41]
	v_add_f64_e64 v[5:6], v[5:6], -v[44:45]
	v_fma_f64 v[15:16], v[15:16], v[23:24], -v[42:43]
	v_fma_f64 v[17:18], v[17:18], v[23:24], v[25:26]
	v_fma_f64 v[23:24], v[7:8], v[19:20], -v[46:47]
	v_fma_f64 v[19:20], v[9:10], v[19:20], v[21:22]
	s_and_b32 vcc_lo, exec_lo, s36
	s_mov_b32 s36, -1
	s_delay_alu instid0(VALU_DEP_4) | instskip(NEXT) | instid1(VALU_DEP_4)
	v_add_f64_e64 v[3:4], v[3:4], -v[15:16]
	v_add_f64_e64 v[5:6], v[5:6], -v[17:18]
	s_delay_alu instid0(VALU_DEP_2) | instskip(NEXT) | instid1(VALU_DEP_2)
	v_add_f64_e64 v[15:16], v[3:4], -v[23:24]
	v_add_f64_e64 v[17:18], v[5:6], -v[19:20]
                                        ; implicit-def: $vgpr5_vgpr6
	s_wait_alu 0xfffe
	s_cbranch_vccz .LBB218_98
; %bb.97:                               ;   in Loop: Header=BB218_81 Depth=2
	v_div_scale_f64 v[3:4], null, v[13:14], v[13:14], v[11:12]
	v_div_scale_f64 v[9:10], vcc_lo, v[11:12], v[13:14], v[11:12]
	s_mov_b32 s36, 0
	v_rcp_f64_e32 v[5:6], v[3:4]
	s_delay_alu instid0(TRANS32_DEP_1) | instskip(NEXT) | instid1(VALU_DEP_1)
	v_fma_f64 v[7:8], -v[3:4], v[5:6], 1.0
	v_fma_f64 v[5:6], v[5:6], v[7:8], v[5:6]
	s_delay_alu instid0(VALU_DEP_1) | instskip(NEXT) | instid1(VALU_DEP_1)
	v_fma_f64 v[7:8], -v[3:4], v[5:6], 1.0
	v_fma_f64 v[5:6], v[5:6], v[7:8], v[5:6]
	s_delay_alu instid0(VALU_DEP_1) | instskip(NEXT) | instid1(VALU_DEP_1)
	v_mul_f64_e32 v[7:8], v[9:10], v[5:6]
	v_fma_f64 v[3:4], -v[3:4], v[7:8], v[9:10]
	s_wait_alu 0xfffd
	s_delay_alu instid0(VALU_DEP_1) | instskip(NEXT) | instid1(VALU_DEP_1)
	v_div_fmas_f64 v[3:4], v[3:4], v[5:6], v[7:8]
	v_div_fixup_f64 v[3:4], v[3:4], v[13:14], v[11:12]
	s_delay_alu instid0(VALU_DEP_1) | instskip(NEXT) | instid1(VALU_DEP_1)
	v_fma_f64 v[5:6], v[11:12], v[3:4], v[13:14]
	v_div_scale_f64 v[7:8], null, v[5:6], v[5:6], 1.0
	v_div_scale_f64 v[21:22], vcc_lo, 1.0, v[5:6], 1.0
	s_delay_alu instid0(VALU_DEP_2) | instskip(NEXT) | instid1(TRANS32_DEP_1)
	v_rcp_f64_e32 v[9:10], v[7:8]
	v_fma_f64 v[19:20], -v[7:8], v[9:10], 1.0
	s_delay_alu instid0(VALU_DEP_1) | instskip(NEXT) | instid1(VALU_DEP_1)
	v_fma_f64 v[9:10], v[9:10], v[19:20], v[9:10]
	v_fma_f64 v[19:20], -v[7:8], v[9:10], 1.0
	s_delay_alu instid0(VALU_DEP_1) | instskip(NEXT) | instid1(VALU_DEP_1)
	v_fma_f64 v[9:10], v[9:10], v[19:20], v[9:10]
	v_mul_f64_e32 v[19:20], v[21:22], v[9:10]
	s_delay_alu instid0(VALU_DEP_1) | instskip(SKIP_1) | instid1(VALU_DEP_1)
	v_fma_f64 v[7:8], -v[7:8], v[19:20], v[21:22]
	s_wait_alu 0xfffd
	v_div_fmas_f64 v[7:8], v[7:8], v[9:10], v[19:20]
	v_fma_f64 v[9:10], v[3:4], v[15:16], v[17:18]
	s_delay_alu instid0(VALU_DEP_2) | instskip(SKIP_1) | instid1(VALU_DEP_2)
	v_div_fixup_f64 v[5:6], v[7:8], v[5:6], 1.0
	v_fma_f64 v[7:8], v[3:4], v[17:18], -v[15:16]
	v_mul_f64_e32 v[3:4], v[9:10], v[5:6]
	s_delay_alu instid0(VALU_DEP_2)
	v_mul_f64_e32 v[5:6], v[7:8], v[5:6]
.LBB218_98:                             ;   in Loop: Header=BB218_81 Depth=2
	s_wait_alu 0xfffe
	s_and_not1_b32 vcc_lo, exec_lo, s36
	s_wait_alu 0xfffe
	s_cbranch_vccnz .LBB218_100
; %bb.99:                               ;   in Loop: Header=BB218_81 Depth=2
	v_div_scale_f64 v[3:4], null, v[11:12], v[11:12], v[13:14]
	v_div_scale_f64 v[9:10], vcc_lo, v[13:14], v[11:12], v[13:14]
	s_delay_alu instid0(VALU_DEP_2) | instskip(NEXT) | instid1(TRANS32_DEP_1)
	v_rcp_f64_e32 v[5:6], v[3:4]
	v_fma_f64 v[7:8], -v[3:4], v[5:6], 1.0
	s_delay_alu instid0(VALU_DEP_1) | instskip(NEXT) | instid1(VALU_DEP_1)
	v_fma_f64 v[5:6], v[5:6], v[7:8], v[5:6]
	v_fma_f64 v[7:8], -v[3:4], v[5:6], 1.0
	s_delay_alu instid0(VALU_DEP_1) | instskip(NEXT) | instid1(VALU_DEP_1)
	v_fma_f64 v[5:6], v[5:6], v[7:8], v[5:6]
	v_mul_f64_e32 v[7:8], v[9:10], v[5:6]
	s_delay_alu instid0(VALU_DEP_1) | instskip(SKIP_1) | instid1(VALU_DEP_1)
	v_fma_f64 v[3:4], -v[3:4], v[7:8], v[9:10]
	s_wait_alu 0xfffd
	v_div_fmas_f64 v[3:4], v[3:4], v[5:6], v[7:8]
	s_delay_alu instid0(VALU_DEP_1) | instskip(NEXT) | instid1(VALU_DEP_1)
	v_div_fixup_f64 v[3:4], v[3:4], v[11:12], v[13:14]
	v_fma_f64 v[5:6], v[13:14], v[3:4], v[11:12]
	s_delay_alu instid0(VALU_DEP_1) | instskip(SKIP_1) | instid1(VALU_DEP_2)
	v_div_scale_f64 v[7:8], null, v[5:6], v[5:6], 1.0
	v_div_scale_f64 v[13:14], vcc_lo, 1.0, v[5:6], 1.0
	v_rcp_f64_e32 v[9:10], v[7:8]
	s_delay_alu instid0(TRANS32_DEP_1) | instskip(NEXT) | instid1(VALU_DEP_1)
	v_fma_f64 v[11:12], -v[7:8], v[9:10], 1.0
	v_fma_f64 v[9:10], v[9:10], v[11:12], v[9:10]
	s_delay_alu instid0(VALU_DEP_1) | instskip(NEXT) | instid1(VALU_DEP_1)
	v_fma_f64 v[11:12], -v[7:8], v[9:10], 1.0
	v_fma_f64 v[9:10], v[9:10], v[11:12], v[9:10]
	s_delay_alu instid0(VALU_DEP_1) | instskip(NEXT) | instid1(VALU_DEP_1)
	v_mul_f64_e32 v[11:12], v[13:14], v[9:10]
	v_fma_f64 v[7:8], -v[7:8], v[11:12], v[13:14]
	s_wait_alu 0xfffd
	s_delay_alu instid0(VALU_DEP_1) | instskip(SKIP_1) | instid1(VALU_DEP_2)
	v_div_fmas_f64 v[7:8], v[7:8], v[9:10], v[11:12]
	v_fma_f64 v[9:10], v[3:4], v[17:18], v[15:16]
	v_div_fixup_f64 v[5:6], v[7:8], v[5:6], 1.0
	v_fma_f64 v[7:8], -v[3:4], v[15:16], v[17:18]
	s_delay_alu instid0(VALU_DEP_2) | instskip(NEXT) | instid1(VALU_DEP_2)
	v_mul_f64_e32 v[3:4], v[9:10], v[5:6]
	v_mul_f64_e32 v[5:6], v[7:8], v[5:6]
.LBB218_100:                            ;   in Loop: Header=BB218_81 Depth=2
	s_add_co_i32 s36, s19, -4
	s_addk_co_i32 s18, 0xfc00
	s_cmp_lt_i32 s19, 7
	ds_store_b128 v38, v[3:6]
	s_cbranch_scc1 .LBB218_102
; %bb.101:                              ;   in Loop: Header=BB218_81 Depth=2
	s_wait_alu 0xfffe
	s_mov_b32 s19, s36
	s_branch .LBB218_81
.LBB218_102:                            ;   in Loop: Header=BB218_3 Depth=1
	s_wait_alu 0xfffe
	s_cmp_lt_i32 s36, 0
	s_cbranch_scc1 .LBB218_111
; %bb.103:                              ;   in Loop: Header=BB218_3 Depth=1
	s_lshl_b32 s18, s36, 8
	s_wait_alu 0xfffe
	s_add_co_i32 s18, s25, s18
	s_branch .LBB218_105
.LBB218_104:                            ;   in Loop: Header=BB218_105 Depth=2
	v_sub_co_u32 v3, s19, s36, 1
	s_and_b32 vcc_lo, exec_lo, s19
	s_addk_co_i32 s18, 0xff00
	ds_store_b128 v15, v[11:14]
	v_readfirstlane_b32 s36, v3
	s_wait_alu 0xfffe
	s_cbranch_vccnz .LBB218_111
.LBB218_105:                            ;   Parent Loop BB218_3 Depth=1
                                        ; =>  This Loop Header: Depth=2
                                        ;       Child Loop BB218_106 Depth 3
	s_wait_alu 0xf1ff
	v_lshl_add_u32 v15, s36, 8, v30
	v_mov_b32_e32 v7, v36
	s_cmp_le_i32 s29, s36
	s_wait_alu 0xfffe
	s_mov_b32 s19, s18
	s_mov_b32 s37, s29
	ds_load_b128 v[3:6], v15
	s_cbranch_scc1 .LBB218_107
.LBB218_106:                            ;   Parent Loop BB218_3 Depth=1
                                        ;     Parent Loop BB218_105 Depth=2
                                        ; =>    This Inner Loop Header: Depth=3
	s_wait_alu 0xfffe
	v_mov_b32_e32 v12, s19
	s_add_co_i32 s37, s37, -1
	s_add_co_i32 s19, s19, -16
	s_wait_alu 0xfffe
	s_cmp_le_u32 s37, s36
	ds_load_b128 v[8:11], v7
	ds_load_b128 v[16:19], v12
	v_add_nc_u32_e32 v7, 0xffffff00, v7
	s_wait_dscnt 0x0
	v_mul_f64_e32 v[12:13], v[18:19], v[10:11]
	v_mul_f64_e32 v[10:11], v[16:17], v[10:11]
	s_delay_alu instid0(VALU_DEP_2) | instskip(NEXT) | instid1(VALU_DEP_2)
	v_fma_f64 v[12:13], v[16:17], v[8:9], -v[12:13]
	v_fma_f64 v[8:9], v[18:19], v[8:9], v[10:11]
	s_delay_alu instid0(VALU_DEP_2) | instskip(NEXT) | instid1(VALU_DEP_2)
	v_add_f64_e64 v[3:4], v[3:4], -v[12:13]
	v_add_f64_e64 v[5:6], v[5:6], -v[8:9]
	s_cbranch_scc0 .LBB218_106
.LBB218_107:                            ;   in Loop: Header=BB218_105 Depth=2
	s_mul_i32 s19, s36, 0x110
                                        ; implicit-def: $vgpr11_vgpr12
	s_wait_alu 0xfffe
	v_mov_b32_e32 v7, s19
	ds_load_b128 v[7:10], v7
	s_wait_dscnt 0x0
	v_cmp_ngt_f64_e64 s19, |v[7:8]|, |v[9:10]|
	s_and_b32 vcc_lo, exec_lo, s19
	s_mov_b32 s19, -1
	s_wait_alu 0xfffe
	s_cbranch_vccz .LBB218_109
; %bb.108:                              ;   in Loop: Header=BB218_105 Depth=2
	v_div_scale_f64 v[11:12], null, v[9:10], v[9:10], v[7:8]
	v_div_scale_f64 v[18:19], vcc_lo, v[7:8], v[9:10], v[7:8]
	s_mov_b32 s19, 0
	v_rcp_f64_e32 v[13:14], v[11:12]
	s_delay_alu instid0(TRANS32_DEP_1) | instskip(NEXT) | instid1(VALU_DEP_1)
	v_fma_f64 v[16:17], -v[11:12], v[13:14], 1.0
	v_fma_f64 v[13:14], v[13:14], v[16:17], v[13:14]
	s_delay_alu instid0(VALU_DEP_1) | instskip(NEXT) | instid1(VALU_DEP_1)
	v_fma_f64 v[16:17], -v[11:12], v[13:14], 1.0
	v_fma_f64 v[13:14], v[13:14], v[16:17], v[13:14]
	s_delay_alu instid0(VALU_DEP_1) | instskip(NEXT) | instid1(VALU_DEP_1)
	v_mul_f64_e32 v[16:17], v[18:19], v[13:14]
	v_fma_f64 v[11:12], -v[11:12], v[16:17], v[18:19]
	s_wait_alu 0xfffd
	s_delay_alu instid0(VALU_DEP_1) | instskip(NEXT) | instid1(VALU_DEP_1)
	v_div_fmas_f64 v[11:12], v[11:12], v[13:14], v[16:17]
	v_div_fixup_f64 v[11:12], v[11:12], v[9:10], v[7:8]
	s_delay_alu instid0(VALU_DEP_1) | instskip(NEXT) | instid1(VALU_DEP_1)
	v_fma_f64 v[13:14], v[7:8], v[11:12], v[9:10]
	v_div_scale_f64 v[16:17], null, v[13:14], v[13:14], 1.0
	v_div_scale_f64 v[22:23], vcc_lo, 1.0, v[13:14], 1.0
	s_delay_alu instid0(VALU_DEP_2) | instskip(NEXT) | instid1(TRANS32_DEP_1)
	v_rcp_f64_e32 v[18:19], v[16:17]
	v_fma_f64 v[20:21], -v[16:17], v[18:19], 1.0
	s_delay_alu instid0(VALU_DEP_1) | instskip(NEXT) | instid1(VALU_DEP_1)
	v_fma_f64 v[18:19], v[18:19], v[20:21], v[18:19]
	v_fma_f64 v[20:21], -v[16:17], v[18:19], 1.0
	s_delay_alu instid0(VALU_DEP_1) | instskip(NEXT) | instid1(VALU_DEP_1)
	v_fma_f64 v[18:19], v[18:19], v[20:21], v[18:19]
	v_mul_f64_e32 v[20:21], v[22:23], v[18:19]
	s_delay_alu instid0(VALU_DEP_1) | instskip(SKIP_1) | instid1(VALU_DEP_1)
	v_fma_f64 v[16:17], -v[16:17], v[20:21], v[22:23]
	s_wait_alu 0xfffd
	v_div_fmas_f64 v[16:17], v[16:17], v[18:19], v[20:21]
	v_fma_f64 v[18:19], v[3:4], v[11:12], v[5:6]
	s_delay_alu instid0(VALU_DEP_2) | instskip(SKIP_1) | instid1(VALU_DEP_2)
	v_div_fixup_f64 v[13:14], v[16:17], v[13:14], 1.0
	v_fma_f64 v[16:17], v[5:6], v[11:12], -v[3:4]
	v_mul_f64_e32 v[11:12], v[18:19], v[13:14]
	s_delay_alu instid0(VALU_DEP_2)
	v_mul_f64_e32 v[13:14], v[16:17], v[13:14]
.LBB218_109:                            ;   in Loop: Header=BB218_105 Depth=2
	s_wait_alu 0xfffe
	s_and_not1_b32 vcc_lo, exec_lo, s19
	s_wait_alu 0xfffe
	s_cbranch_vccnz .LBB218_104
; %bb.110:                              ;   in Loop: Header=BB218_105 Depth=2
	v_div_scale_f64 v[11:12], null, v[7:8], v[7:8], v[9:10]
	v_div_scale_f64 v[18:19], vcc_lo, v[9:10], v[7:8], v[9:10]
	s_delay_alu instid0(VALU_DEP_2) | instskip(NEXT) | instid1(TRANS32_DEP_1)
	v_rcp_f64_e32 v[13:14], v[11:12]
	v_fma_f64 v[16:17], -v[11:12], v[13:14], 1.0
	s_delay_alu instid0(VALU_DEP_1) | instskip(NEXT) | instid1(VALU_DEP_1)
	v_fma_f64 v[13:14], v[13:14], v[16:17], v[13:14]
	v_fma_f64 v[16:17], -v[11:12], v[13:14], 1.0
	s_delay_alu instid0(VALU_DEP_1) | instskip(NEXT) | instid1(VALU_DEP_1)
	v_fma_f64 v[13:14], v[13:14], v[16:17], v[13:14]
	v_mul_f64_e32 v[16:17], v[18:19], v[13:14]
	s_delay_alu instid0(VALU_DEP_1) | instskip(SKIP_1) | instid1(VALU_DEP_1)
	v_fma_f64 v[11:12], -v[11:12], v[16:17], v[18:19]
	s_wait_alu 0xfffd
	v_div_fmas_f64 v[11:12], v[11:12], v[13:14], v[16:17]
	s_delay_alu instid0(VALU_DEP_1) | instskip(NEXT) | instid1(VALU_DEP_1)
	v_div_fixup_f64 v[11:12], v[11:12], v[7:8], v[9:10]
	v_fma_f64 v[7:8], v[9:10], v[11:12], v[7:8]
	s_delay_alu instid0(VALU_DEP_1) | instskip(SKIP_1) | instid1(VALU_DEP_2)
	v_div_scale_f64 v[9:10], null, v[7:8], v[7:8], 1.0
	v_div_scale_f64 v[18:19], vcc_lo, 1.0, v[7:8], 1.0
	v_rcp_f64_e32 v[13:14], v[9:10]
	s_delay_alu instid0(TRANS32_DEP_1) | instskip(NEXT) | instid1(VALU_DEP_1)
	v_fma_f64 v[16:17], -v[9:10], v[13:14], 1.0
	v_fma_f64 v[13:14], v[13:14], v[16:17], v[13:14]
	s_delay_alu instid0(VALU_DEP_1) | instskip(NEXT) | instid1(VALU_DEP_1)
	v_fma_f64 v[16:17], -v[9:10], v[13:14], 1.0
	v_fma_f64 v[13:14], v[13:14], v[16:17], v[13:14]
	s_delay_alu instid0(VALU_DEP_1) | instskip(NEXT) | instid1(VALU_DEP_1)
	v_mul_f64_e32 v[16:17], v[18:19], v[13:14]
	v_fma_f64 v[9:10], -v[9:10], v[16:17], v[18:19]
	s_wait_alu 0xfffd
	s_delay_alu instid0(VALU_DEP_1) | instskip(SKIP_2) | instid1(VALU_DEP_3)
	v_div_fmas_f64 v[9:10], v[9:10], v[13:14], v[16:17]
	v_fma_f64 v[13:14], v[5:6], v[11:12], v[3:4]
	v_fma_f64 v[3:4], -v[3:4], v[11:12], v[5:6]
	v_div_fixup_f64 v[7:8], v[9:10], v[7:8], 1.0
	s_delay_alu instid0(VALU_DEP_1) | instskip(NEXT) | instid1(VALU_DEP_3)
	v_mul_f64_e32 v[11:12], v[13:14], v[7:8]
	v_mul_f64_e32 v[13:14], v[3:4], v[7:8]
	s_branch .LBB218_104
.LBB218_111:                            ;   in Loop: Header=BB218_3 Depth=1
	s_mov_b32 s18, 0
.LBB218_112:                            ;   in Loop: Header=BB218_3 Depth=1
	s_wait_alu 0xfffe
	s_and_not1_b32 vcc_lo, exec_lo, s18
	s_wait_alu 0xfffe
	s_cbranch_vccnz .LBB218_144
; %bb.113:                              ;   in Loop: Header=BB218_3 Depth=1
	s_and_not1_b32 vcc_lo, exec_lo, s34
	s_mov_b32 s36, 0
	s_wait_alu 0xfffe
	s_cbranch_vccnz .LBB218_135
; %bb.114:                              ;   in Loop: Header=BB218_3 Depth=1
	s_mov_b32 s18, 0
	s_mov_b32 s19, 0
.LBB218_115:                            ;   Parent Loop BB218_3 Depth=1
                                        ; =>  This Loop Header: Depth=2
                                        ;       Child Loop BB218_116 Depth 3
	s_wait_alu 0xfffe
	s_or_b32 s37, s19, 1
	v_lshl_add_u32 v41, s19, 8, v30
	s_or_b32 s38, s19, 2
	s_or_b32 s36, s19, 3
	s_wait_alu 0xfffe
	v_lshl_add_u32 v40, s37, 8, v30
	v_lshl_add_u32 v39, s38, 8, v30
	;; [unrolled: 1-line block ×3, first 2 shown]
	ds_load_b128 v[19:22], v41
	ds_load_b128 v[15:18], v40
	;; [unrolled: 1-line block ×4, first 2 shown]
	v_mov_b32_e32 v11, v30
	s_cmp_eq_u32 s19, 0
	s_mov_b32 s39, s18
	s_mov_b32 s40, s19
	s_cbranch_scc1 .LBB218_117
.LBB218_116:                            ;   Parent Loop BB218_3 Depth=1
                                        ;     Parent Loop BB218_115 Depth=2
                                        ; =>    This Inner Loop Header: Depth=3
	s_wait_alu 0xfffe
	v_mov_b32_e32 v12, s39
	s_add_co_i32 s40, s40, -1
	s_add_co_i32 s39, s39, 16
	s_wait_alu 0xfffe
	s_cmp_eq_u32 s40, 0
	ds_load_b128 v[23:26], v11
	ds_load_b128 v[42:45], v12
	ds_load_b128 v[46:49], v12 offset:256
	ds_load_b128 v[50:53], v12 offset:512
	;; [unrolled: 1-line block ×3, first 2 shown]
	v_add_nc_u32_e32 v11, 0x100, v11
	s_wait_dscnt 0x3
	v_mul_f64_e32 v[12:13], v[25:26], v[44:45]
	v_mul_f64_e32 v[44:45], v[23:24], v[44:45]
	s_wait_dscnt 0x2
	v_mul_f64_e32 v[58:59], v[25:26], v[48:49]
	v_mul_f64_e32 v[48:49], v[23:24], v[48:49]
	;; [unrolled: 3-line block ×4, first 2 shown]
	v_fma_f64 v[12:13], v[23:24], v[42:43], -v[12:13]
	v_fma_f64 v[42:43], v[25:26], v[42:43], v[44:45]
	v_fma_f64 v[44:45], v[23:24], v[46:47], -v[58:59]
	v_fma_f64 v[46:47], v[25:26], v[46:47], v[48:49]
	v_fma_f64 v[48:49], v[23:24], v[50:51], -v[60:61]
	v_fma_f64 v[50:51], v[25:26], v[50:51], v[52:53]
	v_fma_f64 v[23:24], v[23:24], v[54:55], -v[62:63]
	v_fma_f64 v[25:26], v[25:26], v[54:55], v[56:57]
	v_add_f64_e64 v[19:20], v[19:20], -v[12:13]
	v_add_f64_e64 v[21:22], v[21:22], -v[42:43]
	;; [unrolled: 1-line block ×8, first 2 shown]
	s_cbranch_scc0 .LBB218_116
.LBB218_117:                            ;   in Loop: Header=BB218_115 Depth=2
	s_lshl_b32 s39, s37, 4
	s_lshl_b32 s37, s38, 4
	s_mul_i32 s38, s19, 0x110
	s_lshl_b32 s36, s36, 4
	s_wait_alu 0xfffe
	v_mov_b32_e32 v11, s38
	ds_load_b128 v[23:26], v11
                                        ; implicit-def: $vgpr13_vgpr14
	s_wait_dscnt 0x0
	v_cmp_ngt_f64_e64 s38, |v[23:24]|, |v[25:26]|
	s_and_b32 vcc_lo, exec_lo, s38
	s_mov_b32 s38, -1
	s_wait_alu 0xfffe
	s_cbranch_vccz .LBB218_119
; %bb.118:                              ;   in Loop: Header=BB218_115 Depth=2
	v_div_scale_f64 v[11:12], null, v[25:26], v[25:26], v[23:24]
	v_div_scale_f64 v[44:45], vcc_lo, v[23:24], v[25:26], v[23:24]
	s_mov_b32 s38, 0
	v_rcp_f64_e32 v[13:14], v[11:12]
	s_delay_alu instid0(TRANS32_DEP_1) | instskip(NEXT) | instid1(VALU_DEP_1)
	v_fma_f64 v[42:43], -v[11:12], v[13:14], 1.0
	v_fma_f64 v[13:14], v[13:14], v[42:43], v[13:14]
	s_delay_alu instid0(VALU_DEP_1) | instskip(NEXT) | instid1(VALU_DEP_1)
	v_fma_f64 v[42:43], -v[11:12], v[13:14], 1.0
	v_fma_f64 v[13:14], v[13:14], v[42:43], v[13:14]
	s_delay_alu instid0(VALU_DEP_1) | instskip(NEXT) | instid1(VALU_DEP_1)
	v_mul_f64_e32 v[42:43], v[44:45], v[13:14]
	v_fma_f64 v[11:12], -v[11:12], v[42:43], v[44:45]
	s_wait_alu 0xfffd
	s_delay_alu instid0(VALU_DEP_1) | instskip(NEXT) | instid1(VALU_DEP_1)
	v_div_fmas_f64 v[11:12], v[11:12], v[13:14], v[42:43]
	v_div_fixup_f64 v[11:12], v[11:12], v[25:26], v[23:24]
	s_delay_alu instid0(VALU_DEP_1) | instskip(NEXT) | instid1(VALU_DEP_1)
	v_fma_f64 v[13:14], v[23:24], v[11:12], v[25:26]
	v_div_scale_f64 v[42:43], null, v[13:14], v[13:14], 1.0
	v_div_scale_f64 v[48:49], vcc_lo, 1.0, v[13:14], 1.0
	s_delay_alu instid0(VALU_DEP_2) | instskip(NEXT) | instid1(TRANS32_DEP_1)
	v_rcp_f64_e32 v[44:45], v[42:43]
	v_fma_f64 v[46:47], -v[42:43], v[44:45], 1.0
	s_delay_alu instid0(VALU_DEP_1) | instskip(NEXT) | instid1(VALU_DEP_1)
	v_fma_f64 v[44:45], v[44:45], v[46:47], v[44:45]
	v_fma_f64 v[46:47], -v[42:43], v[44:45], 1.0
	s_delay_alu instid0(VALU_DEP_1) | instskip(NEXT) | instid1(VALU_DEP_1)
	v_fma_f64 v[44:45], v[44:45], v[46:47], v[44:45]
	v_mul_f64_e32 v[46:47], v[48:49], v[44:45]
	s_delay_alu instid0(VALU_DEP_1) | instskip(SKIP_1) | instid1(VALU_DEP_1)
	v_fma_f64 v[42:43], -v[42:43], v[46:47], v[48:49]
	s_wait_alu 0xfffd
	v_div_fmas_f64 v[42:43], v[42:43], v[44:45], v[46:47]
	v_fma_f64 v[44:45], v[19:20], v[11:12], v[21:22]
	s_delay_alu instid0(VALU_DEP_2) | instskip(SKIP_1) | instid1(VALU_DEP_2)
	v_div_fixup_f64 v[13:14], v[42:43], v[13:14], 1.0
	v_fma_f64 v[42:43], v[21:22], v[11:12], -v[19:20]
	v_mul_f64_e32 v[11:12], v[44:45], v[13:14]
	s_delay_alu instid0(VALU_DEP_2)
	v_mul_f64_e32 v[13:14], v[42:43], v[13:14]
.LBB218_119:                            ;   in Loop: Header=BB218_115 Depth=2
	s_wait_alu 0xfffe
	s_and_not1_b32 vcc_lo, exec_lo, s38
	s_wait_alu 0xfffe
	s_cbranch_vccnz .LBB218_121
; %bb.120:                              ;   in Loop: Header=BB218_115 Depth=2
	v_div_scale_f64 v[11:12], null, v[23:24], v[23:24], v[25:26]
	v_div_scale_f64 v[44:45], vcc_lo, v[25:26], v[23:24], v[25:26]
	s_delay_alu instid0(VALU_DEP_2) | instskip(NEXT) | instid1(TRANS32_DEP_1)
	v_rcp_f64_e32 v[13:14], v[11:12]
	v_fma_f64 v[42:43], -v[11:12], v[13:14], 1.0
	s_delay_alu instid0(VALU_DEP_1) | instskip(NEXT) | instid1(VALU_DEP_1)
	v_fma_f64 v[13:14], v[13:14], v[42:43], v[13:14]
	v_fma_f64 v[42:43], -v[11:12], v[13:14], 1.0
	s_delay_alu instid0(VALU_DEP_1) | instskip(NEXT) | instid1(VALU_DEP_1)
	v_fma_f64 v[13:14], v[13:14], v[42:43], v[13:14]
	v_mul_f64_e32 v[42:43], v[44:45], v[13:14]
	s_delay_alu instid0(VALU_DEP_1) | instskip(SKIP_1) | instid1(VALU_DEP_1)
	v_fma_f64 v[11:12], -v[11:12], v[42:43], v[44:45]
	s_wait_alu 0xfffd
	v_div_fmas_f64 v[11:12], v[11:12], v[13:14], v[42:43]
	s_delay_alu instid0(VALU_DEP_1) | instskip(NEXT) | instid1(VALU_DEP_1)
	v_div_fixup_f64 v[11:12], v[11:12], v[23:24], v[25:26]
	v_fma_f64 v[13:14], v[25:26], v[11:12], v[23:24]
	s_delay_alu instid0(VALU_DEP_1) | instskip(SKIP_1) | instid1(VALU_DEP_2)
	v_div_scale_f64 v[23:24], null, v[13:14], v[13:14], 1.0
	v_div_scale_f64 v[44:45], vcc_lo, 1.0, v[13:14], 1.0
	v_rcp_f64_e32 v[25:26], v[23:24]
	s_delay_alu instid0(TRANS32_DEP_1) | instskip(NEXT) | instid1(VALU_DEP_1)
	v_fma_f64 v[42:43], -v[23:24], v[25:26], 1.0
	v_fma_f64 v[25:26], v[25:26], v[42:43], v[25:26]
	s_delay_alu instid0(VALU_DEP_1) | instskip(NEXT) | instid1(VALU_DEP_1)
	v_fma_f64 v[42:43], -v[23:24], v[25:26], 1.0
	v_fma_f64 v[25:26], v[25:26], v[42:43], v[25:26]
	s_delay_alu instid0(VALU_DEP_1) | instskip(NEXT) | instid1(VALU_DEP_1)
	v_mul_f64_e32 v[42:43], v[44:45], v[25:26]
	v_fma_f64 v[23:24], -v[23:24], v[42:43], v[44:45]
	s_wait_alu 0xfffd
	s_delay_alu instid0(VALU_DEP_1) | instskip(SKIP_2) | instid1(VALU_DEP_3)
	v_div_fmas_f64 v[23:24], v[23:24], v[25:26], v[42:43]
	v_fma_f64 v[25:26], v[21:22], v[11:12], v[19:20]
	v_fma_f64 v[19:20], -v[19:20], v[11:12], v[21:22]
	v_div_fixup_f64 v[13:14], v[23:24], v[13:14], 1.0
	s_delay_alu instid0(VALU_DEP_1) | instskip(NEXT) | instid1(VALU_DEP_3)
	v_mul_f64_e32 v[11:12], v[25:26], v[13:14]
	v_mul_f64_e32 v[13:14], v[19:20], v[13:14]
.LBB218_121:                            ;   in Loop: Header=BB218_115 Depth=2
	s_lshl_b32 s40, s39, 4
	s_lshl_b32 s38, s19, 4
	s_wait_alu 0xfffe
	s_add_co_i32 s39, s40, s39
	s_add_co_i32 s41, s40, s38
	ds_store_b128 v41, v[11:14]
	s_wait_alu 0xfffe
	v_mov_b32_e32 v19, s41
	ds_load_b128 v[23:26], v19
	v_mov_b32_e32 v19, s39
	ds_load_b128 v[19:22], v19
	s_wait_dscnt 0x1
	v_mul_f64_e32 v[42:43], v[13:14], v[25:26]
	v_mul_f64_e32 v[25:26], v[11:12], v[25:26]
	s_wait_dscnt 0x0
	v_cmp_ngt_f64_e64 s39, |v[19:20]|, |v[21:22]|
	s_delay_alu instid0(VALU_DEP_3) | instskip(NEXT) | instid1(VALU_DEP_3)
	v_fma_f64 v[42:43], v[11:12], v[23:24], -v[42:43]
	v_fma_f64 v[25:26], v[13:14], v[23:24], v[25:26]
	s_and_b32 vcc_lo, exec_lo, s39
	s_mov_b32 s39, -1
	s_delay_alu instid0(VALU_DEP_2) | instskip(NEXT) | instid1(VALU_DEP_2)
	v_add_f64_e64 v[23:24], v[15:16], -v[42:43]
	v_add_f64_e64 v[25:26], v[17:18], -v[25:26]
                                        ; implicit-def: $vgpr17_vgpr18
	s_wait_alu 0xfffe
	s_cbranch_vccz .LBB218_123
; %bb.122:                              ;   in Loop: Header=BB218_115 Depth=2
	v_div_scale_f64 v[15:16], null, v[21:22], v[21:22], v[19:20]
	v_div_scale_f64 v[43:44], vcc_lo, v[19:20], v[21:22], v[19:20]
	s_mov_b32 s39, 0
	v_rcp_f64_e32 v[17:18], v[15:16]
	s_delay_alu instid0(TRANS32_DEP_1) | instskip(NEXT) | instid1(VALU_DEP_1)
	v_fma_f64 v[41:42], -v[15:16], v[17:18], 1.0
	v_fma_f64 v[17:18], v[17:18], v[41:42], v[17:18]
	s_delay_alu instid0(VALU_DEP_1) | instskip(NEXT) | instid1(VALU_DEP_1)
	v_fma_f64 v[41:42], -v[15:16], v[17:18], 1.0
	v_fma_f64 v[17:18], v[17:18], v[41:42], v[17:18]
	s_delay_alu instid0(VALU_DEP_1) | instskip(NEXT) | instid1(VALU_DEP_1)
	v_mul_f64_e32 v[41:42], v[43:44], v[17:18]
	v_fma_f64 v[15:16], -v[15:16], v[41:42], v[43:44]
	s_wait_alu 0xfffd
	s_delay_alu instid0(VALU_DEP_1) | instskip(NEXT) | instid1(VALU_DEP_1)
	v_div_fmas_f64 v[15:16], v[15:16], v[17:18], v[41:42]
	v_div_fixup_f64 v[15:16], v[15:16], v[21:22], v[19:20]
	s_delay_alu instid0(VALU_DEP_1) | instskip(NEXT) | instid1(VALU_DEP_1)
	v_fma_f64 v[17:18], v[19:20], v[15:16], v[21:22]
	v_div_scale_f64 v[41:42], null, v[17:18], v[17:18], 1.0
	v_div_scale_f64 v[47:48], vcc_lo, 1.0, v[17:18], 1.0
	s_delay_alu instid0(VALU_DEP_2) | instskip(NEXT) | instid1(TRANS32_DEP_1)
	v_rcp_f64_e32 v[43:44], v[41:42]
	v_fma_f64 v[45:46], -v[41:42], v[43:44], 1.0
	s_delay_alu instid0(VALU_DEP_1) | instskip(NEXT) | instid1(VALU_DEP_1)
	v_fma_f64 v[43:44], v[43:44], v[45:46], v[43:44]
	v_fma_f64 v[45:46], -v[41:42], v[43:44], 1.0
	s_delay_alu instid0(VALU_DEP_1) | instskip(NEXT) | instid1(VALU_DEP_1)
	v_fma_f64 v[43:44], v[43:44], v[45:46], v[43:44]
	v_mul_f64_e32 v[45:46], v[47:48], v[43:44]
	s_delay_alu instid0(VALU_DEP_1) | instskip(SKIP_1) | instid1(VALU_DEP_1)
	v_fma_f64 v[41:42], -v[41:42], v[45:46], v[47:48]
	s_wait_alu 0xfffd
	v_div_fmas_f64 v[41:42], v[41:42], v[43:44], v[45:46]
	v_fma_f64 v[43:44], v[15:16], v[23:24], v[25:26]
	s_delay_alu instid0(VALU_DEP_2) | instskip(SKIP_1) | instid1(VALU_DEP_2)
	v_div_fixup_f64 v[17:18], v[41:42], v[17:18], 1.0
	v_fma_f64 v[41:42], v[15:16], v[25:26], -v[23:24]
	v_mul_f64_e32 v[15:16], v[43:44], v[17:18]
	s_delay_alu instid0(VALU_DEP_2)
	v_mul_f64_e32 v[17:18], v[41:42], v[17:18]
.LBB218_123:                            ;   in Loop: Header=BB218_115 Depth=2
	s_wait_alu 0xfffe
	s_and_not1_b32 vcc_lo, exec_lo, s39
	s_wait_alu 0xfffe
	s_cbranch_vccnz .LBB218_125
; %bb.124:                              ;   in Loop: Header=BB218_115 Depth=2
	v_div_scale_f64 v[15:16], null, v[19:20], v[19:20], v[21:22]
	v_div_scale_f64 v[43:44], vcc_lo, v[21:22], v[19:20], v[21:22]
	s_delay_alu instid0(VALU_DEP_2) | instskip(NEXT) | instid1(TRANS32_DEP_1)
	v_rcp_f64_e32 v[17:18], v[15:16]
	v_fma_f64 v[41:42], -v[15:16], v[17:18], 1.0
	s_delay_alu instid0(VALU_DEP_1) | instskip(NEXT) | instid1(VALU_DEP_1)
	v_fma_f64 v[17:18], v[17:18], v[41:42], v[17:18]
	v_fma_f64 v[41:42], -v[15:16], v[17:18], 1.0
	s_delay_alu instid0(VALU_DEP_1) | instskip(NEXT) | instid1(VALU_DEP_1)
	v_fma_f64 v[17:18], v[17:18], v[41:42], v[17:18]
	v_mul_f64_e32 v[41:42], v[43:44], v[17:18]
	s_delay_alu instid0(VALU_DEP_1) | instskip(SKIP_1) | instid1(VALU_DEP_1)
	v_fma_f64 v[15:16], -v[15:16], v[41:42], v[43:44]
	s_wait_alu 0xfffd
	v_div_fmas_f64 v[15:16], v[15:16], v[17:18], v[41:42]
	s_delay_alu instid0(VALU_DEP_1) | instskip(NEXT) | instid1(VALU_DEP_1)
	v_div_fixup_f64 v[15:16], v[15:16], v[19:20], v[21:22]
	v_fma_f64 v[17:18], v[21:22], v[15:16], v[19:20]
	s_delay_alu instid0(VALU_DEP_1) | instskip(SKIP_1) | instid1(VALU_DEP_2)
	v_div_scale_f64 v[19:20], null, v[17:18], v[17:18], 1.0
	v_div_scale_f64 v[43:44], vcc_lo, 1.0, v[17:18], 1.0
	v_rcp_f64_e32 v[21:22], v[19:20]
	s_delay_alu instid0(TRANS32_DEP_1) | instskip(NEXT) | instid1(VALU_DEP_1)
	v_fma_f64 v[41:42], -v[19:20], v[21:22], 1.0
	v_fma_f64 v[21:22], v[21:22], v[41:42], v[21:22]
	s_delay_alu instid0(VALU_DEP_1) | instskip(NEXT) | instid1(VALU_DEP_1)
	v_fma_f64 v[41:42], -v[19:20], v[21:22], 1.0
	v_fma_f64 v[21:22], v[21:22], v[41:42], v[21:22]
	s_delay_alu instid0(VALU_DEP_1) | instskip(NEXT) | instid1(VALU_DEP_1)
	v_mul_f64_e32 v[41:42], v[43:44], v[21:22]
	v_fma_f64 v[19:20], -v[19:20], v[41:42], v[43:44]
	s_wait_alu 0xfffd
	s_delay_alu instid0(VALU_DEP_1) | instskip(SKIP_1) | instid1(VALU_DEP_2)
	v_div_fmas_f64 v[19:20], v[19:20], v[21:22], v[41:42]
	v_fma_f64 v[21:22], v[15:16], v[25:26], v[23:24]
	v_div_fixup_f64 v[17:18], v[19:20], v[17:18], 1.0
	v_fma_f64 v[19:20], -v[15:16], v[23:24], v[25:26]
	s_delay_alu instid0(VALU_DEP_2) | instskip(NEXT) | instid1(VALU_DEP_2)
	v_mul_f64_e32 v[15:16], v[21:22], v[17:18]
	v_mul_f64_e32 v[17:18], v[19:20], v[17:18]
.LBB218_125:                            ;   in Loop: Header=BB218_115 Depth=2
	s_lshl_b32 s39, s37, 4
	s_wait_alu 0xfffe
	s_add_co_i32 s40, s39, s38
	s_add_co_i32 s37, s39, s37
	s_wait_alu 0xfffe
	v_mov_b32_e32 v23, s40
	ds_load_b128 v[19:22], v23
	ds_load_b128 v[23:26], v23 offset:16
	ds_store_b128 v40, v[15:18]
	s_wait_dscnt 0x2
	v_mul_f64_e32 v[41:42], v[13:14], v[21:22]
	v_mul_f64_e32 v[21:22], v[11:12], v[21:22]
	s_wait_dscnt 0x1
	v_mul_f64_e32 v[43:44], v[17:18], v[25:26]
	v_mul_f64_e32 v[25:26], v[15:16], v[25:26]
	s_delay_alu instid0(VALU_DEP_4) | instskip(NEXT) | instid1(VALU_DEP_4)
	v_fma_f64 v[41:42], v[11:12], v[19:20], -v[41:42]
	v_fma_f64 v[19:20], v[13:14], v[19:20], v[21:22]
	s_delay_alu instid0(VALU_DEP_4) | instskip(NEXT) | instid1(VALU_DEP_4)
	v_fma_f64 v[43:44], v[15:16], v[23:24], -v[43:44]
	v_fma_f64 v[25:26], v[17:18], v[23:24], v[25:26]
	s_delay_alu instid0(VALU_DEP_4) | instskip(NEXT) | instid1(VALU_DEP_4)
	v_add_f64_e64 v[7:8], v[7:8], -v[41:42]
	v_add_f64_e64 v[9:10], v[9:10], -v[19:20]
	v_mov_b32_e32 v19, s37
	ds_load_b128 v[19:22], v19
	s_wait_dscnt 0x0
	v_cmp_ngt_f64_e64 s37, |v[19:20]|, |v[21:22]|
	v_add_f64_e64 v[23:24], v[7:8], -v[43:44]
	v_add_f64_e64 v[25:26], v[9:10], -v[25:26]
                                        ; implicit-def: $vgpr9_vgpr10
	s_and_b32 vcc_lo, exec_lo, s37
	s_mov_b32 s37, -1
	s_wait_alu 0xfffe
	s_cbranch_vccz .LBB218_127
; %bb.126:                              ;   in Loop: Header=BB218_115 Depth=2
	v_div_scale_f64 v[7:8], null, v[21:22], v[21:22], v[19:20]
	v_div_scale_f64 v[42:43], vcc_lo, v[19:20], v[21:22], v[19:20]
	s_mov_b32 s37, 0
	v_rcp_f64_e32 v[9:10], v[7:8]
	s_delay_alu instid0(TRANS32_DEP_1) | instskip(NEXT) | instid1(VALU_DEP_1)
	v_fma_f64 v[40:41], -v[7:8], v[9:10], 1.0
	v_fma_f64 v[9:10], v[9:10], v[40:41], v[9:10]
	s_delay_alu instid0(VALU_DEP_1) | instskip(NEXT) | instid1(VALU_DEP_1)
	v_fma_f64 v[40:41], -v[7:8], v[9:10], 1.0
	v_fma_f64 v[9:10], v[9:10], v[40:41], v[9:10]
	s_delay_alu instid0(VALU_DEP_1) | instskip(NEXT) | instid1(VALU_DEP_1)
	v_mul_f64_e32 v[40:41], v[42:43], v[9:10]
	v_fma_f64 v[7:8], -v[7:8], v[40:41], v[42:43]
	s_wait_alu 0xfffd
	s_delay_alu instid0(VALU_DEP_1) | instskip(NEXT) | instid1(VALU_DEP_1)
	v_div_fmas_f64 v[7:8], v[7:8], v[9:10], v[40:41]
	v_div_fixup_f64 v[7:8], v[7:8], v[21:22], v[19:20]
	s_delay_alu instid0(VALU_DEP_1) | instskip(NEXT) | instid1(VALU_DEP_1)
	v_fma_f64 v[9:10], v[19:20], v[7:8], v[21:22]
	v_div_scale_f64 v[40:41], null, v[9:10], v[9:10], 1.0
	v_div_scale_f64 v[46:47], vcc_lo, 1.0, v[9:10], 1.0
	s_delay_alu instid0(VALU_DEP_2) | instskip(NEXT) | instid1(TRANS32_DEP_1)
	v_rcp_f64_e32 v[42:43], v[40:41]
	v_fma_f64 v[44:45], -v[40:41], v[42:43], 1.0
	s_delay_alu instid0(VALU_DEP_1) | instskip(NEXT) | instid1(VALU_DEP_1)
	v_fma_f64 v[42:43], v[42:43], v[44:45], v[42:43]
	v_fma_f64 v[44:45], -v[40:41], v[42:43], 1.0
	s_delay_alu instid0(VALU_DEP_1) | instskip(NEXT) | instid1(VALU_DEP_1)
	v_fma_f64 v[42:43], v[42:43], v[44:45], v[42:43]
	v_mul_f64_e32 v[44:45], v[46:47], v[42:43]
	s_delay_alu instid0(VALU_DEP_1) | instskip(SKIP_1) | instid1(VALU_DEP_1)
	v_fma_f64 v[40:41], -v[40:41], v[44:45], v[46:47]
	s_wait_alu 0xfffd
	v_div_fmas_f64 v[40:41], v[40:41], v[42:43], v[44:45]
	v_fma_f64 v[42:43], v[7:8], v[23:24], v[25:26]
	s_delay_alu instid0(VALU_DEP_2) | instskip(SKIP_1) | instid1(VALU_DEP_2)
	v_div_fixup_f64 v[9:10], v[40:41], v[9:10], 1.0
	v_fma_f64 v[40:41], v[7:8], v[25:26], -v[23:24]
	v_mul_f64_e32 v[7:8], v[42:43], v[9:10]
	s_delay_alu instid0(VALU_DEP_2)
	v_mul_f64_e32 v[9:10], v[40:41], v[9:10]
.LBB218_127:                            ;   in Loop: Header=BB218_115 Depth=2
	s_wait_alu 0xfffe
	s_and_not1_b32 vcc_lo, exec_lo, s37
	s_wait_alu 0xfffe
	s_cbranch_vccnz .LBB218_129
; %bb.128:                              ;   in Loop: Header=BB218_115 Depth=2
	v_div_scale_f64 v[7:8], null, v[19:20], v[19:20], v[21:22]
	v_div_scale_f64 v[42:43], vcc_lo, v[21:22], v[19:20], v[21:22]
	s_delay_alu instid0(VALU_DEP_2) | instskip(NEXT) | instid1(TRANS32_DEP_1)
	v_rcp_f64_e32 v[9:10], v[7:8]
	v_fma_f64 v[40:41], -v[7:8], v[9:10], 1.0
	s_delay_alu instid0(VALU_DEP_1) | instskip(NEXT) | instid1(VALU_DEP_1)
	v_fma_f64 v[9:10], v[9:10], v[40:41], v[9:10]
	v_fma_f64 v[40:41], -v[7:8], v[9:10], 1.0
	s_delay_alu instid0(VALU_DEP_1) | instskip(NEXT) | instid1(VALU_DEP_1)
	v_fma_f64 v[9:10], v[9:10], v[40:41], v[9:10]
	v_mul_f64_e32 v[40:41], v[42:43], v[9:10]
	s_delay_alu instid0(VALU_DEP_1) | instskip(SKIP_1) | instid1(VALU_DEP_1)
	v_fma_f64 v[7:8], -v[7:8], v[40:41], v[42:43]
	s_wait_alu 0xfffd
	v_div_fmas_f64 v[7:8], v[7:8], v[9:10], v[40:41]
	s_delay_alu instid0(VALU_DEP_1) | instskip(NEXT) | instid1(VALU_DEP_1)
	v_div_fixup_f64 v[7:8], v[7:8], v[19:20], v[21:22]
	v_fma_f64 v[9:10], v[21:22], v[7:8], v[19:20]
	s_delay_alu instid0(VALU_DEP_1) | instskip(SKIP_1) | instid1(VALU_DEP_2)
	v_div_scale_f64 v[19:20], null, v[9:10], v[9:10], 1.0
	v_div_scale_f64 v[42:43], vcc_lo, 1.0, v[9:10], 1.0
	v_rcp_f64_e32 v[21:22], v[19:20]
	s_delay_alu instid0(TRANS32_DEP_1) | instskip(NEXT) | instid1(VALU_DEP_1)
	v_fma_f64 v[40:41], -v[19:20], v[21:22], 1.0
	v_fma_f64 v[21:22], v[21:22], v[40:41], v[21:22]
	s_delay_alu instid0(VALU_DEP_1) | instskip(NEXT) | instid1(VALU_DEP_1)
	v_fma_f64 v[40:41], -v[19:20], v[21:22], 1.0
	v_fma_f64 v[21:22], v[21:22], v[40:41], v[21:22]
	s_delay_alu instid0(VALU_DEP_1) | instskip(NEXT) | instid1(VALU_DEP_1)
	v_mul_f64_e32 v[40:41], v[42:43], v[21:22]
	v_fma_f64 v[19:20], -v[19:20], v[40:41], v[42:43]
	s_wait_alu 0xfffd
	s_delay_alu instid0(VALU_DEP_1) | instskip(SKIP_1) | instid1(VALU_DEP_2)
	v_div_fmas_f64 v[19:20], v[19:20], v[21:22], v[40:41]
	v_fma_f64 v[21:22], v[7:8], v[25:26], v[23:24]
	v_div_fixup_f64 v[9:10], v[19:20], v[9:10], 1.0
	v_fma_f64 v[19:20], -v[7:8], v[23:24], v[25:26]
	s_delay_alu instid0(VALU_DEP_2) | instskip(NEXT) | instid1(VALU_DEP_2)
	v_mul_f64_e32 v[7:8], v[21:22], v[9:10]
	v_mul_f64_e32 v[9:10], v[19:20], v[9:10]
.LBB218_129:                            ;   in Loop: Header=BB218_115 Depth=2
	s_lshl_b32 s37, s36, 4
	s_wait_alu 0xfffe
	s_add_co_i32 s38, s37, s38
	s_add_co_i32 s36, s37, s36
	s_wait_alu 0xfffe
	v_mov_b32_e32 v46, s38
	ds_load_b128 v[19:22], v46
	ds_load_b128 v[23:26], v46 offset:16
	ds_store_b128 v39, v[7:10]
	s_wait_dscnt 0x2
	v_mul_f64_e32 v[40:41], v[13:14], v[21:22]
	v_mul_f64_e32 v[21:22], v[11:12], v[21:22]
	s_wait_dscnt 0x1
	v_mul_f64_e32 v[42:43], v[17:18], v[25:26]
	v_mul_f64_e32 v[25:26], v[15:16], v[25:26]
	s_delay_alu instid0(VALU_DEP_4) | instskip(NEXT) | instid1(VALU_DEP_4)
	v_fma_f64 v[40:41], v[11:12], v[19:20], -v[40:41]
	v_fma_f64 v[44:45], v[13:14], v[19:20], v[21:22]
	v_mov_b32_e32 v11, s36
	ds_load_b128 v[19:22], v46 offset:32
	v_fma_f64 v[15:16], v[15:16], v[23:24], -v[42:43]
	v_fma_f64 v[17:18], v[17:18], v[23:24], v[25:26]
	ds_load_b128 v[11:14], v11
	s_wait_dscnt 0x1
	v_mul_f64_e32 v[46:47], v[9:10], v[21:22]
	v_mul_f64_e32 v[21:22], v[7:8], v[21:22]
	s_wait_dscnt 0x0
	v_cmp_ngt_f64_e64 s36, |v[11:12]|, |v[13:14]|
	v_add_f64_e64 v[3:4], v[3:4], -v[40:41]
	v_add_f64_e64 v[5:6], v[5:6], -v[44:45]
	v_fma_f64 v[23:24], v[7:8], v[19:20], -v[46:47]
	v_fma_f64 v[19:20], v[9:10], v[19:20], v[21:22]
	s_and_b32 vcc_lo, exec_lo, s36
	s_mov_b32 s36, -1
	s_delay_alu instid0(VALU_DEP_4) | instskip(NEXT) | instid1(VALU_DEP_4)
	v_add_f64_e64 v[3:4], v[3:4], -v[15:16]
	v_add_f64_e64 v[5:6], v[5:6], -v[17:18]
	s_delay_alu instid0(VALU_DEP_2) | instskip(NEXT) | instid1(VALU_DEP_2)
	v_add_f64_e64 v[15:16], v[3:4], -v[23:24]
	v_add_f64_e64 v[17:18], v[5:6], -v[19:20]
                                        ; implicit-def: $vgpr5_vgpr6
	s_wait_alu 0xfffe
	s_cbranch_vccz .LBB218_131
; %bb.130:                              ;   in Loop: Header=BB218_115 Depth=2
	v_div_scale_f64 v[3:4], null, v[13:14], v[13:14], v[11:12]
	v_div_scale_f64 v[9:10], vcc_lo, v[11:12], v[13:14], v[11:12]
	s_mov_b32 s36, 0
	v_rcp_f64_e32 v[5:6], v[3:4]
	s_delay_alu instid0(TRANS32_DEP_1) | instskip(NEXT) | instid1(VALU_DEP_1)
	v_fma_f64 v[7:8], -v[3:4], v[5:6], 1.0
	v_fma_f64 v[5:6], v[5:6], v[7:8], v[5:6]
	s_delay_alu instid0(VALU_DEP_1) | instskip(NEXT) | instid1(VALU_DEP_1)
	v_fma_f64 v[7:8], -v[3:4], v[5:6], 1.0
	v_fma_f64 v[5:6], v[5:6], v[7:8], v[5:6]
	s_delay_alu instid0(VALU_DEP_1) | instskip(NEXT) | instid1(VALU_DEP_1)
	v_mul_f64_e32 v[7:8], v[9:10], v[5:6]
	v_fma_f64 v[3:4], -v[3:4], v[7:8], v[9:10]
	s_wait_alu 0xfffd
	s_delay_alu instid0(VALU_DEP_1) | instskip(NEXT) | instid1(VALU_DEP_1)
	v_div_fmas_f64 v[3:4], v[3:4], v[5:6], v[7:8]
	v_div_fixup_f64 v[3:4], v[3:4], v[13:14], v[11:12]
	s_delay_alu instid0(VALU_DEP_1) | instskip(NEXT) | instid1(VALU_DEP_1)
	v_fma_f64 v[5:6], v[11:12], v[3:4], v[13:14]
	v_div_scale_f64 v[7:8], null, v[5:6], v[5:6], 1.0
	v_div_scale_f64 v[21:22], vcc_lo, 1.0, v[5:6], 1.0
	s_delay_alu instid0(VALU_DEP_2) | instskip(NEXT) | instid1(TRANS32_DEP_1)
	v_rcp_f64_e32 v[9:10], v[7:8]
	v_fma_f64 v[19:20], -v[7:8], v[9:10], 1.0
	s_delay_alu instid0(VALU_DEP_1) | instskip(NEXT) | instid1(VALU_DEP_1)
	v_fma_f64 v[9:10], v[9:10], v[19:20], v[9:10]
	v_fma_f64 v[19:20], -v[7:8], v[9:10], 1.0
	s_delay_alu instid0(VALU_DEP_1) | instskip(NEXT) | instid1(VALU_DEP_1)
	v_fma_f64 v[9:10], v[9:10], v[19:20], v[9:10]
	v_mul_f64_e32 v[19:20], v[21:22], v[9:10]
	s_delay_alu instid0(VALU_DEP_1) | instskip(SKIP_1) | instid1(VALU_DEP_1)
	v_fma_f64 v[7:8], -v[7:8], v[19:20], v[21:22]
	s_wait_alu 0xfffd
	v_div_fmas_f64 v[7:8], v[7:8], v[9:10], v[19:20]
	v_fma_f64 v[9:10], v[3:4], v[15:16], v[17:18]
	s_delay_alu instid0(VALU_DEP_2) | instskip(SKIP_1) | instid1(VALU_DEP_2)
	v_div_fixup_f64 v[5:6], v[7:8], v[5:6], 1.0
	v_fma_f64 v[7:8], v[3:4], v[17:18], -v[15:16]
	v_mul_f64_e32 v[3:4], v[9:10], v[5:6]
	s_delay_alu instid0(VALU_DEP_2)
	v_mul_f64_e32 v[5:6], v[7:8], v[5:6]
.LBB218_131:                            ;   in Loop: Header=BB218_115 Depth=2
	s_wait_alu 0xfffe
	s_and_not1_b32 vcc_lo, exec_lo, s36
	s_wait_alu 0xfffe
	s_cbranch_vccnz .LBB218_133
; %bb.132:                              ;   in Loop: Header=BB218_115 Depth=2
	v_div_scale_f64 v[3:4], null, v[11:12], v[11:12], v[13:14]
	v_div_scale_f64 v[9:10], vcc_lo, v[13:14], v[11:12], v[13:14]
	s_delay_alu instid0(VALU_DEP_2) | instskip(NEXT) | instid1(TRANS32_DEP_1)
	v_rcp_f64_e32 v[5:6], v[3:4]
	v_fma_f64 v[7:8], -v[3:4], v[5:6], 1.0
	s_delay_alu instid0(VALU_DEP_1) | instskip(NEXT) | instid1(VALU_DEP_1)
	v_fma_f64 v[5:6], v[5:6], v[7:8], v[5:6]
	v_fma_f64 v[7:8], -v[3:4], v[5:6], 1.0
	s_delay_alu instid0(VALU_DEP_1) | instskip(NEXT) | instid1(VALU_DEP_1)
	v_fma_f64 v[5:6], v[5:6], v[7:8], v[5:6]
	v_mul_f64_e32 v[7:8], v[9:10], v[5:6]
	s_delay_alu instid0(VALU_DEP_1) | instskip(SKIP_1) | instid1(VALU_DEP_1)
	v_fma_f64 v[3:4], -v[3:4], v[7:8], v[9:10]
	s_wait_alu 0xfffd
	v_div_fmas_f64 v[3:4], v[3:4], v[5:6], v[7:8]
	s_delay_alu instid0(VALU_DEP_1) | instskip(NEXT) | instid1(VALU_DEP_1)
	v_div_fixup_f64 v[3:4], v[3:4], v[11:12], v[13:14]
	v_fma_f64 v[5:6], v[13:14], v[3:4], v[11:12]
	s_delay_alu instid0(VALU_DEP_1) | instskip(SKIP_1) | instid1(VALU_DEP_2)
	v_div_scale_f64 v[7:8], null, v[5:6], v[5:6], 1.0
	v_div_scale_f64 v[13:14], vcc_lo, 1.0, v[5:6], 1.0
	v_rcp_f64_e32 v[9:10], v[7:8]
	s_delay_alu instid0(TRANS32_DEP_1) | instskip(NEXT) | instid1(VALU_DEP_1)
	v_fma_f64 v[11:12], -v[7:8], v[9:10], 1.0
	v_fma_f64 v[9:10], v[9:10], v[11:12], v[9:10]
	s_delay_alu instid0(VALU_DEP_1) | instskip(NEXT) | instid1(VALU_DEP_1)
	v_fma_f64 v[11:12], -v[7:8], v[9:10], 1.0
	v_fma_f64 v[9:10], v[9:10], v[11:12], v[9:10]
	s_delay_alu instid0(VALU_DEP_1) | instskip(NEXT) | instid1(VALU_DEP_1)
	v_mul_f64_e32 v[11:12], v[13:14], v[9:10]
	v_fma_f64 v[7:8], -v[7:8], v[11:12], v[13:14]
	s_wait_alu 0xfffd
	s_delay_alu instid0(VALU_DEP_1) | instskip(SKIP_1) | instid1(VALU_DEP_2)
	v_div_fmas_f64 v[7:8], v[7:8], v[9:10], v[11:12]
	v_fma_f64 v[9:10], v[3:4], v[17:18], v[15:16]
	v_div_fixup_f64 v[5:6], v[7:8], v[5:6], 1.0
	v_fma_f64 v[7:8], -v[3:4], v[15:16], v[17:18]
	s_delay_alu instid0(VALU_DEP_2) | instskip(NEXT) | instid1(VALU_DEP_2)
	v_mul_f64_e32 v[3:4], v[9:10], v[5:6]
	v_mul_f64_e32 v[5:6], v[7:8], v[5:6]
.LBB218_133:                            ;   in Loop: Header=BB218_115 Depth=2
	s_add_co_i32 s36, s19, 4
	s_add_co_i32 s19, s19, 7
	s_addk_co_i32 s18, 0x400
	s_wait_alu 0xfffe
	s_cmp_ge_i32 s19, s28
	ds_store_b128 v38, v[3:6]
	s_cbranch_scc1 .LBB218_135
; %bb.134:                              ;   in Loop: Header=BB218_115 Depth=2
	s_mov_b32 s19, s36
	s_branch .LBB218_115
.LBB218_135:                            ;   in Loop: Header=BB218_3 Depth=1
	s_cmp_ge_i32 s36, s28
	s_cbranch_scc1 .LBB218_144
; %bb.136:                              ;   in Loop: Header=BB218_3 Depth=1
	s_lshl_b32 s18, s36, 8
	s_branch .LBB218_138
.LBB218_137:                            ;   in Loop: Header=BB218_138 Depth=2
	s_add_co_i32 s36, s36, 1
	s_addk_co_i32 s18, 0x100
	s_wait_alu 0xfffe
	s_cmp_ge_i32 s36, s28
	ds_store_b128 v15, v[11:14]
	s_cbranch_scc1 .LBB218_144
.LBB218_138:                            ;   Parent Loop BB218_3 Depth=1
                                        ; =>  This Loop Header: Depth=2
                                        ;       Child Loop BB218_139 Depth 3
	v_lshl_add_u32 v15, s36, 8, v30
	v_mov_b32_e32 v7, v30
	s_cmp_eq_u32 s36, 0
	s_wait_alu 0xfffe
	s_mov_b32 s19, s18
	s_mov_b32 s37, s36
	ds_load_b128 v[3:6], v15
	s_cbranch_scc1 .LBB218_140
.LBB218_139:                            ;   Parent Loop BB218_3 Depth=1
                                        ;     Parent Loop BB218_138 Depth=2
                                        ; =>    This Inner Loop Header: Depth=3
	s_wait_alu 0xfffe
	v_mov_b32_e32 v12, s19
	s_add_co_i32 s37, s37, -1
	s_add_co_i32 s19, s19, 16
	s_wait_alu 0xfffe
	s_cmp_eq_u32 s37, 0
	ds_load_b128 v[8:11], v7
	ds_load_b128 v[16:19], v12
	v_add_nc_u32_e32 v7, 0x100, v7
	s_wait_dscnt 0x0
	v_mul_f64_e32 v[12:13], v[18:19], v[10:11]
	v_mul_f64_e32 v[10:11], v[16:17], v[10:11]
	s_delay_alu instid0(VALU_DEP_2) | instskip(NEXT) | instid1(VALU_DEP_2)
	v_fma_f64 v[12:13], v[16:17], v[8:9], -v[12:13]
	v_fma_f64 v[8:9], v[18:19], v[8:9], v[10:11]
	s_delay_alu instid0(VALU_DEP_2) | instskip(NEXT) | instid1(VALU_DEP_2)
	v_add_f64_e64 v[3:4], v[3:4], -v[12:13]
	v_add_f64_e64 v[5:6], v[5:6], -v[8:9]
	s_cbranch_scc0 .LBB218_139
.LBB218_140:                            ;   in Loop: Header=BB218_138 Depth=2
	s_mul_i32 s19, s36, 0x110
                                        ; implicit-def: $vgpr11_vgpr12
	s_wait_alu 0xfffe
	v_mov_b32_e32 v7, s19
	ds_load_b128 v[7:10], v7
	s_wait_dscnt 0x0
	v_cmp_ngt_f64_e64 s19, |v[7:8]|, |v[9:10]|
	s_and_b32 vcc_lo, exec_lo, s19
	s_mov_b32 s19, -1
	s_wait_alu 0xfffe
	s_cbranch_vccz .LBB218_142
; %bb.141:                              ;   in Loop: Header=BB218_138 Depth=2
	v_div_scale_f64 v[11:12], null, v[9:10], v[9:10], v[7:8]
	v_div_scale_f64 v[18:19], vcc_lo, v[7:8], v[9:10], v[7:8]
	s_mov_b32 s19, 0
	v_rcp_f64_e32 v[13:14], v[11:12]
	s_delay_alu instid0(TRANS32_DEP_1) | instskip(NEXT) | instid1(VALU_DEP_1)
	v_fma_f64 v[16:17], -v[11:12], v[13:14], 1.0
	v_fma_f64 v[13:14], v[13:14], v[16:17], v[13:14]
	s_delay_alu instid0(VALU_DEP_1) | instskip(NEXT) | instid1(VALU_DEP_1)
	v_fma_f64 v[16:17], -v[11:12], v[13:14], 1.0
	v_fma_f64 v[13:14], v[13:14], v[16:17], v[13:14]
	s_delay_alu instid0(VALU_DEP_1) | instskip(NEXT) | instid1(VALU_DEP_1)
	v_mul_f64_e32 v[16:17], v[18:19], v[13:14]
	v_fma_f64 v[11:12], -v[11:12], v[16:17], v[18:19]
	s_wait_alu 0xfffd
	s_delay_alu instid0(VALU_DEP_1) | instskip(NEXT) | instid1(VALU_DEP_1)
	v_div_fmas_f64 v[11:12], v[11:12], v[13:14], v[16:17]
	v_div_fixup_f64 v[11:12], v[11:12], v[9:10], v[7:8]
	s_delay_alu instid0(VALU_DEP_1) | instskip(NEXT) | instid1(VALU_DEP_1)
	v_fma_f64 v[13:14], v[7:8], v[11:12], v[9:10]
	v_div_scale_f64 v[16:17], null, v[13:14], v[13:14], 1.0
	v_div_scale_f64 v[22:23], vcc_lo, 1.0, v[13:14], 1.0
	s_delay_alu instid0(VALU_DEP_2) | instskip(NEXT) | instid1(TRANS32_DEP_1)
	v_rcp_f64_e32 v[18:19], v[16:17]
	v_fma_f64 v[20:21], -v[16:17], v[18:19], 1.0
	s_delay_alu instid0(VALU_DEP_1) | instskip(NEXT) | instid1(VALU_DEP_1)
	v_fma_f64 v[18:19], v[18:19], v[20:21], v[18:19]
	v_fma_f64 v[20:21], -v[16:17], v[18:19], 1.0
	s_delay_alu instid0(VALU_DEP_1) | instskip(NEXT) | instid1(VALU_DEP_1)
	v_fma_f64 v[18:19], v[18:19], v[20:21], v[18:19]
	v_mul_f64_e32 v[20:21], v[22:23], v[18:19]
	s_delay_alu instid0(VALU_DEP_1) | instskip(SKIP_1) | instid1(VALU_DEP_1)
	v_fma_f64 v[16:17], -v[16:17], v[20:21], v[22:23]
	s_wait_alu 0xfffd
	v_div_fmas_f64 v[16:17], v[16:17], v[18:19], v[20:21]
	v_fma_f64 v[18:19], v[3:4], v[11:12], v[5:6]
	s_delay_alu instid0(VALU_DEP_2) | instskip(SKIP_1) | instid1(VALU_DEP_2)
	v_div_fixup_f64 v[13:14], v[16:17], v[13:14], 1.0
	v_fma_f64 v[16:17], v[5:6], v[11:12], -v[3:4]
	v_mul_f64_e32 v[11:12], v[18:19], v[13:14]
	s_delay_alu instid0(VALU_DEP_2)
	v_mul_f64_e32 v[13:14], v[16:17], v[13:14]
.LBB218_142:                            ;   in Loop: Header=BB218_138 Depth=2
	s_wait_alu 0xfffe
	s_and_not1_b32 vcc_lo, exec_lo, s19
	s_wait_alu 0xfffe
	s_cbranch_vccnz .LBB218_137
; %bb.143:                              ;   in Loop: Header=BB218_138 Depth=2
	v_div_scale_f64 v[11:12], null, v[7:8], v[7:8], v[9:10]
	v_div_scale_f64 v[18:19], vcc_lo, v[9:10], v[7:8], v[9:10]
	s_delay_alu instid0(VALU_DEP_2) | instskip(NEXT) | instid1(TRANS32_DEP_1)
	v_rcp_f64_e32 v[13:14], v[11:12]
	v_fma_f64 v[16:17], -v[11:12], v[13:14], 1.0
	s_delay_alu instid0(VALU_DEP_1) | instskip(NEXT) | instid1(VALU_DEP_1)
	v_fma_f64 v[13:14], v[13:14], v[16:17], v[13:14]
	v_fma_f64 v[16:17], -v[11:12], v[13:14], 1.0
	s_delay_alu instid0(VALU_DEP_1) | instskip(NEXT) | instid1(VALU_DEP_1)
	v_fma_f64 v[13:14], v[13:14], v[16:17], v[13:14]
	v_mul_f64_e32 v[16:17], v[18:19], v[13:14]
	s_delay_alu instid0(VALU_DEP_1) | instskip(SKIP_1) | instid1(VALU_DEP_1)
	v_fma_f64 v[11:12], -v[11:12], v[16:17], v[18:19]
	s_wait_alu 0xfffd
	v_div_fmas_f64 v[11:12], v[11:12], v[13:14], v[16:17]
	s_delay_alu instid0(VALU_DEP_1) | instskip(NEXT) | instid1(VALU_DEP_1)
	v_div_fixup_f64 v[11:12], v[11:12], v[7:8], v[9:10]
	v_fma_f64 v[7:8], v[9:10], v[11:12], v[7:8]
	s_delay_alu instid0(VALU_DEP_1) | instskip(SKIP_1) | instid1(VALU_DEP_2)
	v_div_scale_f64 v[9:10], null, v[7:8], v[7:8], 1.0
	v_div_scale_f64 v[18:19], vcc_lo, 1.0, v[7:8], 1.0
	v_rcp_f64_e32 v[13:14], v[9:10]
	s_delay_alu instid0(TRANS32_DEP_1) | instskip(NEXT) | instid1(VALU_DEP_1)
	v_fma_f64 v[16:17], -v[9:10], v[13:14], 1.0
	v_fma_f64 v[13:14], v[13:14], v[16:17], v[13:14]
	s_delay_alu instid0(VALU_DEP_1) | instskip(NEXT) | instid1(VALU_DEP_1)
	v_fma_f64 v[16:17], -v[9:10], v[13:14], 1.0
	v_fma_f64 v[13:14], v[13:14], v[16:17], v[13:14]
	s_delay_alu instid0(VALU_DEP_1) | instskip(NEXT) | instid1(VALU_DEP_1)
	v_mul_f64_e32 v[16:17], v[18:19], v[13:14]
	v_fma_f64 v[9:10], -v[9:10], v[16:17], v[18:19]
	s_wait_alu 0xfffd
	s_delay_alu instid0(VALU_DEP_1) | instskip(SKIP_2) | instid1(VALU_DEP_3)
	v_div_fmas_f64 v[9:10], v[9:10], v[13:14], v[16:17]
	v_fma_f64 v[13:14], v[5:6], v[11:12], v[3:4]
	v_fma_f64 v[3:4], -v[3:4], v[11:12], v[5:6]
	v_div_fixup_f64 v[7:8], v[9:10], v[7:8], 1.0
	s_delay_alu instid0(VALU_DEP_1) | instskip(NEXT) | instid1(VALU_DEP_3)
	v_mul_f64_e32 v[11:12], v[13:14], v[7:8]
	v_mul_f64_e32 v[13:14], v[3:4], v[7:8]
	s_branch .LBB218_137
.LBB218_144:                            ;   in Loop: Header=BB218_3 Depth=1
	s_and_saveexec_b32 s18, s35
	s_cbranch_execz .LBB218_2
; %bb.145:                              ;   in Loop: Header=BB218_3 Depth=1
	v_add_co_u32 v3, vcc_lo, v27, s14
	s_wait_alu 0xfffd
	v_add_co_ci_u32_e64 v4, null, s15, v28, vcc_lo
	v_mov_b32_e32 v5, v30
	s_delay_alu instid0(VALU_DEP_3) | instskip(SKIP_1) | instid1(VALU_DEP_3)
	v_add_co_u32 v3, vcc_lo, v3, s20
	s_wait_alu 0xfffd
	v_add_co_ci_u32_e64 v4, null, s21, v4, vcc_lo
	s_mov_b32 s19, s27
	v_add_co_u32 v3, vcc_lo, v3, v0
	s_wait_alu 0xfffd
	v_add_co_ci_u32_e64 v4, null, 0, v4, vcc_lo
.LBB218_146:                            ;   Parent Loop BB218_3 Depth=1
                                        ; =>  This Inner Loop Header: Depth=2
	ds_load_2addr_b64 v[6:9], v5 offset1:1
	v_add_nc_u32_e32 v5, 0x100, v5
	s_wait_alu 0xfffe
	s_add_co_i32 s19, s19, -1
	s_wait_alu 0xfffe
	s_cmp_lg_u32 s19, 0
	s_wait_dscnt 0x0
	flat_store_b128 v[3:4], v[6:9]
	v_add_co_u32 v3, vcc_lo, v3, s16
	s_wait_alu 0xfffd
	v_add_co_ci_u32_e64 v4, null, s17, v4, vcc_lo
	s_cbranch_scc1 .LBB218_146
	s_branch .LBB218_2
.LBB218_147:
	s_endpgm
	.section	.rodata,"a",@progbits
	.p2align	6, 0x0
	.amdhsa_kernel _ZL31rocblas_trsm_small_right_deviceI19rocblas_complex_numIdES1_PKPKS1_PKPS1_Li16EEv13rocblas_fill_18rocblas_operation_17rocblas_diagonal_iiT0_T1_lilT2_lili
		.amdhsa_group_segment_fixed_size 8192
		.amdhsa_private_segment_fixed_size 0
		.amdhsa_kernarg_size 368
		.amdhsa_user_sgpr_count 2
		.amdhsa_user_sgpr_dispatch_ptr 0
		.amdhsa_user_sgpr_queue_ptr 0
		.amdhsa_user_sgpr_kernarg_segment_ptr 1
		.amdhsa_user_sgpr_dispatch_id 0
		.amdhsa_user_sgpr_private_segment_size 0
		.amdhsa_wavefront_size32 1
		.amdhsa_uses_dynamic_stack 0
		.amdhsa_enable_private_segment 0
		.amdhsa_system_sgpr_workgroup_id_x 1
		.amdhsa_system_sgpr_workgroup_id_y 0
		.amdhsa_system_sgpr_workgroup_id_z 1
		.amdhsa_system_sgpr_workgroup_info 0
		.amdhsa_system_vgpr_workitem_id 0
		.amdhsa_next_free_vgpr 241
		.amdhsa_next_free_sgpr 44
		.amdhsa_reserve_vcc 1
		.amdhsa_float_round_mode_32 0
		.amdhsa_float_round_mode_16_64 0
		.amdhsa_float_denorm_mode_32 3
		.amdhsa_float_denorm_mode_16_64 3
		.amdhsa_fp16_overflow 0
		.amdhsa_workgroup_processor_mode 1
		.amdhsa_memory_ordered 1
		.amdhsa_forward_progress 1
		.amdhsa_inst_pref_size 130
		.amdhsa_round_robin_scheduling 0
		.amdhsa_exception_fp_ieee_invalid_op 0
		.amdhsa_exception_fp_denorm_src 0
		.amdhsa_exception_fp_ieee_div_zero 0
		.amdhsa_exception_fp_ieee_overflow 0
		.amdhsa_exception_fp_ieee_underflow 0
		.amdhsa_exception_fp_ieee_inexact 0
		.amdhsa_exception_int_div_zero 0
	.end_amdhsa_kernel
	.section	.text._ZL31rocblas_trsm_small_right_deviceI19rocblas_complex_numIdES1_PKPKS1_PKPS1_Li16EEv13rocblas_fill_18rocblas_operation_17rocblas_diagonal_iiT0_T1_lilT2_lili,"axG",@progbits,_ZL31rocblas_trsm_small_right_deviceI19rocblas_complex_numIdES1_PKPKS1_PKPS1_Li16EEv13rocblas_fill_18rocblas_operation_17rocblas_diagonal_iiT0_T1_lilT2_lili,comdat
.Lfunc_end218:
	.size	_ZL31rocblas_trsm_small_right_deviceI19rocblas_complex_numIdES1_PKPKS1_PKPS1_Li16EEv13rocblas_fill_18rocblas_operation_17rocblas_diagonal_iiT0_T1_lilT2_lili, .Lfunc_end218-_ZL31rocblas_trsm_small_right_deviceI19rocblas_complex_numIdES1_PKPKS1_PKPS1_Li16EEv13rocblas_fill_18rocblas_operation_17rocblas_diagonal_iiT0_T1_lilT2_lili
                                        ; -- End function
	.set _ZL31rocblas_trsm_small_right_deviceI19rocblas_complex_numIdES1_PKPKS1_PKPS1_Li16EEv13rocblas_fill_18rocblas_operation_17rocblas_diagonal_iiT0_T1_lilT2_lili.num_vgpr, 64
	.set _ZL31rocblas_trsm_small_right_deviceI19rocblas_complex_numIdES1_PKPKS1_PKPS1_Li16EEv13rocblas_fill_18rocblas_operation_17rocblas_diagonal_iiT0_T1_lilT2_lili.num_agpr, 0
	.set _ZL31rocblas_trsm_small_right_deviceI19rocblas_complex_numIdES1_PKPKS1_PKPS1_Li16EEv13rocblas_fill_18rocblas_operation_17rocblas_diagonal_iiT0_T1_lilT2_lili.numbered_sgpr, 44
	.set _ZL31rocblas_trsm_small_right_deviceI19rocblas_complex_numIdES1_PKPKS1_PKPS1_Li16EEv13rocblas_fill_18rocblas_operation_17rocblas_diagonal_iiT0_T1_lilT2_lili.num_named_barrier, 0
	.set _ZL31rocblas_trsm_small_right_deviceI19rocblas_complex_numIdES1_PKPKS1_PKPS1_Li16EEv13rocblas_fill_18rocblas_operation_17rocblas_diagonal_iiT0_T1_lilT2_lili.private_seg_size, 0
	.set _ZL31rocblas_trsm_small_right_deviceI19rocblas_complex_numIdES1_PKPKS1_PKPS1_Li16EEv13rocblas_fill_18rocblas_operation_17rocblas_diagonal_iiT0_T1_lilT2_lili.uses_vcc, 1
	.set _ZL31rocblas_trsm_small_right_deviceI19rocblas_complex_numIdES1_PKPKS1_PKPS1_Li16EEv13rocblas_fill_18rocblas_operation_17rocblas_diagonal_iiT0_T1_lilT2_lili.uses_flat_scratch, 0
	.set _ZL31rocblas_trsm_small_right_deviceI19rocblas_complex_numIdES1_PKPKS1_PKPS1_Li16EEv13rocblas_fill_18rocblas_operation_17rocblas_diagonal_iiT0_T1_lilT2_lili.has_dyn_sized_stack, 0
	.set _ZL31rocblas_trsm_small_right_deviceI19rocblas_complex_numIdES1_PKPKS1_PKPS1_Li16EEv13rocblas_fill_18rocblas_operation_17rocblas_diagonal_iiT0_T1_lilT2_lili.has_recursion, 0
	.set _ZL31rocblas_trsm_small_right_deviceI19rocblas_complex_numIdES1_PKPKS1_PKPS1_Li16EEv13rocblas_fill_18rocblas_operation_17rocblas_diagonal_iiT0_T1_lilT2_lili.has_indirect_call, 0
	.section	.AMDGPU.csdata,"",@progbits
; Kernel info:
; codeLenInByte = 16552
; TotalNumSgprs: 46
; NumVgprs: 64
; ScratchSize: 0
; MemoryBound: 0
; FloatMode: 240
; IeeeMode: 1
; LDSByteSize: 8192 bytes/workgroup (compile time only)
; SGPRBlocks: 0
; VGPRBlocks: 30
; NumSGPRsForWavesPerEU: 46
; NumVGPRsForWavesPerEU: 241
; Occupancy: 4
; WaveLimiterHint : 0
; COMPUTE_PGM_RSRC2:SCRATCH_EN: 0
; COMPUTE_PGM_RSRC2:USER_SGPR: 2
; COMPUTE_PGM_RSRC2:TRAP_HANDLER: 0
; COMPUTE_PGM_RSRC2:TGID_X_EN: 1
; COMPUTE_PGM_RSRC2:TGID_Y_EN: 0
; COMPUTE_PGM_RSRC2:TGID_Z_EN: 1
; COMPUTE_PGM_RSRC2:TIDIG_COMP_CNT: 0
	.section	.text._ZL38rocblas_trsm_small_left_device_sharedBILi20ELi20ELb0E19rocblas_complex_numIdES1_PKPKS1_PKPS1_Ev13rocblas_fill_18rocblas_operation_17rocblas_diagonal_iiT3_T4_lilT5_lili,"axG",@progbits,_ZL38rocblas_trsm_small_left_device_sharedBILi20ELi20ELb0E19rocblas_complex_numIdES1_PKPKS1_PKPS1_Ev13rocblas_fill_18rocblas_operation_17rocblas_diagonal_iiT3_T4_lilT5_lili,comdat
	.globl	_ZL38rocblas_trsm_small_left_device_sharedBILi20ELi20ELb0E19rocblas_complex_numIdES1_PKPKS1_PKPS1_Ev13rocblas_fill_18rocblas_operation_17rocblas_diagonal_iiT3_T4_lilT5_lili ; -- Begin function _ZL38rocblas_trsm_small_left_device_sharedBILi20ELi20ELb0E19rocblas_complex_numIdES1_PKPKS1_PKPS1_Ev13rocblas_fill_18rocblas_operation_17rocblas_diagonal_iiT3_T4_lilT5_lili
	.p2align	8
	.type	_ZL38rocblas_trsm_small_left_device_sharedBILi20ELi20ELb0E19rocblas_complex_numIdES1_PKPKS1_PKPS1_Ev13rocblas_fill_18rocblas_operation_17rocblas_diagonal_iiT3_T4_lilT5_lili,@function
_ZL38rocblas_trsm_small_left_device_sharedBILi20ELi20ELb0E19rocblas_complex_numIdES1_PKPKS1_PKPS1_Ev13rocblas_fill_18rocblas_operation_17rocblas_diagonal_iiT3_T4_lilT5_lili: ; @_ZL38rocblas_trsm_small_left_device_sharedBILi20ELi20ELb0E19rocblas_complex_numIdES1_PKPKS1_PKPS1_Ev13rocblas_fill_18rocblas_operation_17rocblas_diagonal_iiT3_T4_lilT5_lili
; %bb.0:
	s_load_b32 s24, s[0:1], 0x68
	s_lshr_b32 s2, ttmp7, 16
	s_wait_kmcnt 0x0
	s_cmp_ge_u32 s2, s24
	s_cbranch_scc1 .LBB219_62
; %bb.1:
	s_clause 0x5
	s_load_b32 s22, s[0:1], 0x38
	s_load_b32 s30, s[0:1], 0x58
	s_load_b128 s[16:19], s[0:1], 0x4
	s_load_b32 s3, s[0:1], 0x70
	s_load_b128 s[12:15], s[0:1], 0x48
	s_load_b256 s[4:11], s[0:1], 0x18
	s_mul_i32 s1, ttmp9, 0xffffffec
	s_mul_i32 s34, ttmp9, 20
	v_dual_mov_b32 v14, 0 :: v_dual_lshlrev_b32 v13, 4, v0
	v_mul_u32_u24_e32 v5, 0x140, v0
	s_mov_b32 s21, 0
	s_delay_alu instid0(VALU_DEP_2) | instskip(NEXT) | instid1(VALU_DEP_2)
	v_add_nc_u32_e32 v8, 0x1900, v13
	v_add_nc_u32_e32 v19, v13, v5
	s_wait_kmcnt 0x0
	s_ashr_i32 s23, s22, 31
	s_ashr_i32 s31, s30, 31
	s_cmp_eq_u32 s16, 0x71
	v_mad_co_i64_i32 v[1:2], null, s30, v0, 0
	s_cselect_b32 s0, -1, 0
	s_min_i32 s25, s18, 20
	s_add_co_i32 s3, s3, -1
	s_add_co_i32 s1, s19, s1
	s_add_co_i32 s26, s25, -1
	s_cmp_ge_u32 ttmp9, s3
	v_lshlrev_b64_e32 v[9:10], 4, v[1:2]
	s_cselect_b32 s3, s1, 20
	s_ashr_i32 s35, s34, 31
	s_cmp_lg_u32 s17, 0x84
	v_cmp_gt_i32_e64 s1, s25, v0
	s_cselect_b32 s27, -1, 0
	s_cmp_gt_i32 s18, 0
	v_cmp_gt_i32_e32 vcc_lo, s3, v0
	s_cselect_b32 s20, -1, 0
	s_cmp_lg_u32 s16, 0x6f
	s_mul_u64 s[18:19], s[30:31], s[34:35]
	s_cselect_b32 s28, -1, 0
	s_lshl_b64 s[16:17], s[34:35], 4
	s_and_b32 s29, vcc_lo, s20
	v_add_co_u32 v0, s3, s16, v13
	s_wait_alu 0xf1ff
	v_add_co_ci_u32_e64 v3, null, s17, 0, s3
	s_lshl_b64 s[16:17], s[10:11], 4
	s_lshl_b64 s[10:11], s[14:15], 4
	v_mul_lo_u32 v6, v0, s31
	v_mul_lo_u32 v7, v3, s30
	v_mad_co_u64_u32 v[3:4], null, v0, s30, s[10:11]
	s_wait_alu 0xfffe
	v_add_co_u32 v0, s3, s16, v13
	s_wait_alu 0xf1ff
	v_add_co_ci_u32_e64 v15, null, s17, 0, s3
	s_mul_i32 s3, s25, 0x140
	v_or_b32_e32 v16, 8, v0
	v_add3_u32 v17, v7, v4, v6
	v_or_b32_e32 v18, 8, v3
	s_or_b32 s30, 0, 8
	s_lshl_b64 s[14:15], s[22:23], 4
	s_wait_alu 0xfffe
	s_add_co_i32 s22, s3, 0xfffffec0
	s_lshl_b64 s[16:17], s[18:19], 4
	s_branch .LBB219_3
.LBB219_2:                              ;   in Loop: Header=BB219_3 Depth=1
	s_wait_alu 0xfffe
	s_or_b32 exec_lo, exec_lo, s3
	s_add_co_i32 s2, s2, 0x10000
	s_wait_alu 0xfffe
	s_cmp_lt_u32 s2, s24
	s_cbranch_scc0 .LBB219_62
.LBB219_3:                              ; =>This Loop Header: Depth=1
                                        ;     Child Loop BB219_5 Depth 2
                                        ;     Child Loop BB219_16 Depth 2
	;; [unrolled: 1-line block ×3, first 2 shown]
                                        ;       Child Loop BB219_23 Depth 3
                                        ;         Child Loop BB219_24 Depth 4
                                        ;         Child Loop BB219_27 Depth 4
                                        ;           Child Loop BB219_28 Depth 5
                                        ;         Child Loop BB219_32 Depth 4
                                        ;           Child Loop BB219_34 Depth 5
                                        ;     Child Loop BB219_42 Depth 2
                                        ;       Child Loop BB219_45 Depth 3
                                        ;         Child Loop BB219_46 Depth 4
                                        ;         Child Loop BB219_48 Depth 4
                                        ;           Child Loop BB219_49 Depth 5
                                        ;         Child Loop BB219_53 Depth 4
                                        ;           Child Loop BB219_55 Depth 5
                                        ;     Child Loop BB219_61 Depth 2
	s_mov_b32 s3, s21
	s_wait_alu 0xfffe
	s_lshl_b64 s[18:19], s[2:3], 3
	s_delay_alu instid0(SALU_CYCLE_1)
	s_add_nc_u64 s[34:35], s[12:13], s[18:19]
	global_load_b64 v[11:12], v14, s[34:35]
	s_and_saveexec_b32 s3, s1
	s_cbranch_execz .LBB219_14
; %bb.4:                                ;   in Loop: Header=BB219_3 Depth=1
	s_add_nc_u64 s[18:19], s[8:9], s[18:19]
	v_mov_b32_e32 v2, v13
	global_load_b64 v[0:1], v14, s[18:19]
	s_mov_b32 s18, s25
	s_wait_loadcnt 0x0
	v_add_co_u32 v0, vcc_lo, v0, v16
	s_wait_alu 0xfffd
	v_add_co_ci_u32_e64 v1, null, v1, v15, vcc_lo
.LBB219_5:                              ;   Parent Loop BB219_3 Depth=1
                                        ; =>  This Inner Loop Header: Depth=2
	flat_load_b128 v[3:6], v[0:1] offset:-8
	v_add_co_u32 v0, vcc_lo, v0, s14
	s_wait_alu 0xfffd
	v_add_co_ci_u32_e64 v1, null, s15, v1, vcc_lo
	s_add_co_i32 s18, s18, -1
	s_delay_alu instid0(SALU_CYCLE_1) | instskip(SKIP_2) | instid1(VALU_DEP_1)
	s_cmp_eq_u32 s18, 0
	s_wait_loadcnt_dscnt 0x0
	v_xor_b32_e32 v7, 0x80000000, v6
	v_cndmask_b32_e64 v6, v6, v7, s0
	ds_store_b128 v2, v[3:6]
	v_add_nc_u32_e32 v2, 0x140, v2
	s_cbranch_scc0 .LBB219_5
; %bb.6:                                ;   in Loop: Header=BB219_3 Depth=1
	s_and_b32 vcc_lo, exec_lo, s27
	s_wait_alu 0xfffe
	s_cbranch_vccz .LBB219_12
; %bb.7:                                ;   in Loop: Header=BB219_3 Depth=1
	ds_load_b128 v[0:3], v19
                                        ; implicit-def: $vgpr6_vgpr7
	s_wait_dscnt 0x0
	v_cmp_ngt_f64_e64 s18, |v[0:1]|, |v[2:3]|
	s_and_saveexec_b32 s19, s18
	s_delay_alu instid0(SALU_CYCLE_1)
	s_xor_b32 s18, exec_lo, s19
	s_cbranch_execz .LBB219_9
; %bb.8:                                ;   in Loop: Header=BB219_3 Depth=1
	v_div_scale_f64 v[4:5], null, v[2:3], v[2:3], v[0:1]
	v_div_scale_f64 v[22:23], vcc_lo, v[0:1], v[2:3], v[0:1]
	s_delay_alu instid0(VALU_DEP_2) | instskip(NEXT) | instid1(TRANS32_DEP_1)
	v_rcp_f64_e32 v[6:7], v[4:5]
	v_fma_f64 v[20:21], -v[4:5], v[6:7], 1.0
	s_delay_alu instid0(VALU_DEP_1) | instskip(NEXT) | instid1(VALU_DEP_1)
	v_fma_f64 v[6:7], v[6:7], v[20:21], v[6:7]
	v_fma_f64 v[20:21], -v[4:5], v[6:7], 1.0
	s_delay_alu instid0(VALU_DEP_1) | instskip(NEXT) | instid1(VALU_DEP_1)
	v_fma_f64 v[6:7], v[6:7], v[20:21], v[6:7]
	v_mul_f64_e32 v[20:21], v[22:23], v[6:7]
	s_delay_alu instid0(VALU_DEP_1) | instskip(SKIP_1) | instid1(VALU_DEP_1)
	v_fma_f64 v[4:5], -v[4:5], v[20:21], v[22:23]
	s_wait_alu 0xfffd
	v_div_fmas_f64 v[4:5], v[4:5], v[6:7], v[20:21]
	s_delay_alu instid0(VALU_DEP_1) | instskip(NEXT) | instid1(VALU_DEP_1)
	v_div_fixup_f64 v[4:5], v[4:5], v[2:3], v[0:1]
	v_fma_f64 v[0:1], v[0:1], v[4:5], v[2:3]
	s_delay_alu instid0(VALU_DEP_1) | instskip(SKIP_1) | instid1(VALU_DEP_2)
	v_div_scale_f64 v[2:3], null, v[0:1], v[0:1], 1.0
	v_div_scale_f64 v[22:23], vcc_lo, 1.0, v[0:1], 1.0
	v_rcp_f64_e32 v[6:7], v[2:3]
	s_delay_alu instid0(TRANS32_DEP_1) | instskip(NEXT) | instid1(VALU_DEP_1)
	v_fma_f64 v[20:21], -v[2:3], v[6:7], 1.0
	v_fma_f64 v[6:7], v[6:7], v[20:21], v[6:7]
	s_delay_alu instid0(VALU_DEP_1) | instskip(NEXT) | instid1(VALU_DEP_1)
	v_fma_f64 v[20:21], -v[2:3], v[6:7], 1.0
	v_fma_f64 v[6:7], v[6:7], v[20:21], v[6:7]
	s_delay_alu instid0(VALU_DEP_1) | instskip(NEXT) | instid1(VALU_DEP_1)
	v_mul_f64_e32 v[20:21], v[22:23], v[6:7]
	v_fma_f64 v[2:3], -v[2:3], v[20:21], v[22:23]
	s_wait_alu 0xfffd
	s_delay_alu instid0(VALU_DEP_1) | instskip(SKIP_1) | instid1(VALU_DEP_2)
	v_div_fmas_f64 v[2:3], v[2:3], v[6:7], v[20:21]
	v_add_f64_e32 v[6:7], 0, v[4:5]
	v_div_fixup_f64 v[0:1], v[2:3], v[0:1], 1.0
	v_fma_f64 v[2:3], v[4:5], 0, -1.0
	s_delay_alu instid0(VALU_DEP_2) | instskip(NEXT) | instid1(VALU_DEP_2)
	v_mul_f64_e32 v[4:5], v[6:7], v[0:1]
	v_mul_f64_e32 v[6:7], v[2:3], v[0:1]
                                        ; implicit-def: $vgpr0_vgpr1
.LBB219_9:                              ;   in Loop: Header=BB219_3 Depth=1
	s_and_not1_saveexec_b32 s18, s18
	s_cbranch_execz .LBB219_11
; %bb.10:                               ;   in Loop: Header=BB219_3 Depth=1
	v_div_scale_f64 v[4:5], null, v[0:1], v[0:1], v[2:3]
	v_div_scale_f64 v[22:23], vcc_lo, v[2:3], v[0:1], v[2:3]
	s_delay_alu instid0(VALU_DEP_2) | instskip(NEXT) | instid1(TRANS32_DEP_1)
	v_rcp_f64_e32 v[6:7], v[4:5]
	v_fma_f64 v[20:21], -v[4:5], v[6:7], 1.0
	s_delay_alu instid0(VALU_DEP_1) | instskip(NEXT) | instid1(VALU_DEP_1)
	v_fma_f64 v[6:7], v[6:7], v[20:21], v[6:7]
	v_fma_f64 v[20:21], -v[4:5], v[6:7], 1.0
	s_delay_alu instid0(VALU_DEP_1) | instskip(NEXT) | instid1(VALU_DEP_1)
	v_fma_f64 v[6:7], v[6:7], v[20:21], v[6:7]
	v_mul_f64_e32 v[20:21], v[22:23], v[6:7]
	s_delay_alu instid0(VALU_DEP_1) | instskip(SKIP_1) | instid1(VALU_DEP_1)
	v_fma_f64 v[4:5], -v[4:5], v[20:21], v[22:23]
	s_wait_alu 0xfffd
	v_div_fmas_f64 v[4:5], v[4:5], v[6:7], v[20:21]
	s_delay_alu instid0(VALU_DEP_1) | instskip(NEXT) | instid1(VALU_DEP_1)
	v_div_fixup_f64 v[4:5], v[4:5], v[0:1], v[2:3]
	v_fma_f64 v[0:1], v[2:3], v[4:5], v[0:1]
	s_delay_alu instid0(VALU_DEP_1) | instskip(SKIP_1) | instid1(VALU_DEP_2)
	v_div_scale_f64 v[2:3], null, v[0:1], v[0:1], 1.0
	v_div_scale_f64 v[22:23], vcc_lo, 1.0, v[0:1], 1.0
	v_rcp_f64_e32 v[6:7], v[2:3]
	s_delay_alu instid0(TRANS32_DEP_1) | instskip(NEXT) | instid1(VALU_DEP_1)
	v_fma_f64 v[20:21], -v[2:3], v[6:7], 1.0
	v_fma_f64 v[6:7], v[6:7], v[20:21], v[6:7]
	s_delay_alu instid0(VALU_DEP_1) | instskip(NEXT) | instid1(VALU_DEP_1)
	v_fma_f64 v[20:21], -v[2:3], v[6:7], 1.0
	v_fma_f64 v[6:7], v[6:7], v[20:21], v[6:7]
	s_delay_alu instid0(VALU_DEP_1) | instskip(NEXT) | instid1(VALU_DEP_1)
	v_mul_f64_e32 v[20:21], v[22:23], v[6:7]
	v_fma_f64 v[2:3], -v[2:3], v[20:21], v[22:23]
	s_wait_alu 0xfffd
	s_delay_alu instid0(VALU_DEP_1) | instskip(SKIP_1) | instid1(VALU_DEP_2)
	v_div_fmas_f64 v[2:3], v[2:3], v[6:7], v[20:21]
	v_fma_f64 v[6:7], v[4:5], 0, 1.0
	v_div_fixup_f64 v[0:1], v[2:3], v[0:1], 1.0
	v_add_f64_e64 v[2:3], -v[4:5], 0
	s_delay_alu instid0(VALU_DEP_2) | instskip(NEXT) | instid1(VALU_DEP_2)
	v_mul_f64_e32 v[4:5], v[6:7], v[0:1]
	v_mul_f64_e32 v[6:7], v[2:3], v[0:1]
.LBB219_11:                             ;   in Loop: Header=BB219_3 Depth=1
	s_or_b32 exec_lo, exec_lo, s18
	s_branch .LBB219_13
.LBB219_12:                             ;   in Loop: Header=BB219_3 Depth=1
	v_mov_b32_e32 v6, 0
	v_dual_mov_b32 v7, 0 :: v_dual_mov_b32 v4, 0
	v_mov_b32_e32 v5, 0x3ff00000
.LBB219_13:                             ;   in Loop: Header=BB219_3 Depth=1
	ds_store_b128 v19, v[4:7]
.LBB219_14:                             ;   in Loop: Header=BB219_3 Depth=1
	s_wait_alu 0xfffe
	s_or_b32 exec_lo, exec_lo, s3
	s_and_saveexec_b32 s3, s29
	s_cbranch_execz .LBB219_17
; %bb.15:                               ;   in Loop: Header=BB219_3 Depth=1
	s_wait_loadcnt 0x0
	v_add_co_u32 v0, vcc_lo, v11, v18
	s_wait_alu 0xfffd
	v_add_co_ci_u32_e64 v1, null, v12, v17, vcc_lo
	v_mov_b32_e32 v2, v8
	s_mov_b32 s18, s25
.LBB219_16:                             ;   Parent Loop BB219_3 Depth=1
                                        ; =>  This Inner Loop Header: Depth=2
	flat_load_b128 v[3:6], v[0:1] offset:-8
	v_add_co_u32 v0, vcc_lo, v0, 16
	s_wait_alu 0xfffd
	v_add_co_ci_u32_e64 v1, null, 0, v1, vcc_lo
	s_add_co_i32 s18, s18, -1
	s_delay_alu instid0(SALU_CYCLE_1) | instskip(SKIP_3) | instid1(VALU_DEP_2)
	s_cmp_lg_u32 s18, 0
	s_wait_loadcnt_dscnt 0x0
	v_mul_f64_e32 v[20:21], s[6:7], v[5:6]
	v_mul_f64_e32 v[5:6], s[4:5], v[5:6]
	v_fma_f64 v[20:21], s[4:5], v[3:4], -v[20:21]
	s_delay_alu instid0(VALU_DEP_2)
	v_fma_f64 v[22:23], s[6:7], v[3:4], v[5:6]
	ds_store_b128 v2, v[20:23]
	v_add_nc_u32_e32 v2, 0x140, v2
	s_cbranch_scc1 .LBB219_16
.LBB219_17:                             ;   in Loop: Header=BB219_3 Depth=1
	s_wait_alu 0xfffe
	s_or_b32 exec_lo, exec_lo, s3
	s_delay_alu instid0(SALU_CYCLE_1)
	s_and_not1_b32 vcc_lo, exec_lo, s28
	s_mov_b32 s3, -1
	; wave barrier
	s_wait_loadcnt_dscnt 0x0
	global_inv scope:SCOPE_SE
	s_wait_alu 0xfffe
	s_cbranch_vccnz .LBB219_39
; %bb.18:                               ;   in Loop: Header=BB219_3 Depth=1
	s_mov_b32 s20, 0
	s_delay_alu instid0(SALU_CYCLE_1)
	s_mov_b32 s3, s20
	s_branch .LBB219_20
.LBB219_19:                             ;   in Loop: Header=BB219_20 Depth=2
	s_cmp_lt_i32 s3, s25
	s_cselect_b32 s18, -1, 0
	s_add_co_i32 s19, s20, 1
	s_cmp_lt_u32 s20, 2
	s_cselect_b32 s20, -1, 0
	s_delay_alu instid0(SALU_CYCLE_1)
	s_and_b32 s18, s18, s20
	s_mov_b32 s20, s19
	s_and_b32 vcc_lo, exec_lo, s18
	s_wait_alu 0xfffe
	s_cbranch_vccz .LBB219_38
.LBB219_20:                             ;   Parent Loop BB219_3 Depth=1
                                        ; =>  This Loop Header: Depth=2
                                        ;       Child Loop BB219_23 Depth 3
                                        ;         Child Loop BB219_24 Depth 4
                                        ;         Child Loop BB219_27 Depth 4
                                        ;           Child Loop BB219_28 Depth 5
                                        ;         Child Loop BB219_32 Depth 4
                                        ;           Child Loop BB219_34 Depth 5
	s_getpc_b64 s[18:19]
	s_sext_i32_i16 s19, s19
	s_add_co_u32 s18, s18, __const._ZL38rocblas_trsm_small_left_device_sharedBILi20ELi20ELb0E19rocblas_complex_numIdES1_PKPKS1_PKPS1_Ev13rocblas_fill_18rocblas_operation_17rocblas_diagonal_iiT3_T4_lilT5_lili.step_sizes@rel32@lo+8
	s_add_co_ci_u32 s19, s19, __const._ZL38rocblas_trsm_small_left_device_sharedBILi20ELi20ELb0E19rocblas_complex_numIdES1_PKPKS1_PKPS1_Ev13rocblas_fill_18rocblas_operation_17rocblas_diagonal_iiT3_T4_lilT5_lili.step_sizes@rel32@hi+16
	s_lshl_b64 s[34:35], s[20:21], 2
	s_delay_alu instid0(SALU_CYCLE_1) | instskip(SKIP_3) | instid1(SALU_CYCLE_1)
	s_add_nc_u64 s[18:19], s[18:19], s[34:35]
	s_load_b32 s18, s[18:19], 0x0
	s_wait_kmcnt 0x0
	s_add_co_i32 s19, s18, -1
	s_add_co_i32 s23, s19, s3
	s_wait_alu 0xfffe
	s_cmp_ge_i32 s23, s25
	s_cbranch_scc1 .LBB219_19
; %bb.21:                               ;   in Loop: Header=BB219_20 Depth=2
	s_mul_i32 s23, s3, 0x140
	s_max_i32 s31, s18, 1
	s_wait_alu 0xfffe
	v_add_nc_u32_e32 v4, s23, v8
	s_mul_i32 s33, s18, 0x140
	s_mul_i32 s34, s3, 0x150
	s_mul_i32 s35, s18, 0x150
	s_branch .LBB219_23
.LBB219_22:                             ;   in Loop: Header=BB219_23 Depth=3
	s_add_co_i32 s3, s3, s18
	v_add_nc_u32_e32 v4, s33, v4
	s_wait_alu 0xfffe
	s_add_co_i32 s36, s19, s3
	s_add_co_i32 s23, s23, s33
	;; [unrolled: 1-line block ×3, first 2 shown]
	s_wait_alu 0xfffe
	s_cmp_ge_i32 s36, s25
	s_cbranch_scc1 .LBB219_19
.LBB219_23:                             ;   Parent Loop BB219_3 Depth=1
                                        ;     Parent Loop BB219_20 Depth=2
                                        ; =>    This Loop Header: Depth=3
                                        ;         Child Loop BB219_24 Depth 4
                                        ;         Child Loop BB219_27 Depth 4
                                        ;           Child Loop BB219_28 Depth 5
                                        ;         Child Loop BB219_32 Depth 4
                                        ;           Child Loop BB219_34 Depth 5
	v_mov_b32_e32 v0, v4
	s_mov_b32 s36, 0
	s_wait_alu 0xfffe
	s_mov_b32 s37, s31
.LBB219_24:                             ;   Parent Loop BB219_3 Depth=1
                                        ;     Parent Loop BB219_20 Depth=2
                                        ;       Parent Loop BB219_23 Depth=3
                                        ; =>      This Inner Loop Header: Depth=4
	ds_load_b128 v[20:23], v0
	v_add_nc_u32_e32 v0, 0x140, v0
	s_wait_alu 0xfffe
	s_add_co_i32 s37, s37, -1
	s_wait_dscnt 0x0
	scratch_store_b128 off, v[20:23], s36
	s_add_co_i32 s36, s36, 16
	s_wait_alu 0xfffe
	s_cmp_eq_u32 s37, 0
	s_cbranch_scc0 .LBB219_24
; %bb.25:                               ;   in Loop: Header=BB219_23 Depth=3
	s_cmp_lt_i32 s3, 1
	s_cbranch_scc1 .LBB219_30
; %bb.26:                               ;   in Loop: Header=BB219_23 Depth=3
	s_mov_b32 s36, 0
	s_mov_b32 s37, s23
.LBB219_27:                             ;   Parent Loop BB219_3 Depth=1
                                        ;     Parent Loop BB219_20 Depth=2
                                        ;       Parent Loop BB219_23 Depth=3
                                        ; =>      This Loop Header: Depth=4
                                        ;           Child Loop BB219_28 Depth 5
	s_wait_alu 0xfffe
	v_mad_co_u64_u32 v[0:1], null, 0x140, s36, v[8:9]
	s_mov_b32 s38, s30
	s_mov_b32 s39, s37
	;; [unrolled: 1-line block ×3, first 2 shown]
	ds_load_b128 v[0:3], v0
.LBB219_28:                             ;   Parent Loop BB219_3 Depth=1
                                        ;     Parent Loop BB219_20 Depth=2
                                        ;       Parent Loop BB219_23 Depth=3
                                        ;         Parent Loop BB219_27 Depth=4
                                        ; =>        This Inner Loop Header: Depth=5
	scratch_load_b128 v[20:23], off, s38 offset:-8
	s_wait_alu 0xfffe
	v_mov_b32_e32 v5, s39
	s_add_co_i32 s40, s40, -1
	s_addk_co_i32 s39, 0x140
	ds_load_b128 v[24:27], v5
	s_wait_dscnt 0x0
	v_mul_f64_e32 v[5:6], v[2:3], v[26:27]
	v_mul_f64_e32 v[26:27], v[0:1], v[26:27]
	s_delay_alu instid0(VALU_DEP_2) | instskip(NEXT) | instid1(VALU_DEP_2)
	v_fma_f64 v[5:6], v[0:1], v[24:25], -v[5:6]
	v_fma_f64 v[24:25], v[2:3], v[24:25], v[26:27]
	s_wait_loadcnt 0x0
	s_delay_alu instid0(VALU_DEP_2) | instskip(NEXT) | instid1(VALU_DEP_2)
	v_add_f64_e64 v[20:21], v[20:21], -v[5:6]
	v_add_f64_e64 v[22:23], v[22:23], -v[24:25]
	scratch_store_b128 off, v[20:23], s38 offset:-8
	s_add_co_i32 s38, s38, 16
	s_wait_alu 0xfffe
	s_cmp_eq_u32 s40, 0
	s_cbranch_scc0 .LBB219_28
; %bb.29:                               ;   in Loop: Header=BB219_27 Depth=4
	s_add_co_i32 s36, s36, 1
	s_add_co_i32 s37, s37, 16
	s_wait_alu 0xfffe
	s_cmp_eq_u32 s36, s3
	s_cbranch_scc0 .LBB219_27
.LBB219_30:                             ;   in Loop: Header=BB219_23 Depth=3
	s_mul_i32 s36, s3, 0x140
	s_mov_b32 s37, 0
	s_mov_b32 s38, s34
	s_branch .LBB219_32
.LBB219_31:                             ;   in Loop: Header=BB219_32 Depth=4
	s_wait_alu 0xfffe
	s_mulk_i32 s40, 0x150
	s_addk_co_i32 s38, 0x140
	s_wait_alu 0xfffe
	v_mov_b32_e32 v5, s40
	s_lshl_b32 s40, s37, 4
	s_add_co_i32 s37, s37, 1
	s_wait_alu 0xfffe
	s_cmp_eq_u32 s37, s31
	ds_load_b128 v[20:23], v5
	s_wait_loadcnt_dscnt 0x0
	v_mul_f64_e32 v[5:6], v[22:23], v[2:3]
	v_mul_f64_e32 v[2:3], v[20:21], v[2:3]
	s_delay_alu instid0(VALU_DEP_2) | instskip(NEXT) | instid1(VALU_DEP_2)
	v_fma_f64 v[20:21], v[20:21], v[0:1], -v[5:6]
	v_fma_f64 v[22:23], v[22:23], v[0:1], v[2:3]
	v_add_nc_u32_e32 v0, s39, v8
	scratch_store_b128 off, v[20:23], s40
	ds_store_b128 v0, v[20:23]
	s_cbranch_scc1 .LBB219_22
.LBB219_32:                             ;   Parent Loop BB219_3 Depth=1
                                        ;     Parent Loop BB219_20 Depth=2
                                        ;       Parent Loop BB219_23 Depth=3
                                        ; =>      This Loop Header: Depth=4
                                        ;           Child Loop BB219_34 Depth 5
	s_wait_alu 0xfffe
	s_cmp_lg_u32 s37, 0
	s_cbranch_scc0 .LBB219_36
; %bb.33:                               ;   in Loop: Header=BB219_32 Depth=4
	s_lshl_b32 s41, s37, 4
	s_add_co_i32 s40, s37, s3
	scratch_load_b128 v[0:3], off, s41
	s_wait_alu 0xfffe
	s_mul_i32 s39, s40, 0x140
	s_mov_b32 s42, s38
	s_mov_b32 s43, s30
	;; [unrolled: 1-line block ×3, first 2 shown]
.LBB219_34:                             ;   Parent Loop BB219_3 Depth=1
                                        ;     Parent Loop BB219_20 Depth=2
                                        ;       Parent Loop BB219_23 Depth=3
                                        ;         Parent Loop BB219_32 Depth=4
                                        ; =>        This Inner Loop Header: Depth=5
	scratch_load_b128 v[20:23], off, s43 offset:-8
	s_wait_alu 0xfffe
	v_mov_b32_e32 v5, s42
	s_add_co_i32 s44, s44, -1
	s_add_co_i32 s43, s43, 16
	s_add_co_i32 s42, s42, 16
	s_cmp_eq_u32 s44, 0
	ds_load_b128 v[24:27], v5
	s_wait_loadcnt_dscnt 0x0
	v_mul_f64_e32 v[5:6], v[26:27], v[22:23]
	v_mul_f64_e32 v[22:23], v[24:25], v[22:23]
	s_delay_alu instid0(VALU_DEP_2) | instskip(NEXT) | instid1(VALU_DEP_2)
	v_fma_f64 v[5:6], v[24:25], v[20:21], -v[5:6]
	v_fma_f64 v[20:21], v[26:27], v[20:21], v[22:23]
	s_delay_alu instid0(VALU_DEP_2) | instskip(NEXT) | instid1(VALU_DEP_2)
	v_add_f64_e64 v[0:1], v[0:1], -v[5:6]
	v_add_f64_e64 v[2:3], v[2:3], -v[20:21]
	scratch_store_b128 off, v[0:3], s41
	s_cbranch_scc0 .LBB219_34
; %bb.35:                               ;   in Loop: Header=BB219_32 Depth=4
	s_branch .LBB219_31
.LBB219_36:                             ;   in Loop: Header=BB219_32 Depth=4
                                        ; implicit-def: $vgpr0_vgpr1
                                        ; implicit-def: $sgpr40
                                        ; implicit-def: $sgpr39
	s_cbranch_execz .LBB219_31
; %bb.37:                               ;   in Loop: Header=BB219_32 Depth=4
	scratch_load_b128 v[0:3], off, off
	s_mov_b32 s39, s36
	s_mov_b32 s40, s3
	s_branch .LBB219_31
.LBB219_38:                             ;   in Loop: Header=BB219_3 Depth=1
	s_mov_b32 s3, 0
.LBB219_39:                             ;   in Loop: Header=BB219_3 Depth=1
	s_wait_alu 0xfffe
	s_and_b32 vcc_lo, exec_lo, s3
	s_wait_alu 0xfffe
	s_cbranch_vccz .LBB219_59
; %bb.40:                               ;   in Loop: Header=BB219_3 Depth=1
	s_mov_b32 s20, 0
	s_mov_b32 s3, s26
	s_branch .LBB219_42
.LBB219_41:                             ;   in Loop: Header=BB219_42 Depth=2
	s_cmp_gt_i32 s3, -1
	s_cselect_b32 s18, -1, 0
	s_add_co_i32 s19, s20, 1
	s_cmp_lt_u32 s20, 2
	s_cselect_b32 s20, -1, 0
	s_delay_alu instid0(SALU_CYCLE_1)
	s_and_b32 s18, s18, s20
	s_mov_b32 s20, s19
	s_and_not1_b32 vcc_lo, exec_lo, s18
	s_wait_alu 0xfffe
	s_cbranch_vccnz .LBB219_59
.LBB219_42:                             ;   Parent Loop BB219_3 Depth=1
                                        ; =>  This Loop Header: Depth=2
                                        ;       Child Loop BB219_45 Depth 3
                                        ;         Child Loop BB219_46 Depth 4
                                        ;         Child Loop BB219_48 Depth 4
                                        ;           Child Loop BB219_49 Depth 5
                                        ;         Child Loop BB219_53 Depth 4
                                        ;           Child Loop BB219_55 Depth 5
	s_getpc_b64 s[18:19]
	s_sext_i32_i16 s19, s19
	s_add_co_u32 s18, s18, __const._ZL38rocblas_trsm_small_left_device_sharedBILi20ELi20ELb0E19rocblas_complex_numIdES1_PKPKS1_PKPS1_Ev13rocblas_fill_18rocblas_operation_17rocblas_diagonal_iiT3_T4_lilT5_lili.step_sizes@rel32@lo+8
	s_add_co_ci_u32 s19, s19, __const._ZL38rocblas_trsm_small_left_device_sharedBILi20ELi20ELb0E19rocblas_complex_numIdES1_PKPKS1_PKPS1_Ev13rocblas_fill_18rocblas_operation_17rocblas_diagonal_iiT3_T4_lilT5_lili.step_sizes@rel32@hi+16
	s_lshl_b64 s[34:35], s[20:21], 2
	s_delay_alu instid0(SALU_CYCLE_1) | instskip(SKIP_3) | instid1(SALU_CYCLE_1)
	s_add_nc_u64 s[18:19], s[18:19], s[34:35]
	s_load_b32 s18, s[18:19], 0x0
	s_wait_kmcnt 0x0
	s_add_co_i32 s19, s18, -1
	s_cmp_lt_i32 s3, s19
	s_cbranch_scc1 .LBB219_41
; %bb.43:                               ;   in Loop: Header=BB219_42 Depth=2
	v_mad_co_u64_u32 v[4:5], null, 0x140, s3, v[8:9]
	s_lshl_b32 s33, s3, 4
	s_lshl_b32 s34, s18, 4
	s_max_i32 s23, s18, 1
	s_mul_i32 s31, s18, 0xfffffec0
	s_wait_alu 0xfffe
	s_add_co_i32 s33, s22, s33
	s_sub_co_i32 s34, 0, s34
	s_mul_i32 s35, s3, 0x150
	s_mul_i32 s36, s18, 0xfffffeb0
	s_branch .LBB219_45
.LBB219_44:                             ;   in Loop: Header=BB219_45 Depth=3
	v_add_nc_u32_e32 v4, s31, v4
	s_sub_co_i32 s3, s3, s18
	s_add_co_i32 s33, s33, s34
	s_add_co_i32 s35, s35, s36
	s_wait_alu 0xfffe
	s_cmp_lt_i32 s3, s19
	s_cbranch_scc1 .LBB219_41
.LBB219_45:                             ;   Parent Loop BB219_3 Depth=1
                                        ;     Parent Loop BB219_42 Depth=2
                                        ; =>    This Loop Header: Depth=3
                                        ;         Child Loop BB219_46 Depth 4
                                        ;         Child Loop BB219_48 Depth 4
                                        ;           Child Loop BB219_49 Depth 5
                                        ;         Child Loop BB219_53 Depth 4
                                        ;           Child Loop BB219_55 Depth 5
	v_mov_b32_e32 v0, v4
	s_mov_b32 s37, 0
	s_mov_b32 s38, s23
.LBB219_46:                             ;   Parent Loop BB219_3 Depth=1
                                        ;     Parent Loop BB219_42 Depth=2
                                        ;       Parent Loop BB219_45 Depth=3
                                        ; =>      This Inner Loop Header: Depth=4
	ds_load_b128 v[20:23], v0
	v_add_nc_u32_e32 v0, 0xfffffec0, v0
	s_wait_alu 0xfffe
	s_add_co_i32 s38, s38, -1
	s_wait_dscnt 0x0
	scratch_store_b128 off, v[20:23], s37
	s_add_co_i32 s37, s37, 16
	s_wait_alu 0xfffe
	s_cmp_eq_u32 s38, 0
	s_cbranch_scc0 .LBB219_46
; %bb.47:                               ;   in Loop: Header=BB219_45 Depth=3
	s_cmp_le_i32 s26, s3
	s_mov_b32 s37, s33
	s_mov_b32 s38, s26
	s_cbranch_scc1 .LBB219_51
.LBB219_48:                             ;   Parent Loop BB219_3 Depth=1
                                        ;     Parent Loop BB219_42 Depth=2
                                        ;       Parent Loop BB219_45 Depth=3
                                        ; =>      This Loop Header: Depth=4
                                        ;           Child Loop BB219_49 Depth 5
	s_wait_alu 0xfffe
	v_mad_co_u64_u32 v[0:1], null, 0x140, s38, v[8:9]
	s_mov_b32 s39, s30
	s_mov_b32 s40, s37
	;; [unrolled: 1-line block ×3, first 2 shown]
	ds_load_b128 v[0:3], v0
.LBB219_49:                             ;   Parent Loop BB219_3 Depth=1
                                        ;     Parent Loop BB219_42 Depth=2
                                        ;       Parent Loop BB219_45 Depth=3
                                        ;         Parent Loop BB219_48 Depth=4
                                        ; =>        This Inner Loop Header: Depth=5
	scratch_load_b128 v[20:23], off, s39 offset:-8
	s_wait_alu 0xfffe
	v_mov_b32_e32 v5, s40
	s_add_co_i32 s41, s41, -1
	s_add_co_i32 s40, s40, -16
	ds_load_b128 v[24:27], v5
	s_wait_dscnt 0x0
	v_mul_f64_e32 v[5:6], v[2:3], v[26:27]
	v_mul_f64_e32 v[26:27], v[0:1], v[26:27]
	s_delay_alu instid0(VALU_DEP_2) | instskip(NEXT) | instid1(VALU_DEP_2)
	v_fma_f64 v[5:6], v[0:1], v[24:25], -v[5:6]
	v_fma_f64 v[24:25], v[2:3], v[24:25], v[26:27]
	s_wait_loadcnt 0x0
	s_delay_alu instid0(VALU_DEP_2) | instskip(NEXT) | instid1(VALU_DEP_2)
	v_add_f64_e64 v[20:21], v[20:21], -v[5:6]
	v_add_f64_e64 v[22:23], v[22:23], -v[24:25]
	scratch_store_b128 off, v[20:23], s39 offset:-8
	s_add_co_i32 s39, s39, 16
	s_wait_alu 0xfffe
	s_cmp_eq_u32 s41, 0
	s_cbranch_scc0 .LBB219_49
; %bb.50:                               ;   in Loop: Header=BB219_48 Depth=4
	s_add_co_i32 s38, s38, -1
	s_addk_co_i32 s37, 0xfec0
	s_wait_alu 0xfffe
	s_cmp_le_i32 s38, s3
	s_cbranch_scc0 .LBB219_48
.LBB219_51:                             ;   in Loop: Header=BB219_45 Depth=3
	s_mov_b32 s37, 0
	s_mov_b32 s38, s35
	s_branch .LBB219_53
.LBB219_52:                             ;   in Loop: Header=BB219_53 Depth=4
	s_wait_alu 0xfffe
	s_mul_i32 s40, s39, 0x150
	s_add_co_i32 s38, s38, -16
	s_wait_alu 0xfffe
	v_mov_b32_e32 v5, s40
	ds_load_b128 v[20:23], v5
	s_wait_loadcnt_dscnt 0x0
	v_mul_f64_e32 v[5:6], v[22:23], v[2:3]
	v_mul_f64_e32 v[2:3], v[20:21], v[2:3]
	s_delay_alu instid0(VALU_DEP_2) | instskip(NEXT) | instid1(VALU_DEP_2)
	v_fma_f64 v[20:21], v[20:21], v[0:1], -v[5:6]
	v_fma_f64 v[22:23], v[22:23], v[0:1], v[2:3]
	v_mad_co_u64_u32 v[0:1], null, 0x140, s39, v[8:9]
	s_lshl_b32 s39, s37, 4
	s_add_co_i32 s37, s37, 1
	s_wait_alu 0xfffe
	s_cmp_eq_u32 s37, s23
	scratch_store_b128 off, v[20:23], s39
	ds_store_b128 v0, v[20:23]
	s_cbranch_scc1 .LBB219_44
.LBB219_53:                             ;   Parent Loop BB219_3 Depth=1
                                        ;     Parent Loop BB219_42 Depth=2
                                        ;       Parent Loop BB219_45 Depth=3
                                        ; =>      This Loop Header: Depth=4
                                        ;           Child Loop BB219_55 Depth 5
	s_wait_alu 0xfffe
	s_cmp_lg_u32 s37, 0
	s_cbranch_scc0 .LBB219_57
; %bb.54:                               ;   in Loop: Header=BB219_53 Depth=4
	s_lshl_b32 s40, s37, 4
	s_sub_co_i32 s39, s3, s37
	scratch_load_b128 v[0:3], off, s40
	s_mov_b32 s41, s30
	s_mov_b32 s42, s38
	;; [unrolled: 1-line block ×3, first 2 shown]
.LBB219_55:                             ;   Parent Loop BB219_3 Depth=1
                                        ;     Parent Loop BB219_42 Depth=2
                                        ;       Parent Loop BB219_45 Depth=3
                                        ;         Parent Loop BB219_53 Depth=4
                                        ; =>        This Inner Loop Header: Depth=5
	scratch_load_b128 v[20:23], off, s41 offset:-8
	s_wait_alu 0xfffe
	v_mov_b32_e32 v5, s42
	s_add_co_i32 s43, s43, -1
	s_addk_co_i32 s42, 0xfec0
	s_add_co_i32 s41, s41, 16
	s_wait_alu 0xfffe
	s_cmp_eq_u32 s43, 0
	ds_load_b128 v[24:27], v5
	s_wait_loadcnt_dscnt 0x0
	v_mul_f64_e32 v[5:6], v[26:27], v[22:23]
	v_mul_f64_e32 v[22:23], v[24:25], v[22:23]
	s_delay_alu instid0(VALU_DEP_2) | instskip(NEXT) | instid1(VALU_DEP_2)
	v_fma_f64 v[5:6], v[24:25], v[20:21], -v[5:6]
	v_fma_f64 v[20:21], v[26:27], v[20:21], v[22:23]
	s_delay_alu instid0(VALU_DEP_2) | instskip(NEXT) | instid1(VALU_DEP_2)
	v_add_f64_e64 v[0:1], v[0:1], -v[5:6]
	v_add_f64_e64 v[2:3], v[2:3], -v[20:21]
	scratch_store_b128 off, v[0:3], s40
	s_cbranch_scc0 .LBB219_55
; %bb.56:                               ;   in Loop: Header=BB219_53 Depth=4
	s_branch .LBB219_52
.LBB219_57:                             ;   in Loop: Header=BB219_53 Depth=4
                                        ; implicit-def: $vgpr0_vgpr1
                                        ; implicit-def: $sgpr39
	s_cbranch_execz .LBB219_52
; %bb.58:                               ;   in Loop: Header=BB219_53 Depth=4
	scratch_load_b128 v[0:3], off, off
	s_mov_b32 s39, s3
	s_branch .LBB219_52
.LBB219_59:                             ;   in Loop: Header=BB219_3 Depth=1
	s_wait_storecnt 0x0
	; wave barrier
	s_wait_loadcnt_dscnt 0x0
	global_inv scope:SCOPE_SE
	s_and_saveexec_b32 s3, s29
	s_cbranch_execz .LBB219_2
; %bb.60:                               ;   in Loop: Header=BB219_3 Depth=1
	v_add_co_u32 v0, vcc_lo, v11, s10
	s_wait_alu 0xfffd
	v_add_co_ci_u32_e64 v1, null, s11, v12, vcc_lo
	v_mov_b32_e32 v2, v8
	s_delay_alu instid0(VALU_DEP_3) | instskip(SKIP_1) | instid1(VALU_DEP_3)
	v_add_co_u32 v0, vcc_lo, v0, s16
	s_wait_alu 0xfffd
	v_add_co_ci_u32_e64 v1, null, s17, v1, vcc_lo
	s_mov_b32 s18, s25
	v_add_co_u32 v0, vcc_lo, v0, v9
	s_wait_alu 0xfffd
	v_add_co_ci_u32_e64 v1, null, v1, v10, vcc_lo
.LBB219_61:                             ;   Parent Loop BB219_3 Depth=1
                                        ; =>  This Inner Loop Header: Depth=2
	ds_load_2addr_b64 v[3:6], v2 offset1:1
	v_add_nc_u32_e32 v2, 0x140, v2
	s_add_co_i32 s18, s18, -1
	s_delay_alu instid0(SALU_CYCLE_1)
	s_cmp_lg_u32 s18, 0
	s_wait_dscnt 0x0
	flat_store_b128 v[0:1], v[3:6]
	v_add_co_u32 v0, vcc_lo, v0, 16
	s_wait_alu 0xfffd
	v_add_co_ci_u32_e64 v1, null, 0, v1, vcc_lo
	s_cbranch_scc1 .LBB219_61
	s_branch .LBB219_2
.LBB219_62:
	s_endpgm
	.section	.rodata,"a",@progbits
	.p2align	6, 0x0
	.amdhsa_kernel _ZL38rocblas_trsm_small_left_device_sharedBILi20ELi20ELb0E19rocblas_complex_numIdES1_PKPKS1_PKPS1_Ev13rocblas_fill_18rocblas_operation_17rocblas_diagonal_iiT3_T4_lilT5_lili
		.amdhsa_group_segment_fixed_size 12800
		.amdhsa_private_segment_fixed_size 336
		.amdhsa_kernarg_size 368
		.amdhsa_user_sgpr_count 2
		.amdhsa_user_sgpr_dispatch_ptr 0
		.amdhsa_user_sgpr_queue_ptr 0
		.amdhsa_user_sgpr_kernarg_segment_ptr 1
		.amdhsa_user_sgpr_dispatch_id 0
		.amdhsa_user_sgpr_private_segment_size 0
		.amdhsa_wavefront_size32 1
		.amdhsa_uses_dynamic_stack 0
		.amdhsa_enable_private_segment 1
		.amdhsa_system_sgpr_workgroup_id_x 1
		.amdhsa_system_sgpr_workgroup_id_y 0
		.amdhsa_system_sgpr_workgroup_id_z 1
		.amdhsa_system_sgpr_workgroup_info 0
		.amdhsa_system_vgpr_workitem_id 0
		.amdhsa_next_free_vgpr 241
		.amdhsa_next_free_sgpr 45
		.amdhsa_reserve_vcc 1
		.amdhsa_float_round_mode_32 0
		.amdhsa_float_round_mode_16_64 0
		.amdhsa_float_denorm_mode_32 3
		.amdhsa_float_denorm_mode_16_64 3
		.amdhsa_fp16_overflow 0
		.amdhsa_workgroup_processor_mode 1
		.amdhsa_memory_ordered 1
		.amdhsa_forward_progress 1
		.amdhsa_inst_pref_size 25
		.amdhsa_round_robin_scheduling 0
		.amdhsa_exception_fp_ieee_invalid_op 0
		.amdhsa_exception_fp_denorm_src 0
		.amdhsa_exception_fp_ieee_div_zero 0
		.amdhsa_exception_fp_ieee_overflow 0
		.amdhsa_exception_fp_ieee_underflow 0
		.amdhsa_exception_fp_ieee_inexact 0
		.amdhsa_exception_int_div_zero 0
	.end_amdhsa_kernel
	.section	.text._ZL38rocblas_trsm_small_left_device_sharedBILi20ELi20ELb0E19rocblas_complex_numIdES1_PKPKS1_PKPS1_Ev13rocblas_fill_18rocblas_operation_17rocblas_diagonal_iiT3_T4_lilT5_lili,"axG",@progbits,_ZL38rocblas_trsm_small_left_device_sharedBILi20ELi20ELb0E19rocblas_complex_numIdES1_PKPKS1_PKPS1_Ev13rocblas_fill_18rocblas_operation_17rocblas_diagonal_iiT3_T4_lilT5_lili,comdat
.Lfunc_end219:
	.size	_ZL38rocblas_trsm_small_left_device_sharedBILi20ELi20ELb0E19rocblas_complex_numIdES1_PKPKS1_PKPS1_Ev13rocblas_fill_18rocblas_operation_17rocblas_diagonal_iiT3_T4_lilT5_lili, .Lfunc_end219-_ZL38rocblas_trsm_small_left_device_sharedBILi20ELi20ELb0E19rocblas_complex_numIdES1_PKPKS1_PKPS1_Ev13rocblas_fill_18rocblas_operation_17rocblas_diagonal_iiT3_T4_lilT5_lili
                                        ; -- End function
	.set _ZL38rocblas_trsm_small_left_device_sharedBILi20ELi20ELb0E19rocblas_complex_numIdES1_PKPKS1_PKPS1_Ev13rocblas_fill_18rocblas_operation_17rocblas_diagonal_iiT3_T4_lilT5_lili.num_vgpr, 28
	.set _ZL38rocblas_trsm_small_left_device_sharedBILi20ELi20ELb0E19rocblas_complex_numIdES1_PKPKS1_PKPS1_Ev13rocblas_fill_18rocblas_operation_17rocblas_diagonal_iiT3_T4_lilT5_lili.num_agpr, 0
	.set _ZL38rocblas_trsm_small_left_device_sharedBILi20ELi20ELb0E19rocblas_complex_numIdES1_PKPKS1_PKPS1_Ev13rocblas_fill_18rocblas_operation_17rocblas_diagonal_iiT3_T4_lilT5_lili.numbered_sgpr, 45
	.set _ZL38rocblas_trsm_small_left_device_sharedBILi20ELi20ELb0E19rocblas_complex_numIdES1_PKPKS1_PKPS1_Ev13rocblas_fill_18rocblas_operation_17rocblas_diagonal_iiT3_T4_lilT5_lili.num_named_barrier, 0
	.set _ZL38rocblas_trsm_small_left_device_sharedBILi20ELi20ELb0E19rocblas_complex_numIdES1_PKPKS1_PKPS1_Ev13rocblas_fill_18rocblas_operation_17rocblas_diagonal_iiT3_T4_lilT5_lili.private_seg_size, 336
	.set _ZL38rocblas_trsm_small_left_device_sharedBILi20ELi20ELb0E19rocblas_complex_numIdES1_PKPKS1_PKPS1_Ev13rocblas_fill_18rocblas_operation_17rocblas_diagonal_iiT3_T4_lilT5_lili.uses_vcc, 1
	.set _ZL38rocblas_trsm_small_left_device_sharedBILi20ELi20ELb0E19rocblas_complex_numIdES1_PKPKS1_PKPS1_Ev13rocblas_fill_18rocblas_operation_17rocblas_diagonal_iiT3_T4_lilT5_lili.uses_flat_scratch, 0
	.set _ZL38rocblas_trsm_small_left_device_sharedBILi20ELi20ELb0E19rocblas_complex_numIdES1_PKPKS1_PKPS1_Ev13rocblas_fill_18rocblas_operation_17rocblas_diagonal_iiT3_T4_lilT5_lili.has_dyn_sized_stack, 0
	.set _ZL38rocblas_trsm_small_left_device_sharedBILi20ELi20ELb0E19rocblas_complex_numIdES1_PKPKS1_PKPS1_Ev13rocblas_fill_18rocblas_operation_17rocblas_diagonal_iiT3_T4_lilT5_lili.has_recursion, 0
	.set _ZL38rocblas_trsm_small_left_device_sharedBILi20ELi20ELb0E19rocblas_complex_numIdES1_PKPKS1_PKPS1_Ev13rocblas_fill_18rocblas_operation_17rocblas_diagonal_iiT3_T4_lilT5_lili.has_indirect_call, 0
	.section	.AMDGPU.csdata,"",@progbits
; Kernel info:
; codeLenInByte = 3116
; TotalNumSgprs: 47
; NumVgprs: 28
; ScratchSize: 336
; MemoryBound: 0
; FloatMode: 240
; IeeeMode: 1
; LDSByteSize: 12800 bytes/workgroup (compile time only)
; SGPRBlocks: 0
; VGPRBlocks: 30
; NumSGPRsForWavesPerEU: 47
; NumVGPRsForWavesPerEU: 241
; Occupancy: 3
; WaveLimiterHint : 0
; COMPUTE_PGM_RSRC2:SCRATCH_EN: 1
; COMPUTE_PGM_RSRC2:USER_SGPR: 2
; COMPUTE_PGM_RSRC2:TRAP_HANDLER: 0
; COMPUTE_PGM_RSRC2:TGID_X_EN: 1
; COMPUTE_PGM_RSRC2:TGID_Y_EN: 0
; COMPUTE_PGM_RSRC2:TGID_Z_EN: 1
; COMPUTE_PGM_RSRC2:TIDIG_COMP_CNT: 0
	.section	.text._ZL30rocblas_trsm_small_left_deviceILi20ELi20ELb0E19rocblas_complex_numIdES1_PKPKS1_PKPS1_Ev13rocblas_fill_18rocblas_operation_17rocblas_diagonal_iiT3_T4_lilT5_lili,"axG",@progbits,_ZL30rocblas_trsm_small_left_deviceILi20ELi20ELb0E19rocblas_complex_numIdES1_PKPKS1_PKPS1_Ev13rocblas_fill_18rocblas_operation_17rocblas_diagonal_iiT3_T4_lilT5_lili,comdat
	.globl	_ZL30rocblas_trsm_small_left_deviceILi20ELi20ELb0E19rocblas_complex_numIdES1_PKPKS1_PKPS1_Ev13rocblas_fill_18rocblas_operation_17rocblas_diagonal_iiT3_T4_lilT5_lili ; -- Begin function _ZL30rocblas_trsm_small_left_deviceILi20ELi20ELb0E19rocblas_complex_numIdES1_PKPKS1_PKPS1_Ev13rocblas_fill_18rocblas_operation_17rocblas_diagonal_iiT3_T4_lilT5_lili
	.p2align	8
	.type	_ZL30rocblas_trsm_small_left_deviceILi20ELi20ELb0E19rocblas_complex_numIdES1_PKPKS1_PKPS1_Ev13rocblas_fill_18rocblas_operation_17rocblas_diagonal_iiT3_T4_lilT5_lili,@function
_ZL30rocblas_trsm_small_left_deviceILi20ELi20ELb0E19rocblas_complex_numIdES1_PKPKS1_PKPS1_Ev13rocblas_fill_18rocblas_operation_17rocblas_diagonal_iiT3_T4_lilT5_lili: ; @_ZL30rocblas_trsm_small_left_deviceILi20ELi20ELb0E19rocblas_complex_numIdES1_PKPKS1_PKPS1_Ev13rocblas_fill_18rocblas_operation_17rocblas_diagonal_iiT3_T4_lilT5_lili
; %bb.0:
	s_load_b32 s3, s[0:1], 0x68
	s_lshr_b32 s20, ttmp7, 16
	s_wait_kmcnt 0x0
	s_cmp_ge_u32 s20, s3
	s_cbranch_scc1 .LBB220_59
; %bb.1:
	s_clause 0x5
	s_load_b32 s22, s[0:1], 0x38
	s_load_b128 s[16:19], s[0:1], 0x4
	s_load_b32 s2, s[0:1], 0x58
	s_load_b32 s21, s[0:1], 0x70
	s_load_b128 s[12:15], s[0:1], 0x48
	s_load_b256 s[4:11], s[0:1], 0x18
	v_mad_co_u64_u32 v[1:2], null, ttmp9, 20, v[0:1]
	s_mul_i32 s1, ttmp9, 0xffffffec
	v_dual_mov_b32 v13, 0 :: v_dual_lshlrev_b32 v12, 4, v0
	v_mul_u32_u24_e32 v3, 0x140, v0
	s_mov_b32 s37, 0
                                        ; implicit-def: $sgpr38
                                        ; implicit-def: $sgpr39
	s_delay_alu instid0(VALU_DEP_1)
	v_add_nc_u32_e32 v18, v12, v3
	s_wait_kmcnt 0x0
	s_ashr_i32 s23, s22, 31
	s_cmp_eq_u32 s16, 0x71
	v_mad_co_i64_i32 v[1:2], null, s2, v1, 0
	s_cselect_b32 s0, -1, 0
	s_min_i32 s30, s18, 20
	s_add_co_i32 s21, s21, -1
	s_wait_alu 0xfffe
	s_add_co_i32 s2, s19, s1
	s_add_co_i32 s31, s30, -1
	s_cmp_ge_u32 ttmp9, s21
	v_lshlrev_b64_e32 v[8:9], 4, v[1:2]
	s_wait_alu 0xfffe
	s_cselect_b32 s2, s2, 20
	s_cmp_lg_u32 s17, 0x84
	v_cmp_gt_i32_e64 s1, s30, v0
	s_cselect_b32 s33, -1, 0
	s_cmp_lg_u32 s16, 0x6f
	s_wait_alu 0xfffe
	v_cmp_gt_i32_e64 s2, s2, v0
	s_cselect_b32 s34, -1, 0
	s_lshl_b64 s[16:17], s[10:11], 4
	s_lshl_b64 s[10:11], s[14:15], 4
	v_add_co_u32 v0, s14, s16, v12
	v_add_co_u32 v1, vcc_lo, v8, s10
	v_add_co_ci_u32_e64 v14, null, s17, 0, s14
	s_delay_alu instid0(VALU_DEP_3) | instskip(SKIP_1) | instid1(VALU_DEP_4)
	v_or_b32_e32 v15, 8, v0
	v_add_co_ci_u32_e64 v16, null, s11, v9, vcc_lo
	v_or_b32_e32 v17, 8, v1
	s_mul_i32 s36, s30, 0x140
	s_or_b32 s35, 0, 8
	s_lshl_b64 s[14:15], s[22:23], 4
	s_addk_co_i32 s36, 0xfec0
	s_mov_b32 s17, 0
	s_branch .LBB220_4
.LBB220_2:                              ;   in Loop: Header=BB220_4 Depth=1
	s_add_co_i32 s20, s20, 0x10000
	s_delay_alu instid0(SALU_CYCLE_1)
	s_cmp_ge_u32 s20, s3
	s_cselect_b32 s16, -1, 0
	s_and_not1_b32 s39, s39, exec_lo
	s_wait_alu 0xfffe
	s_or_not1_b32 s16, s16, exec_lo
.LBB220_3:                              ;   in Loop: Header=BB220_4 Depth=1
	s_or_b32 exec_lo, exec_lo, s21
	s_wait_alu 0xfffe
	s_and_b32 s16, exec_lo, s16
	s_wait_alu 0xfffe
	s_or_b32 s37, s16, s37
	s_and_not1_b32 s16, s38, exec_lo
	s_and_b32 s18, s39, exec_lo
	s_wait_alu 0xfffe
	s_or_b32 s38, s16, s18
	s_and_not1_b32 exec_lo, exec_lo, s37
	s_cbranch_execz .LBB220_58
.LBB220_4:                              ; =>This Loop Header: Depth=1
                                        ;     Child Loop BB220_6 Depth 2
                                        ;     Child Loop BB220_19 Depth 2
                                        ;       Child Loop BB220_22 Depth 3
                                        ;         Child Loop BB220_23 Depth 4
                                        ;         Child Loop BB220_26 Depth 4
                                        ;           Child Loop BB220_27 Depth 5
                                        ;         Child Loop BB220_31 Depth 4
                                        ;           Child Loop BB220_33 Depth 5
                                        ;     Child Loop BB220_41 Depth 2
                                        ;       Child Loop BB220_44 Depth 3
                                        ;         Child Loop BB220_45 Depth 4
                                        ;         Child Loop BB220_47 Depth 4
                                        ;           Child Loop BB220_48 Depth 5
                                        ;         Child Loop BB220_52 Depth 4
                                        ;           Child Loop BB220_54 Depth 5
	s_wait_alu 0xfffe
	s_mov_b32 s21, s17
	s_delay_alu instid0(SALU_CYCLE_1) | instskip(NEXT) | instid1(SALU_CYCLE_1)
	s_lshl_b64 s[18:19], s[20:21], 3
	s_add_nc_u64 s[22:23], s[12:13], s[18:19]
	global_load_b64 v[10:11], v13, s[22:23]
	s_and_saveexec_b32 s16, s1
	s_cbranch_execz .LBB220_15
; %bb.5:                                ;   in Loop: Header=BB220_4 Depth=1
	s_add_nc_u64 s[18:19], s[8:9], s[18:19]
	v_mov_b32_e32 v2, v12
	global_load_b64 v[0:1], v13, s[18:19]
	s_mov_b32 s18, s30
	s_wait_loadcnt 0x0
	v_add_co_u32 v0, vcc_lo, v0, v15
	s_wait_alu 0xfffd
	v_add_co_ci_u32_e64 v1, null, v1, v14, vcc_lo
.LBB220_6:                              ;   Parent Loop BB220_4 Depth=1
                                        ; =>  This Inner Loop Header: Depth=2
	flat_load_b128 v[3:6], v[0:1] offset:-8
	v_add_co_u32 v0, vcc_lo, v0, s14
	s_wait_alu 0xfffd
	v_add_co_ci_u32_e64 v1, null, s15, v1, vcc_lo
	s_add_co_i32 s18, s18, -1
	s_delay_alu instid0(SALU_CYCLE_1) | instskip(SKIP_2) | instid1(VALU_DEP_1)
	s_cmp_eq_u32 s18, 0
	s_wait_loadcnt_dscnt 0x0
	v_xor_b32_e32 v7, 0x80000000, v6
	v_cndmask_b32_e64 v6, v6, v7, s0
	ds_store_b128 v2, v[3:6]
	v_add_nc_u32_e32 v2, 0x140, v2
	s_cbranch_scc0 .LBB220_6
; %bb.7:                                ;   in Loop: Header=BB220_4 Depth=1
	s_and_b32 vcc_lo, exec_lo, s33
	s_wait_alu 0xfffe
	s_cbranch_vccz .LBB220_13
; %bb.8:                                ;   in Loop: Header=BB220_4 Depth=1
	ds_load_b128 v[0:3], v18
                                        ; implicit-def: $vgpr6_vgpr7
	s_wait_dscnt 0x0
	v_cmp_ngt_f64_e64 s18, |v[0:1]|, |v[2:3]|
	s_and_saveexec_b32 s19, s18
	s_delay_alu instid0(SALU_CYCLE_1)
	s_xor_b32 s18, exec_lo, s19
	s_cbranch_execz .LBB220_10
; %bb.9:                                ;   in Loop: Header=BB220_4 Depth=1
	v_div_scale_f64 v[4:5], null, v[2:3], v[2:3], v[0:1]
	v_div_scale_f64 v[21:22], vcc_lo, v[0:1], v[2:3], v[0:1]
	s_delay_alu instid0(VALU_DEP_2) | instskip(NEXT) | instid1(TRANS32_DEP_1)
	v_rcp_f64_e32 v[6:7], v[4:5]
	v_fma_f64 v[19:20], -v[4:5], v[6:7], 1.0
	s_delay_alu instid0(VALU_DEP_1) | instskip(NEXT) | instid1(VALU_DEP_1)
	v_fma_f64 v[6:7], v[6:7], v[19:20], v[6:7]
	v_fma_f64 v[19:20], -v[4:5], v[6:7], 1.0
	s_delay_alu instid0(VALU_DEP_1) | instskip(NEXT) | instid1(VALU_DEP_1)
	v_fma_f64 v[6:7], v[6:7], v[19:20], v[6:7]
	v_mul_f64_e32 v[19:20], v[21:22], v[6:7]
	s_delay_alu instid0(VALU_DEP_1) | instskip(SKIP_1) | instid1(VALU_DEP_1)
	v_fma_f64 v[4:5], -v[4:5], v[19:20], v[21:22]
	s_wait_alu 0xfffd
	v_div_fmas_f64 v[4:5], v[4:5], v[6:7], v[19:20]
	s_delay_alu instid0(VALU_DEP_1) | instskip(NEXT) | instid1(VALU_DEP_1)
	v_div_fixup_f64 v[4:5], v[4:5], v[2:3], v[0:1]
	v_fma_f64 v[0:1], v[0:1], v[4:5], v[2:3]
	s_delay_alu instid0(VALU_DEP_1) | instskip(SKIP_1) | instid1(VALU_DEP_2)
	v_div_scale_f64 v[2:3], null, v[0:1], v[0:1], 1.0
	v_div_scale_f64 v[21:22], vcc_lo, 1.0, v[0:1], 1.0
	v_rcp_f64_e32 v[6:7], v[2:3]
	s_delay_alu instid0(TRANS32_DEP_1) | instskip(NEXT) | instid1(VALU_DEP_1)
	v_fma_f64 v[19:20], -v[2:3], v[6:7], 1.0
	v_fma_f64 v[6:7], v[6:7], v[19:20], v[6:7]
	s_delay_alu instid0(VALU_DEP_1) | instskip(NEXT) | instid1(VALU_DEP_1)
	v_fma_f64 v[19:20], -v[2:3], v[6:7], 1.0
	v_fma_f64 v[6:7], v[6:7], v[19:20], v[6:7]
	s_delay_alu instid0(VALU_DEP_1) | instskip(NEXT) | instid1(VALU_DEP_1)
	v_mul_f64_e32 v[19:20], v[21:22], v[6:7]
	v_fma_f64 v[2:3], -v[2:3], v[19:20], v[21:22]
	s_wait_alu 0xfffd
	s_delay_alu instid0(VALU_DEP_1) | instskip(SKIP_1) | instid1(VALU_DEP_2)
	v_div_fmas_f64 v[2:3], v[2:3], v[6:7], v[19:20]
	v_add_f64_e32 v[6:7], 0, v[4:5]
	v_div_fixup_f64 v[0:1], v[2:3], v[0:1], 1.0
	v_fma_f64 v[2:3], v[4:5], 0, -1.0
	s_delay_alu instid0(VALU_DEP_2) | instskip(NEXT) | instid1(VALU_DEP_2)
	v_mul_f64_e32 v[4:5], v[6:7], v[0:1]
	v_mul_f64_e32 v[6:7], v[2:3], v[0:1]
                                        ; implicit-def: $vgpr0_vgpr1
.LBB220_10:                             ;   in Loop: Header=BB220_4 Depth=1
	s_and_not1_saveexec_b32 s18, s18
	s_cbranch_execz .LBB220_12
; %bb.11:                               ;   in Loop: Header=BB220_4 Depth=1
	v_div_scale_f64 v[4:5], null, v[0:1], v[0:1], v[2:3]
	v_div_scale_f64 v[21:22], vcc_lo, v[2:3], v[0:1], v[2:3]
	s_delay_alu instid0(VALU_DEP_2) | instskip(NEXT) | instid1(TRANS32_DEP_1)
	v_rcp_f64_e32 v[6:7], v[4:5]
	v_fma_f64 v[19:20], -v[4:5], v[6:7], 1.0
	s_delay_alu instid0(VALU_DEP_1) | instskip(NEXT) | instid1(VALU_DEP_1)
	v_fma_f64 v[6:7], v[6:7], v[19:20], v[6:7]
	v_fma_f64 v[19:20], -v[4:5], v[6:7], 1.0
	s_delay_alu instid0(VALU_DEP_1) | instskip(NEXT) | instid1(VALU_DEP_1)
	v_fma_f64 v[6:7], v[6:7], v[19:20], v[6:7]
	v_mul_f64_e32 v[19:20], v[21:22], v[6:7]
	s_delay_alu instid0(VALU_DEP_1) | instskip(SKIP_1) | instid1(VALU_DEP_1)
	v_fma_f64 v[4:5], -v[4:5], v[19:20], v[21:22]
	s_wait_alu 0xfffd
	v_div_fmas_f64 v[4:5], v[4:5], v[6:7], v[19:20]
	s_delay_alu instid0(VALU_DEP_1) | instskip(NEXT) | instid1(VALU_DEP_1)
	v_div_fixup_f64 v[4:5], v[4:5], v[0:1], v[2:3]
	v_fma_f64 v[0:1], v[2:3], v[4:5], v[0:1]
	s_delay_alu instid0(VALU_DEP_1) | instskip(SKIP_1) | instid1(VALU_DEP_2)
	v_div_scale_f64 v[2:3], null, v[0:1], v[0:1], 1.0
	v_div_scale_f64 v[21:22], vcc_lo, 1.0, v[0:1], 1.0
	v_rcp_f64_e32 v[6:7], v[2:3]
	s_delay_alu instid0(TRANS32_DEP_1) | instskip(NEXT) | instid1(VALU_DEP_1)
	v_fma_f64 v[19:20], -v[2:3], v[6:7], 1.0
	v_fma_f64 v[6:7], v[6:7], v[19:20], v[6:7]
	s_delay_alu instid0(VALU_DEP_1) | instskip(NEXT) | instid1(VALU_DEP_1)
	v_fma_f64 v[19:20], -v[2:3], v[6:7], 1.0
	v_fma_f64 v[6:7], v[6:7], v[19:20], v[6:7]
	s_delay_alu instid0(VALU_DEP_1) | instskip(NEXT) | instid1(VALU_DEP_1)
	v_mul_f64_e32 v[19:20], v[21:22], v[6:7]
	v_fma_f64 v[2:3], -v[2:3], v[19:20], v[21:22]
	s_wait_alu 0xfffd
	s_delay_alu instid0(VALU_DEP_1) | instskip(SKIP_1) | instid1(VALU_DEP_2)
	v_div_fmas_f64 v[2:3], v[2:3], v[6:7], v[19:20]
	v_fma_f64 v[6:7], v[4:5], 0, 1.0
	v_div_fixup_f64 v[0:1], v[2:3], v[0:1], 1.0
	v_add_f64_e64 v[2:3], -v[4:5], 0
	s_delay_alu instid0(VALU_DEP_2) | instskip(NEXT) | instid1(VALU_DEP_2)
	v_mul_f64_e32 v[4:5], v[6:7], v[0:1]
	v_mul_f64_e32 v[6:7], v[2:3], v[0:1]
.LBB220_12:                             ;   in Loop: Header=BB220_4 Depth=1
	s_or_b32 exec_lo, exec_lo, s18
	s_branch .LBB220_14
.LBB220_13:                             ;   in Loop: Header=BB220_4 Depth=1
	v_mov_b32_e32 v6, 0
	v_dual_mov_b32 v7, 0 :: v_dual_mov_b32 v4, 0
	v_mov_b32_e32 v5, 0x3ff00000
.LBB220_14:                             ;   in Loop: Header=BB220_4 Depth=1
	ds_store_b128 v18, v[4:7]
.LBB220_15:                             ;   in Loop: Header=BB220_4 Depth=1
	s_wait_alu 0xfffe
	s_or_b32 exec_lo, exec_lo, s16
	s_mov_b32 s16, -1
	s_or_b32 s39, s39, exec_lo
	; wave barrier
	s_wait_loadcnt_dscnt 0x0
	global_inv scope:SCOPE_SE
	s_and_saveexec_b32 s21, s2
	s_cbranch_execz .LBB220_3
; %bb.16:                               ;   in Loop: Header=BB220_4 Depth=1
	v_add_co_u32 v0, vcc_lo, v10, s10
	s_wait_alu 0xfffd
	v_add_co_ci_u32_e64 v1, null, s11, v11, vcc_lo
	s_delay_alu instid0(VALU_DEP_2) | instskip(SKIP_1) | instid1(VALU_DEP_2)
	v_add_co_u32 v6, vcc_lo, v0, v8
	s_wait_alu 0xfffd
	v_add_co_ci_u32_e64 v7, null, v1, v9, vcc_lo
	s_and_not1_b32 vcc_lo, exec_lo, s34
	s_wait_alu 0xfffe
	s_cbranch_vccnz .LBB220_38
; %bb.17:                               ;   in Loop: Header=BB220_4 Depth=1
	v_add_co_u32 v19, vcc_lo, v10, v17
	s_wait_alu 0xfffd
	v_add_co_ci_u32_e64 v20, null, v11, v16, vcc_lo
	s_mov_b32 s22, 0
	s_mov_b32 s18, 0
	s_branch .LBB220_19
.LBB220_18:                             ;   in Loop: Header=BB220_19 Depth=2
	s_cmp_lt_i32 s18, s30
	s_cselect_b32 s16, -1, 0
	s_add_co_i32 s19, s22, 1
	s_cmp_lt_u32 s22, 2
	s_cselect_b32 s22, -1, 0
	s_wait_alu 0xfffe
	s_and_b32 s16, s16, s22
	s_mov_b32 s22, s19
	s_wait_alu 0xfffe
	s_and_b32 vcc_lo, exec_lo, s16
	s_wait_alu 0xfffe
	s_cbranch_vccz .LBB220_37
.LBB220_19:                             ;   Parent Loop BB220_4 Depth=1
                                        ; =>  This Loop Header: Depth=2
                                        ;       Child Loop BB220_22 Depth 3
                                        ;         Child Loop BB220_23 Depth 4
                                        ;         Child Loop BB220_26 Depth 4
                                        ;           Child Loop BB220_27 Depth 5
                                        ;         Child Loop BB220_31 Depth 4
                                        ;           Child Loop BB220_33 Depth 5
	s_mov_b32 s23, s17
	s_getpc_b64 s[24:25]
	s_wait_alu 0xfffe
	s_sext_i32_i16 s25, s25
	s_add_co_u32 s24, s24, __const._ZL30rocblas_trsm_small_left_deviceILi20ELi20ELb0E19rocblas_complex_numIdES1_PKPKS1_PKPS1_Ev13rocblas_fill_18rocblas_operation_17rocblas_diagonal_iiT3_T4_lilT5_lili.step_sizes@rel32@lo+12
	s_wait_alu 0xfffe
	s_add_co_ci_u32 s25, s25, __const._ZL30rocblas_trsm_small_left_deviceILi20ELi20ELb0E19rocblas_complex_numIdES1_PKPKS1_PKPS1_Ev13rocblas_fill_18rocblas_operation_17rocblas_diagonal_iiT3_T4_lilT5_lili.step_sizes@rel32@hi+24
	s_lshl_b64 s[26:27], s[22:23], 2
	s_wait_alu 0xfffe
	s_add_nc_u64 s[24:25], s[24:25], s[26:27]
	s_load_b32 s24, s[24:25], 0x0
	s_wait_kmcnt 0x0
	s_add_co_i32 s23, s24, -1
	s_wait_alu 0xfffe
	s_add_co_i32 s16, s23, s18
	s_wait_alu 0xfffe
	s_cmp_ge_i32 s16, s30
	s_cbranch_scc1 .LBB220_18
; %bb.20:                               ;   in Loop: Header=BB220_19 Depth=2
	s_ashr_i32 s19, s18, 31
	s_ashr_i32 s25, s24, 31
	s_lshl_b64 s[26:27], s[18:19], 4
	s_max_i32 s40, s24, 1
	s_wait_alu 0xfffe
	v_add_co_u32 v4, vcc_lo, v19, s26
	s_wait_alu 0xfffd
	v_add_co_ci_u32_e64 v5, null, s27, v20, vcc_lo
	s_lshl_b64 s[26:27], s[24:25], 4
	s_mul_i32 s19, s18, 0x140
	s_mul_i32 s25, s24, 0x140
	;; [unrolled: 1-line block ×4, first 2 shown]
	s_branch .LBB220_22
.LBB220_21:                             ;   in Loop: Header=BB220_22 Depth=3
	v_add_co_u32 v4, vcc_lo, v4, s26
	s_add_co_i32 s18, s18, s24
	s_wait_alu 0xfffd
	v_add_co_ci_u32_e64 v5, null, s27, v5, vcc_lo
	s_add_co_i32 s16, s23, s18
	s_add_co_i32 s19, s19, s25
	;; [unrolled: 1-line block ×3, first 2 shown]
	s_wait_alu 0xfffe
	s_cmp_ge_i32 s16, s30
	s_cbranch_scc1 .LBB220_18
.LBB220_22:                             ;   Parent Loop BB220_4 Depth=1
                                        ;     Parent Loop BB220_19 Depth=2
                                        ; =>    This Loop Header: Depth=3
                                        ;         Child Loop BB220_23 Depth 4
                                        ;         Child Loop BB220_26 Depth 4
                                        ;           Child Loop BB220_27 Depth 5
                                        ;         Child Loop BB220_31 Depth 4
                                        ;           Child Loop BB220_33 Depth 5
	v_dual_mov_b32 v0, v4 :: v_dual_mov_b32 v1, v5
	s_mov_b32 s16, 8
	s_mov_b32 s28, s40
.LBB220_23:                             ;   Parent Loop BB220_4 Depth=1
                                        ;     Parent Loop BB220_19 Depth=2
                                        ;       Parent Loop BB220_22 Depth=3
                                        ; =>      This Inner Loop Header: Depth=4
	flat_load_b128 v[21:24], v[0:1] offset:-8
	v_add_co_u32 v0, vcc_lo, v0, 16
	s_wait_alu 0xfffd
	v_add_co_ci_u32_e64 v1, null, 0, v1, vcc_lo
	s_wait_alu 0xfffe
	s_add_co_i32 s28, s28, -1
	s_mov_b32 s29, s16
	s_add_co_i32 s16, s16, 16
	s_wait_alu 0xfffe
	s_cmp_eq_u32 s28, 0
	s_wait_loadcnt_dscnt 0x0
	v_mul_f64_e32 v[2:3], s[6:7], v[23:24]
	v_mul_f64_e32 v[25:26], s[4:5], v[23:24]
	s_delay_alu instid0(VALU_DEP_2) | instskip(NEXT) | instid1(VALU_DEP_2)
	v_fma_f64 v[23:24], s[4:5], v[21:22], -v[2:3]
	v_fma_f64 v[25:26], s[6:7], v[21:22], v[25:26]
	scratch_store_b128 off, v[23:26], s29 offset:-8
	s_cbranch_scc0 .LBB220_23
; %bb.24:                               ;   in Loop: Header=BB220_22 Depth=3
	s_cmp_lt_i32 s18, 1
	s_cbranch_scc1 .LBB220_29
; %bb.25:                               ;   in Loop: Header=BB220_22 Depth=3
	s_mov_b32 s16, 0
	s_mov_b32 s28, s19
.LBB220_26:                             ;   Parent Loop BB220_4 Depth=1
                                        ;     Parent Loop BB220_19 Depth=2
                                        ;       Parent Loop BB220_22 Depth=3
                                        ; =>      This Loop Header: Depth=4
                                        ;           Child Loop BB220_27 Depth 5
	s_wait_alu 0xfffe
	s_lshl_b64 s[44:45], s[16:17], 4
	s_mov_b32 s29, s35
	s_wait_alu 0xfffe
	v_add_co_u32 v0, vcc_lo, v6, s44
	s_wait_alu 0xfffd
	v_add_co_ci_u32_e64 v1, null, s45, v7, vcc_lo
	s_mov_b32 s43, s28
	s_mov_b32 s44, s40
	flat_load_b128 v[0:3], v[0:1]
.LBB220_27:                             ;   Parent Loop BB220_4 Depth=1
                                        ;     Parent Loop BB220_19 Depth=2
                                        ;       Parent Loop BB220_22 Depth=3
                                        ;         Parent Loop BB220_26 Depth=4
                                        ; =>        This Inner Loop Header: Depth=5
	scratch_load_b128 v[21:24], off, s29 offset:-8
	s_wait_alu 0xfffe
	v_mov_b32_e32 v25, s43
	s_add_co_i32 s44, s44, -1
	s_addk_co_i32 s43, 0x140
	ds_load_b128 v[25:28], v25
	s_wait_loadcnt_dscnt 0x100
	v_mul_f64_e32 v[29:30], v[2:3], v[27:28]
	v_mul_f64_e32 v[27:28], v[0:1], v[27:28]
	s_delay_alu instid0(VALU_DEP_2) | instskip(NEXT) | instid1(VALU_DEP_2)
	v_fma_f64 v[29:30], v[0:1], v[25:26], -v[29:30]
	v_fma_f64 v[25:26], v[2:3], v[25:26], v[27:28]
	s_wait_loadcnt 0x0
	s_delay_alu instid0(VALU_DEP_2) | instskip(NEXT) | instid1(VALU_DEP_2)
	v_add_f64_e64 v[21:22], v[21:22], -v[29:30]
	v_add_f64_e64 v[23:24], v[23:24], -v[25:26]
	scratch_store_b128 off, v[21:24], s29 offset:-8
	s_add_co_i32 s29, s29, 16
	s_wait_alu 0xfffe
	s_cmp_eq_u32 s44, 0
	s_cbranch_scc0 .LBB220_27
; %bb.28:                               ;   in Loop: Header=BB220_26 Depth=4
	s_add_co_i32 s16, s16, 1
	s_add_co_i32 s28, s28, 16
	s_wait_alu 0xfffe
	s_cmp_eq_u32 s16, s18
	s_cbranch_scc0 .LBB220_26
.LBB220_29:                             ;   in Loop: Header=BB220_22 Depth=3
	s_mov_b32 s16, 0
	s_mov_b32 s43, s41
	s_branch .LBB220_31
.LBB220_30:                             ;   in Loop: Header=BB220_31 Depth=4
	s_wait_alu 0xfffe
	s_mul_i32 s29, s28, 0x150
	s_lshl_b32 s44, s16, 4
	s_wait_alu 0xfffe
	v_mov_b32_e32 v21, s29
	s_ashr_i32 s29, s28, 31
	s_add_co_i32 s16, s16, 1
	s_wait_alu 0xfffe
	s_lshl_b64 s[28:29], s[28:29], 4
	s_addk_co_i32 s43, 0x140
	ds_load_b128 v[21:24], v21
	s_cmp_eq_u32 s16, s40
	s_wait_loadcnt_dscnt 0x0
	v_mul_f64_e32 v[25:26], v[23:24], v[2:3]
	v_mul_f64_e32 v[2:3], v[21:22], v[2:3]
	s_delay_alu instid0(VALU_DEP_2) | instskip(NEXT) | instid1(VALU_DEP_2)
	v_fma_f64 v[21:22], v[21:22], v[0:1], -v[25:26]
	v_fma_f64 v[23:24], v[23:24], v[0:1], v[2:3]
	s_wait_alu 0xfffe
	v_add_co_u32 v0, vcc_lo, v6, s28
	s_wait_alu 0xfffd
	v_add_co_ci_u32_e64 v1, null, s29, v7, vcc_lo
	scratch_store_b128 off, v[21:24], s44
	flat_store_b128 v[0:1], v[21:24]
	s_cbranch_scc1 .LBB220_21
.LBB220_31:                             ;   Parent Loop BB220_4 Depth=1
                                        ;     Parent Loop BB220_19 Depth=2
                                        ;       Parent Loop BB220_22 Depth=3
                                        ; =>      This Loop Header: Depth=4
                                        ;           Child Loop BB220_33 Depth 5
	s_wait_alu 0xfffe
	s_cmp_lg_u32 s16, 0
	s_cbranch_scc0 .LBB220_35
; %bb.32:                               ;   in Loop: Header=BB220_31 Depth=4
	s_lshl_b32 s29, s16, 4
	s_add_co_i32 s28, s16, s18
	scratch_load_b128 v[0:3], off, s29
	s_mov_b32 s44, s43
	s_mov_b32 s45, s35
	;; [unrolled: 1-line block ×3, first 2 shown]
.LBB220_33:                             ;   Parent Loop BB220_4 Depth=1
                                        ;     Parent Loop BB220_19 Depth=2
                                        ;       Parent Loop BB220_22 Depth=3
                                        ;         Parent Loop BB220_31 Depth=4
                                        ; =>        This Inner Loop Header: Depth=5
	scratch_load_b128 v[21:24], off, s45 offset:-8
	s_wait_alu 0xfffe
	v_mov_b32_e32 v25, s44
	s_add_co_i32 s46, s46, -1
	s_add_co_i32 s45, s45, 16
	s_add_co_i32 s44, s44, 16
	s_cmp_eq_u32 s46, 0
	ds_load_b128 v[25:28], v25
	s_wait_loadcnt_dscnt 0x0
	v_mul_f64_e32 v[29:30], v[27:28], v[23:24]
	v_mul_f64_e32 v[23:24], v[25:26], v[23:24]
	s_delay_alu instid0(VALU_DEP_2) | instskip(NEXT) | instid1(VALU_DEP_2)
	v_fma_f64 v[25:26], v[25:26], v[21:22], -v[29:30]
	v_fma_f64 v[21:22], v[27:28], v[21:22], v[23:24]
	s_delay_alu instid0(VALU_DEP_2) | instskip(NEXT) | instid1(VALU_DEP_2)
	v_add_f64_e64 v[0:1], v[0:1], -v[25:26]
	v_add_f64_e64 v[2:3], v[2:3], -v[21:22]
	scratch_store_b128 off, v[0:3], s29
	s_cbranch_scc0 .LBB220_33
; %bb.34:                               ;   in Loop: Header=BB220_31 Depth=4
	s_branch .LBB220_30
.LBB220_35:                             ;   in Loop: Header=BB220_31 Depth=4
                                        ; implicit-def: $vgpr0_vgpr1
                                        ; implicit-def: $sgpr28
	s_cbranch_execz .LBB220_30
; %bb.36:                               ;   in Loop: Header=BB220_31 Depth=4
	scratch_load_b128 v[0:3], off, off
	s_mov_b32 s28, s18
	s_branch .LBB220_30
.LBB220_37:                             ;   in Loop: Header=BB220_4 Depth=1
	s_mov_b32 s16, 0
.LBB220_38:                             ;   in Loop: Header=BB220_4 Depth=1
	s_wait_alu 0xfffe
	s_and_b32 vcc_lo, exec_lo, s16
	s_wait_alu 0xfffe
	s_cbranch_vccz .LBB220_2
; %bb.39:                               ;   in Loop: Header=BB220_4 Depth=1
	v_add_co_u32 v4, vcc_lo, v10, v17
	s_wait_alu 0xfffd
	v_add_co_ci_u32_e64 v5, null, v11, v16, vcc_lo
	s_mov_b32 s16, 0
	s_mov_b32 s18, s31
	s_branch .LBB220_41
.LBB220_40:                             ;   in Loop: Header=BB220_41 Depth=2
	s_cmp_gt_i32 s18, -1
	s_cselect_b32 s19, -1, 0
	s_add_co_i32 s22, s16, 1
	s_cmp_lt_u32 s16, 2
	s_cselect_b32 s16, -1, 0
	s_wait_alu 0xfffe
	s_and_b32 s16, s19, s16
	s_wait_alu 0xfffe
	s_and_not1_b32 vcc_lo, exec_lo, s16
	s_mov_b32 s16, s22
	s_wait_alu 0xfffe
	s_cbranch_vccnz .LBB220_2
.LBB220_41:                             ;   Parent Loop BB220_4 Depth=1
                                        ; =>  This Loop Header: Depth=2
                                        ;       Child Loop BB220_44 Depth 3
                                        ;         Child Loop BB220_45 Depth 4
                                        ;         Child Loop BB220_47 Depth 4
                                        ;           Child Loop BB220_48 Depth 5
                                        ;         Child Loop BB220_52 Depth 4
                                        ;           Child Loop BB220_54 Depth 5
	s_getpc_b64 s[22:23]
	s_wait_alu 0xfffe
	s_sext_i32_i16 s23, s23
	s_add_co_u32 s22, s22, __const._ZL30rocblas_trsm_small_left_deviceILi20ELi20ELb0E19rocblas_complex_numIdES1_PKPKS1_PKPS1_Ev13rocblas_fill_18rocblas_operation_17rocblas_diagonal_iiT3_T4_lilT5_lili.step_sizes@rel32@lo+12
	s_wait_alu 0xfffe
	s_add_co_ci_u32 s23, s23, __const._ZL30rocblas_trsm_small_left_deviceILi20ELi20ELb0E19rocblas_complex_numIdES1_PKPKS1_PKPS1_Ev13rocblas_fill_18rocblas_operation_17rocblas_diagonal_iiT3_T4_lilT5_lili.step_sizes@rel32@hi+24
	s_lshl_b64 s[24:25], s[16:17], 2
	s_wait_alu 0xfffe
	s_add_nc_u64 s[22:23], s[22:23], s[24:25]
	s_load_b32 s26, s[22:23], 0x0
	s_wait_kmcnt 0x0
	s_add_co_i32 s27, s26, -1
	s_wait_alu 0xfffe
	s_cmp_lt_i32 s18, s27
	s_cbranch_scc1 .LBB220_40
; %bb.42:                               ;   in Loop: Header=BB220_41 Depth=2
	s_lshl_b32 s19, s18, 4
	s_lshl_b32 s22, s26, 4
	s_max_i32 s28, s26, 1
	s_add_co_i32 s29, s36, s19
	s_wait_alu 0xfffe
	s_sub_co_i32 s40, 0, s22
	s_mul_i32 s41, s18, 0x150
	s_mul_i32 s42, s26, 0xfffffeb0
	s_branch .LBB220_44
.LBB220_43:                             ;   in Loop: Header=BB220_44 Depth=3
	s_sub_co_i32 s18, s18, s26
	s_add_co_i32 s29, s29, s40
	s_add_co_i32 s41, s41, s42
	s_cmp_lt_i32 s18, s27
	s_cbranch_scc1 .LBB220_40
.LBB220_44:                             ;   Parent Loop BB220_4 Depth=1
                                        ;     Parent Loop BB220_41 Depth=2
                                        ; =>    This Loop Header: Depth=3
                                        ;         Child Loop BB220_45 Depth 4
                                        ;         Child Loop BB220_47 Depth 4
                                        ;           Child Loop BB220_48 Depth 5
                                        ;         Child Loop BB220_52 Depth 4
                                        ;           Child Loop BB220_54 Depth 5
	s_ashr_i32 s19, s18, 31
	s_delay_alu instid0(SALU_CYCLE_1)
	s_lshl_b64 s[22:23], s[18:19], 4
	s_wait_alu 0xfffe
	v_add_co_u32 v0, vcc_lo, v4, s22
	s_wait_alu 0xfffd
	v_add_co_ci_u32_e64 v1, null, s23, v5, vcc_lo
	s_mov_b32 s22, 8
	s_mov_b32 s23, s28
.LBB220_45:                             ;   Parent Loop BB220_4 Depth=1
                                        ;     Parent Loop BB220_41 Depth=2
                                        ;       Parent Loop BB220_44 Depth=3
                                        ; =>      This Inner Loop Header: Depth=4
	flat_load_b128 v[19:22], v[0:1] offset:-8
	v_add_co_u32 v0, vcc_lo, v0, -16
	s_wait_alu 0xfffd
	v_add_co_ci_u32_e64 v1, null, -1, v1, vcc_lo
	s_wait_alu 0xfffe
	s_add_co_i32 s23, s23, -1
	s_mov_b32 s24, s22
	s_add_co_i32 s22, s22, 16
	s_wait_alu 0xfffe
	s_cmp_eq_u32 s23, 0
	s_wait_loadcnt_dscnt 0x0
	v_mul_f64_e32 v[2:3], s[6:7], v[21:22]
	v_mul_f64_e32 v[10:11], s[4:5], v[21:22]
	s_delay_alu instid0(VALU_DEP_2) | instskip(NEXT) | instid1(VALU_DEP_2)
	v_fma_f64 v[21:22], s[4:5], v[19:20], -v[2:3]
	v_fma_f64 v[23:24], s[6:7], v[19:20], v[10:11]
	scratch_store_b128 off, v[21:24], s24 offset:-8
	s_cbranch_scc0 .LBB220_45
; %bb.46:                               ;   in Loop: Header=BB220_44 Depth=3
	s_cmp_le_i32 s31, s18
	s_mov_b32 s24, s29
	s_mov_b32 s22, s31
	s_cbranch_scc1 .LBB220_50
.LBB220_47:                             ;   Parent Loop BB220_4 Depth=1
                                        ;     Parent Loop BB220_41 Depth=2
                                        ;       Parent Loop BB220_44 Depth=3
                                        ; =>      This Loop Header: Depth=4
                                        ;           Child Loop BB220_48 Depth 5
	s_wait_alu 0xfffe
	s_ashr_i32 s23, s22, 31
	s_mov_b32 s25, s24
	s_wait_alu 0xfffe
	s_lshl_b64 s[44:45], s[22:23], 4
	s_mov_b32 s23, s35
	s_wait_alu 0xfffe
	v_add_co_u32 v0, vcc_lo, v6, s44
	s_wait_alu 0xfffd
	v_add_co_ci_u32_e64 v1, null, s45, v7, vcc_lo
	s_mov_b32 s43, s28
	flat_load_b128 v[0:3], v[0:1]
.LBB220_48:                             ;   Parent Loop BB220_4 Depth=1
                                        ;     Parent Loop BB220_41 Depth=2
                                        ;       Parent Loop BB220_44 Depth=3
                                        ;         Parent Loop BB220_47 Depth=4
                                        ; =>        This Inner Loop Header: Depth=5
	scratch_load_b128 v[19:22], off, s23 offset:-8
	v_mov_b32_e32 v10, s25
	s_wait_alu 0xfffe
	s_add_co_i32 s43, s43, -1
	s_add_co_i32 s25, s25, -16
	ds_load_b128 v[23:26], v10
	s_wait_loadcnt_dscnt 0x100
	v_mul_f64_e32 v[10:11], v[2:3], v[25:26]
	v_mul_f64_e32 v[25:26], v[0:1], v[25:26]
	s_delay_alu instid0(VALU_DEP_2) | instskip(NEXT) | instid1(VALU_DEP_2)
	v_fma_f64 v[10:11], v[0:1], v[23:24], -v[10:11]
	v_fma_f64 v[23:24], v[2:3], v[23:24], v[25:26]
	s_wait_loadcnt 0x0
	s_delay_alu instid0(VALU_DEP_2) | instskip(NEXT) | instid1(VALU_DEP_2)
	v_add_f64_e64 v[19:20], v[19:20], -v[10:11]
	v_add_f64_e64 v[21:22], v[21:22], -v[23:24]
	scratch_store_b128 off, v[19:22], s23 offset:-8
	s_add_co_i32 s23, s23, 16
	s_wait_alu 0xfffe
	s_cmp_eq_u32 s43, 0
	s_cbranch_scc0 .LBB220_48
; %bb.49:                               ;   in Loop: Header=BB220_47 Depth=4
	s_add_co_i32 s22, s22, -1
	s_addk_co_i32 s24, 0xfec0
	s_wait_alu 0xfffe
	s_cmp_le_i32 s22, s18
	s_cbranch_scc0 .LBB220_47
.LBB220_50:                             ;   in Loop: Header=BB220_44 Depth=3
	s_mov_b32 s43, 0
	s_mov_b32 s44, s41
	s_branch .LBB220_52
.LBB220_51:                             ;   in Loop: Header=BB220_52 Depth=4
	s_wait_alu 0xfffe
	s_mulk_i32 s24, 0x150
	s_lshl_b64 s[22:23], s[22:23], 4
	s_wait_alu 0xfffe
	v_mov_b32_e32 v10, s24
	s_lshl_b32 s24, s43, 4
	s_add_co_i32 s43, s43, 1
	s_add_co_i32 s44, s44, -16
	s_wait_alu 0xfffe
	s_cmp_eq_u32 s43, s28
	ds_load_b128 v[19:22], v10
	s_wait_loadcnt_dscnt 0x0
	v_mul_f64_e32 v[10:11], v[21:22], v[2:3]
	v_mul_f64_e32 v[2:3], v[19:20], v[2:3]
	s_delay_alu instid0(VALU_DEP_2) | instskip(NEXT) | instid1(VALU_DEP_2)
	v_fma_f64 v[19:20], v[19:20], v[0:1], -v[10:11]
	v_fma_f64 v[21:22], v[21:22], v[0:1], v[2:3]
	v_add_co_u32 v0, vcc_lo, v6, s22
	s_wait_alu 0xfffd
	v_add_co_ci_u32_e64 v1, null, s23, v7, vcc_lo
	scratch_store_b128 off, v[19:22], s24
	flat_store_b128 v[0:1], v[19:22]
	s_cbranch_scc1 .LBB220_43
.LBB220_52:                             ;   Parent Loop BB220_4 Depth=1
                                        ;     Parent Loop BB220_41 Depth=2
                                        ;       Parent Loop BB220_44 Depth=3
                                        ; =>      This Loop Header: Depth=4
                                        ;           Child Loop BB220_54 Depth 5
	s_wait_alu 0xfffe
	s_cmp_lg_u32 s43, 0
	s_cbranch_scc0 .LBB220_56
; %bb.53:                               ;   in Loop: Header=BB220_52 Depth=4
	s_lshl_b32 s22, s43, 4
	s_mov_b32 s23, s35
	scratch_load_b128 v[0:3], off, s22
	s_mov_b32 s24, s44
	s_mov_b32 s25, s43
.LBB220_54:                             ;   Parent Loop BB220_4 Depth=1
                                        ;     Parent Loop BB220_41 Depth=2
                                        ;       Parent Loop BB220_44 Depth=3
                                        ;         Parent Loop BB220_52 Depth=4
                                        ; =>        This Inner Loop Header: Depth=5
	scratch_load_b128 v[19:22], off, s23 offset:-8
	s_wait_alu 0xfffe
	v_mov_b32_e32 v10, s24
	s_add_co_i32 s25, s25, -1
	s_addk_co_i32 s24, 0xfec0
	s_add_co_i32 s23, s23, 16
	s_wait_alu 0xfffe
	s_cmp_eq_u32 s25, 0
	ds_load_b128 v[23:26], v10
	s_wait_loadcnt_dscnt 0x0
	v_mul_f64_e32 v[10:11], v[25:26], v[21:22]
	v_mul_f64_e32 v[21:22], v[23:24], v[21:22]
	s_delay_alu instid0(VALU_DEP_2) | instskip(NEXT) | instid1(VALU_DEP_2)
	v_fma_f64 v[10:11], v[23:24], v[19:20], -v[10:11]
	v_fma_f64 v[19:20], v[25:26], v[19:20], v[21:22]
	s_delay_alu instid0(VALU_DEP_2) | instskip(NEXT) | instid1(VALU_DEP_2)
	v_add_f64_e64 v[0:1], v[0:1], -v[10:11]
	v_add_f64_e64 v[2:3], v[2:3], -v[19:20]
	scratch_store_b128 off, v[0:3], s22
	s_cbranch_scc0 .LBB220_54
; %bb.55:                               ;   in Loop: Header=BB220_52 Depth=4
	s_sub_co_i32 s24, s18, s43
	s_wait_alu 0xfffe
	s_ashr_i32 s25, s24, 31
	s_wait_alu 0xfffe
	s_mov_b64 s[22:23], s[24:25]
	s_branch .LBB220_51
.LBB220_56:                             ;   in Loop: Header=BB220_52 Depth=4
                                        ; implicit-def: $vgpr0_vgpr1
                                        ; implicit-def: $sgpr24
                                        ; implicit-def: $sgpr22_sgpr23
	s_cbranch_execz .LBB220_51
; %bb.57:                               ;   in Loop: Header=BB220_52 Depth=4
	scratch_load_b128 v[0:3], off, off
	s_mov_b64 s[22:23], s[18:19]
	s_mov_b32 s24, s18
	s_branch .LBB220_51
.LBB220_58:
	s_or_b32 exec_lo, exec_lo, s37
	s_and_saveexec_b32 s0, s38
	s_wait_alu 0xfffe
	s_xor_b32 s0, exec_lo, s0
.LBB220_59:
	s_endpgm
	.section	.rodata,"a",@progbits
	.p2align	6, 0x0
	.amdhsa_kernel _ZL30rocblas_trsm_small_left_deviceILi20ELi20ELb0E19rocblas_complex_numIdES1_PKPKS1_PKPS1_Ev13rocblas_fill_18rocblas_operation_17rocblas_diagonal_iiT3_T4_lilT5_lili
		.amdhsa_group_segment_fixed_size 6400
		.amdhsa_private_segment_fixed_size 336
		.amdhsa_kernarg_size 368
		.amdhsa_user_sgpr_count 2
		.amdhsa_user_sgpr_dispatch_ptr 0
		.amdhsa_user_sgpr_queue_ptr 0
		.amdhsa_user_sgpr_kernarg_segment_ptr 1
		.amdhsa_user_sgpr_dispatch_id 0
		.amdhsa_user_sgpr_private_segment_size 0
		.amdhsa_wavefront_size32 1
		.amdhsa_uses_dynamic_stack 0
		.amdhsa_enable_private_segment 1
		.amdhsa_system_sgpr_workgroup_id_x 1
		.amdhsa_system_sgpr_workgroup_id_y 0
		.amdhsa_system_sgpr_workgroup_id_z 1
		.amdhsa_system_sgpr_workgroup_info 0
		.amdhsa_system_vgpr_workitem_id 0
		.amdhsa_next_free_vgpr 241
		.amdhsa_next_free_sgpr 47
		.amdhsa_reserve_vcc 1
		.amdhsa_float_round_mode_32 0
		.amdhsa_float_round_mode_16_64 0
		.amdhsa_float_denorm_mode_32 3
		.amdhsa_float_denorm_mode_16_64 3
		.amdhsa_fp16_overflow 0
		.amdhsa_workgroup_processor_mode 1
		.amdhsa_memory_ordered 1
		.amdhsa_forward_progress 1
		.amdhsa_inst_pref_size 25
		.amdhsa_round_robin_scheduling 0
		.amdhsa_exception_fp_ieee_invalid_op 0
		.amdhsa_exception_fp_denorm_src 0
		.amdhsa_exception_fp_ieee_div_zero 0
		.amdhsa_exception_fp_ieee_overflow 0
		.amdhsa_exception_fp_ieee_underflow 0
		.amdhsa_exception_fp_ieee_inexact 0
		.amdhsa_exception_int_div_zero 0
	.end_amdhsa_kernel
	.section	.text._ZL30rocblas_trsm_small_left_deviceILi20ELi20ELb0E19rocblas_complex_numIdES1_PKPKS1_PKPS1_Ev13rocblas_fill_18rocblas_operation_17rocblas_diagonal_iiT3_T4_lilT5_lili,"axG",@progbits,_ZL30rocblas_trsm_small_left_deviceILi20ELi20ELb0E19rocblas_complex_numIdES1_PKPKS1_PKPS1_Ev13rocblas_fill_18rocblas_operation_17rocblas_diagonal_iiT3_T4_lilT5_lili,comdat
.Lfunc_end220:
	.size	_ZL30rocblas_trsm_small_left_deviceILi20ELi20ELb0E19rocblas_complex_numIdES1_PKPKS1_PKPS1_Ev13rocblas_fill_18rocblas_operation_17rocblas_diagonal_iiT3_T4_lilT5_lili, .Lfunc_end220-_ZL30rocblas_trsm_small_left_deviceILi20ELi20ELb0E19rocblas_complex_numIdES1_PKPKS1_PKPS1_Ev13rocblas_fill_18rocblas_operation_17rocblas_diagonal_iiT3_T4_lilT5_lili
                                        ; -- End function
	.set _ZL30rocblas_trsm_small_left_deviceILi20ELi20ELb0E19rocblas_complex_numIdES1_PKPKS1_PKPS1_Ev13rocblas_fill_18rocblas_operation_17rocblas_diagonal_iiT3_T4_lilT5_lili.num_vgpr, 31
	.set _ZL30rocblas_trsm_small_left_deviceILi20ELi20ELb0E19rocblas_complex_numIdES1_PKPKS1_PKPS1_Ev13rocblas_fill_18rocblas_operation_17rocblas_diagonal_iiT3_T4_lilT5_lili.num_agpr, 0
	.set _ZL30rocblas_trsm_small_left_deviceILi20ELi20ELb0E19rocblas_complex_numIdES1_PKPKS1_PKPS1_Ev13rocblas_fill_18rocblas_operation_17rocblas_diagonal_iiT3_T4_lilT5_lili.numbered_sgpr, 47
	.set _ZL30rocblas_trsm_small_left_deviceILi20ELi20ELb0E19rocblas_complex_numIdES1_PKPKS1_PKPS1_Ev13rocblas_fill_18rocblas_operation_17rocblas_diagonal_iiT3_T4_lilT5_lili.num_named_barrier, 0
	.set _ZL30rocblas_trsm_small_left_deviceILi20ELi20ELb0E19rocblas_complex_numIdES1_PKPKS1_PKPS1_Ev13rocblas_fill_18rocblas_operation_17rocblas_diagonal_iiT3_T4_lilT5_lili.private_seg_size, 336
	.set _ZL30rocblas_trsm_small_left_deviceILi20ELi20ELb0E19rocblas_complex_numIdES1_PKPKS1_PKPS1_Ev13rocblas_fill_18rocblas_operation_17rocblas_diagonal_iiT3_T4_lilT5_lili.uses_vcc, 1
	.set _ZL30rocblas_trsm_small_left_deviceILi20ELi20ELb0E19rocblas_complex_numIdES1_PKPKS1_PKPS1_Ev13rocblas_fill_18rocblas_operation_17rocblas_diagonal_iiT3_T4_lilT5_lili.uses_flat_scratch, 0
	.set _ZL30rocblas_trsm_small_left_deviceILi20ELi20ELb0E19rocblas_complex_numIdES1_PKPKS1_PKPS1_Ev13rocblas_fill_18rocblas_operation_17rocblas_diagonal_iiT3_T4_lilT5_lili.has_dyn_sized_stack, 0
	.set _ZL30rocblas_trsm_small_left_deviceILi20ELi20ELb0E19rocblas_complex_numIdES1_PKPKS1_PKPS1_Ev13rocblas_fill_18rocblas_operation_17rocblas_diagonal_iiT3_T4_lilT5_lili.has_recursion, 0
	.set _ZL30rocblas_trsm_small_left_deviceILi20ELi20ELb0E19rocblas_complex_numIdES1_PKPKS1_PKPS1_Ev13rocblas_fill_18rocblas_operation_17rocblas_diagonal_iiT3_T4_lilT5_lili.has_indirect_call, 0
	.section	.AMDGPU.csdata,"",@progbits
; Kernel info:
; codeLenInByte = 3160
; TotalNumSgprs: 49
; NumVgprs: 31
; ScratchSize: 336
; MemoryBound: 0
; FloatMode: 240
; IeeeMode: 1
; LDSByteSize: 6400 bytes/workgroup (compile time only)
; SGPRBlocks: 0
; VGPRBlocks: 30
; NumSGPRsForWavesPerEU: 49
; NumVGPRsForWavesPerEU: 241
; Occupancy: 5
; WaveLimiterHint : 1
; COMPUTE_PGM_RSRC2:SCRATCH_EN: 1
; COMPUTE_PGM_RSRC2:USER_SGPR: 2
; COMPUTE_PGM_RSRC2:TRAP_HANDLER: 0
; COMPUTE_PGM_RSRC2:TGID_X_EN: 1
; COMPUTE_PGM_RSRC2:TGID_Y_EN: 0
; COMPUTE_PGM_RSRC2:TGID_Z_EN: 1
; COMPUTE_PGM_RSRC2:TIDIG_COMP_CNT: 0
	.section	.text._ZL38rocblas_trsm_small_left_device_sharedBILi20ELi20ELb1E19rocblas_complex_numIdES1_PKPKS1_PKPS1_Ev13rocblas_fill_18rocblas_operation_17rocblas_diagonal_iiT3_T4_lilT5_lili,"axG",@progbits,_ZL38rocblas_trsm_small_left_device_sharedBILi20ELi20ELb1E19rocblas_complex_numIdES1_PKPKS1_PKPS1_Ev13rocblas_fill_18rocblas_operation_17rocblas_diagonal_iiT3_T4_lilT5_lili,comdat
	.globl	_ZL38rocblas_trsm_small_left_device_sharedBILi20ELi20ELb1E19rocblas_complex_numIdES1_PKPKS1_PKPS1_Ev13rocblas_fill_18rocblas_operation_17rocblas_diagonal_iiT3_T4_lilT5_lili ; -- Begin function _ZL38rocblas_trsm_small_left_device_sharedBILi20ELi20ELb1E19rocblas_complex_numIdES1_PKPKS1_PKPS1_Ev13rocblas_fill_18rocblas_operation_17rocblas_diagonal_iiT3_T4_lilT5_lili
	.p2align	8
	.type	_ZL38rocblas_trsm_small_left_device_sharedBILi20ELi20ELb1E19rocblas_complex_numIdES1_PKPKS1_PKPS1_Ev13rocblas_fill_18rocblas_operation_17rocblas_diagonal_iiT3_T4_lilT5_lili,@function
_ZL38rocblas_trsm_small_left_device_sharedBILi20ELi20ELb1E19rocblas_complex_numIdES1_PKPKS1_PKPS1_Ev13rocblas_fill_18rocblas_operation_17rocblas_diagonal_iiT3_T4_lilT5_lili: ; @_ZL38rocblas_trsm_small_left_device_sharedBILi20ELi20ELb1E19rocblas_complex_numIdES1_PKPKS1_PKPS1_Ev13rocblas_fill_18rocblas_operation_17rocblas_diagonal_iiT3_T4_lilT5_lili
; %bb.0:
	s_load_b32 s24, s[0:1], 0x68
	s_lshr_b32 s2, ttmp7, 16
	s_wait_kmcnt 0x0
	s_cmp_ge_u32 s2, s24
	s_cbranch_scc1 .LBB221_62
; %bb.1:
	s_clause 0x5
	s_load_b32 s22, s[0:1], 0x38
	s_load_b32 s30, s[0:1], 0x58
	s_load_b128 s[16:19], s[0:1], 0x4
	s_load_b32 s3, s[0:1], 0x70
	s_load_b128 s[12:15], s[0:1], 0x48
	s_load_b256 s[4:11], s[0:1], 0x18
	s_mul_i32 s1, ttmp9, 0xffffffec
	s_mul_i32 s34, ttmp9, 20
	v_dual_mov_b32 v14, 0 :: v_dual_lshlrev_b32 v13, 4, v0
	v_mul_u32_u24_e32 v5, 0x140, v0
	s_mov_b32 s21, 0
	s_delay_alu instid0(VALU_DEP_2) | instskip(NEXT) | instid1(VALU_DEP_2)
	v_add_nc_u32_e32 v8, 0x1900, v13
	v_add_nc_u32_e32 v19, v13, v5
	s_wait_kmcnt 0x0
	s_ashr_i32 s23, s22, 31
	s_ashr_i32 s31, s30, 31
	s_cmp_eq_u32 s16, 0x71
	v_mad_co_i64_i32 v[1:2], null, s30, v0, 0
	s_cselect_b32 s0, -1, 0
	s_min_i32 s25, s18, 20
	s_add_co_i32 s3, s3, -1
	s_add_co_i32 s1, s19, s1
	s_add_co_i32 s26, s25, -1
	s_cmp_ge_u32 ttmp9, s3
	v_lshlrev_b64_e32 v[9:10], 4, v[1:2]
	s_cselect_b32 s3, s1, 20
	s_ashr_i32 s35, s34, 31
	s_cmp_lg_u32 s17, 0x84
	v_cmp_gt_i32_e64 s1, s25, v0
	s_cselect_b32 s27, -1, 0
	s_cmp_gt_i32 s18, 0
	v_cmp_gt_i32_e32 vcc_lo, s3, v0
	s_cselect_b32 s20, -1, 0
	s_cmp_lg_u32 s16, 0x6f
	s_mul_u64 s[18:19], s[30:31], s[34:35]
	s_cselect_b32 s28, -1, 0
	s_lshl_b64 s[16:17], s[34:35], 4
	s_and_b32 s29, vcc_lo, s20
	v_add_co_u32 v0, s3, s16, v13
	s_wait_alu 0xf1ff
	v_add_co_ci_u32_e64 v3, null, s17, 0, s3
	s_lshl_b64 s[16:17], s[10:11], 4
	s_lshl_b64 s[10:11], s[14:15], 4
	v_mul_lo_u32 v6, v0, s31
	v_mul_lo_u32 v7, v3, s30
	v_mad_co_u64_u32 v[3:4], null, v0, s30, s[10:11]
	s_wait_alu 0xfffe
	v_add_co_u32 v0, s3, s16, v13
	s_wait_alu 0xf1ff
	v_add_co_ci_u32_e64 v15, null, s17, 0, s3
	s_lshl_b32 s3, s25, 4
	v_or_b32_e32 v16, 8, v0
	v_add3_u32 v17, v7, v4, v6
	v_or_b32_e32 v18, 8, v3
	s_or_b32 s30, 0, 8
	s_lshl_b64 s[14:15], s[22:23], 4
	s_wait_alu 0xfffe
	s_add_co_i32 s22, s3, -16
	s_lshl_b64 s[16:17], s[18:19], 4
	s_branch .LBB221_3
.LBB221_2:                              ;   in Loop: Header=BB221_3 Depth=1
	s_wait_alu 0xfffe
	s_or_b32 exec_lo, exec_lo, s3
	s_add_co_i32 s2, s2, 0x10000
	s_wait_alu 0xfffe
	s_cmp_lt_u32 s2, s24
	s_cbranch_scc0 .LBB221_62
.LBB221_3:                              ; =>This Loop Header: Depth=1
                                        ;     Child Loop BB221_5 Depth 2
                                        ;     Child Loop BB221_16 Depth 2
	;; [unrolled: 1-line block ×3, first 2 shown]
                                        ;       Child Loop BB221_23 Depth 3
                                        ;         Child Loop BB221_24 Depth 4
                                        ;         Child Loop BB221_26 Depth 4
                                        ;           Child Loop BB221_27 Depth 5
                                        ;         Child Loop BB221_31 Depth 4
                                        ;           Child Loop BB221_33 Depth 5
                                        ;     Child Loop BB221_41 Depth 2
                                        ;       Child Loop BB221_44 Depth 3
                                        ;         Child Loop BB221_45 Depth 4
                                        ;         Child Loop BB221_48 Depth 4
                                        ;           Child Loop BB221_49 Depth 5
                                        ;         Child Loop BB221_53 Depth 4
                                        ;           Child Loop BB221_55 Depth 5
                                        ;     Child Loop BB221_61 Depth 2
	s_mov_b32 s3, s21
	s_wait_alu 0xfffe
	s_lshl_b64 s[18:19], s[2:3], 3
	s_delay_alu instid0(SALU_CYCLE_1)
	s_add_nc_u64 s[34:35], s[12:13], s[18:19]
	global_load_b64 v[11:12], v14, s[34:35]
	s_and_saveexec_b32 s3, s1
	s_cbranch_execz .LBB221_14
; %bb.4:                                ;   in Loop: Header=BB221_3 Depth=1
	s_add_nc_u64 s[18:19], s[8:9], s[18:19]
	v_mov_b32_e32 v2, v13
	global_load_b64 v[0:1], v14, s[18:19]
	s_mov_b32 s18, s25
	s_wait_loadcnt 0x0
	v_add_co_u32 v0, vcc_lo, v0, v16
	s_wait_alu 0xfffd
	v_add_co_ci_u32_e64 v1, null, v1, v15, vcc_lo
.LBB221_5:                              ;   Parent Loop BB221_3 Depth=1
                                        ; =>  This Inner Loop Header: Depth=2
	flat_load_b128 v[3:6], v[0:1] offset:-8
	v_add_co_u32 v0, vcc_lo, v0, s14
	s_wait_alu 0xfffd
	v_add_co_ci_u32_e64 v1, null, s15, v1, vcc_lo
	s_add_co_i32 s18, s18, -1
	s_delay_alu instid0(SALU_CYCLE_1) | instskip(SKIP_2) | instid1(VALU_DEP_1)
	s_cmp_eq_u32 s18, 0
	s_wait_loadcnt_dscnt 0x0
	v_xor_b32_e32 v7, 0x80000000, v6
	v_cndmask_b32_e64 v6, v6, v7, s0
	ds_store_b128 v2, v[3:6]
	v_add_nc_u32_e32 v2, 0x140, v2
	s_cbranch_scc0 .LBB221_5
; %bb.6:                                ;   in Loop: Header=BB221_3 Depth=1
	s_and_b32 vcc_lo, exec_lo, s27
	s_wait_alu 0xfffe
	s_cbranch_vccz .LBB221_12
; %bb.7:                                ;   in Loop: Header=BB221_3 Depth=1
	ds_load_b128 v[0:3], v19
                                        ; implicit-def: $vgpr6_vgpr7
	s_wait_dscnt 0x0
	v_cmp_ngt_f64_e64 s18, |v[0:1]|, |v[2:3]|
	s_and_saveexec_b32 s19, s18
	s_delay_alu instid0(SALU_CYCLE_1)
	s_xor_b32 s18, exec_lo, s19
	s_cbranch_execz .LBB221_9
; %bb.8:                                ;   in Loop: Header=BB221_3 Depth=1
	v_div_scale_f64 v[4:5], null, v[2:3], v[2:3], v[0:1]
	v_div_scale_f64 v[22:23], vcc_lo, v[0:1], v[2:3], v[0:1]
	s_delay_alu instid0(VALU_DEP_2) | instskip(NEXT) | instid1(TRANS32_DEP_1)
	v_rcp_f64_e32 v[6:7], v[4:5]
	v_fma_f64 v[20:21], -v[4:5], v[6:7], 1.0
	s_delay_alu instid0(VALU_DEP_1) | instskip(NEXT) | instid1(VALU_DEP_1)
	v_fma_f64 v[6:7], v[6:7], v[20:21], v[6:7]
	v_fma_f64 v[20:21], -v[4:5], v[6:7], 1.0
	s_delay_alu instid0(VALU_DEP_1) | instskip(NEXT) | instid1(VALU_DEP_1)
	v_fma_f64 v[6:7], v[6:7], v[20:21], v[6:7]
	v_mul_f64_e32 v[20:21], v[22:23], v[6:7]
	s_delay_alu instid0(VALU_DEP_1) | instskip(SKIP_1) | instid1(VALU_DEP_1)
	v_fma_f64 v[4:5], -v[4:5], v[20:21], v[22:23]
	s_wait_alu 0xfffd
	v_div_fmas_f64 v[4:5], v[4:5], v[6:7], v[20:21]
	s_delay_alu instid0(VALU_DEP_1) | instskip(NEXT) | instid1(VALU_DEP_1)
	v_div_fixup_f64 v[4:5], v[4:5], v[2:3], v[0:1]
	v_fma_f64 v[0:1], v[0:1], v[4:5], v[2:3]
	s_delay_alu instid0(VALU_DEP_1) | instskip(SKIP_1) | instid1(VALU_DEP_2)
	v_div_scale_f64 v[2:3], null, v[0:1], v[0:1], 1.0
	v_div_scale_f64 v[22:23], vcc_lo, 1.0, v[0:1], 1.0
	v_rcp_f64_e32 v[6:7], v[2:3]
	s_delay_alu instid0(TRANS32_DEP_1) | instskip(NEXT) | instid1(VALU_DEP_1)
	v_fma_f64 v[20:21], -v[2:3], v[6:7], 1.0
	v_fma_f64 v[6:7], v[6:7], v[20:21], v[6:7]
	s_delay_alu instid0(VALU_DEP_1) | instskip(NEXT) | instid1(VALU_DEP_1)
	v_fma_f64 v[20:21], -v[2:3], v[6:7], 1.0
	v_fma_f64 v[6:7], v[6:7], v[20:21], v[6:7]
	s_delay_alu instid0(VALU_DEP_1) | instskip(NEXT) | instid1(VALU_DEP_1)
	v_mul_f64_e32 v[20:21], v[22:23], v[6:7]
	v_fma_f64 v[2:3], -v[2:3], v[20:21], v[22:23]
	s_wait_alu 0xfffd
	s_delay_alu instid0(VALU_DEP_1) | instskip(SKIP_1) | instid1(VALU_DEP_2)
	v_div_fmas_f64 v[2:3], v[2:3], v[6:7], v[20:21]
	v_add_f64_e32 v[6:7], 0, v[4:5]
	v_div_fixup_f64 v[0:1], v[2:3], v[0:1], 1.0
	v_fma_f64 v[2:3], v[4:5], 0, -1.0
	s_delay_alu instid0(VALU_DEP_2) | instskip(NEXT) | instid1(VALU_DEP_2)
	v_mul_f64_e32 v[4:5], v[6:7], v[0:1]
	v_mul_f64_e32 v[6:7], v[2:3], v[0:1]
                                        ; implicit-def: $vgpr0_vgpr1
.LBB221_9:                              ;   in Loop: Header=BB221_3 Depth=1
	s_and_not1_saveexec_b32 s18, s18
	s_cbranch_execz .LBB221_11
; %bb.10:                               ;   in Loop: Header=BB221_3 Depth=1
	v_div_scale_f64 v[4:5], null, v[0:1], v[0:1], v[2:3]
	v_div_scale_f64 v[22:23], vcc_lo, v[2:3], v[0:1], v[2:3]
	s_delay_alu instid0(VALU_DEP_2) | instskip(NEXT) | instid1(TRANS32_DEP_1)
	v_rcp_f64_e32 v[6:7], v[4:5]
	v_fma_f64 v[20:21], -v[4:5], v[6:7], 1.0
	s_delay_alu instid0(VALU_DEP_1) | instskip(NEXT) | instid1(VALU_DEP_1)
	v_fma_f64 v[6:7], v[6:7], v[20:21], v[6:7]
	v_fma_f64 v[20:21], -v[4:5], v[6:7], 1.0
	s_delay_alu instid0(VALU_DEP_1) | instskip(NEXT) | instid1(VALU_DEP_1)
	v_fma_f64 v[6:7], v[6:7], v[20:21], v[6:7]
	v_mul_f64_e32 v[20:21], v[22:23], v[6:7]
	s_delay_alu instid0(VALU_DEP_1) | instskip(SKIP_1) | instid1(VALU_DEP_1)
	v_fma_f64 v[4:5], -v[4:5], v[20:21], v[22:23]
	s_wait_alu 0xfffd
	v_div_fmas_f64 v[4:5], v[4:5], v[6:7], v[20:21]
	s_delay_alu instid0(VALU_DEP_1) | instskip(NEXT) | instid1(VALU_DEP_1)
	v_div_fixup_f64 v[4:5], v[4:5], v[0:1], v[2:3]
	v_fma_f64 v[0:1], v[2:3], v[4:5], v[0:1]
	s_delay_alu instid0(VALU_DEP_1) | instskip(SKIP_1) | instid1(VALU_DEP_2)
	v_div_scale_f64 v[2:3], null, v[0:1], v[0:1], 1.0
	v_div_scale_f64 v[22:23], vcc_lo, 1.0, v[0:1], 1.0
	v_rcp_f64_e32 v[6:7], v[2:3]
	s_delay_alu instid0(TRANS32_DEP_1) | instskip(NEXT) | instid1(VALU_DEP_1)
	v_fma_f64 v[20:21], -v[2:3], v[6:7], 1.0
	v_fma_f64 v[6:7], v[6:7], v[20:21], v[6:7]
	s_delay_alu instid0(VALU_DEP_1) | instskip(NEXT) | instid1(VALU_DEP_1)
	v_fma_f64 v[20:21], -v[2:3], v[6:7], 1.0
	v_fma_f64 v[6:7], v[6:7], v[20:21], v[6:7]
	s_delay_alu instid0(VALU_DEP_1) | instskip(NEXT) | instid1(VALU_DEP_1)
	v_mul_f64_e32 v[20:21], v[22:23], v[6:7]
	v_fma_f64 v[2:3], -v[2:3], v[20:21], v[22:23]
	s_wait_alu 0xfffd
	s_delay_alu instid0(VALU_DEP_1) | instskip(SKIP_1) | instid1(VALU_DEP_2)
	v_div_fmas_f64 v[2:3], v[2:3], v[6:7], v[20:21]
	v_fma_f64 v[6:7], v[4:5], 0, 1.0
	v_div_fixup_f64 v[0:1], v[2:3], v[0:1], 1.0
	v_add_f64_e64 v[2:3], -v[4:5], 0
	s_delay_alu instid0(VALU_DEP_2) | instskip(NEXT) | instid1(VALU_DEP_2)
	v_mul_f64_e32 v[4:5], v[6:7], v[0:1]
	v_mul_f64_e32 v[6:7], v[2:3], v[0:1]
.LBB221_11:                             ;   in Loop: Header=BB221_3 Depth=1
	s_or_b32 exec_lo, exec_lo, s18
	s_branch .LBB221_13
.LBB221_12:                             ;   in Loop: Header=BB221_3 Depth=1
	v_mov_b32_e32 v6, 0
	v_dual_mov_b32 v7, 0 :: v_dual_mov_b32 v4, 0
	v_mov_b32_e32 v5, 0x3ff00000
.LBB221_13:                             ;   in Loop: Header=BB221_3 Depth=1
	ds_store_b128 v19, v[4:7]
.LBB221_14:                             ;   in Loop: Header=BB221_3 Depth=1
	s_wait_alu 0xfffe
	s_or_b32 exec_lo, exec_lo, s3
	s_and_saveexec_b32 s3, s29
	s_cbranch_execz .LBB221_17
; %bb.15:                               ;   in Loop: Header=BB221_3 Depth=1
	s_wait_loadcnt 0x0
	v_add_co_u32 v0, vcc_lo, v11, v18
	s_wait_alu 0xfffd
	v_add_co_ci_u32_e64 v1, null, v12, v17, vcc_lo
	v_mov_b32_e32 v2, v8
	s_mov_b32 s18, s25
.LBB221_16:                             ;   Parent Loop BB221_3 Depth=1
                                        ; =>  This Inner Loop Header: Depth=2
	flat_load_b128 v[3:6], v[0:1] offset:-8
	v_add_co_u32 v0, vcc_lo, v0, 16
	s_wait_alu 0xfffd
	v_add_co_ci_u32_e64 v1, null, 0, v1, vcc_lo
	s_add_co_i32 s18, s18, -1
	s_delay_alu instid0(SALU_CYCLE_1) | instskip(SKIP_3) | instid1(VALU_DEP_2)
	s_cmp_lg_u32 s18, 0
	s_wait_loadcnt_dscnt 0x0
	v_mul_f64_e32 v[20:21], s[6:7], v[5:6]
	v_mul_f64_e32 v[5:6], s[4:5], v[5:6]
	v_fma_f64 v[20:21], s[4:5], v[3:4], -v[20:21]
	s_delay_alu instid0(VALU_DEP_2)
	v_fma_f64 v[22:23], s[6:7], v[3:4], v[5:6]
	ds_store_b128 v2, v[20:23]
	v_add_nc_u32_e32 v2, 0x140, v2
	s_cbranch_scc1 .LBB221_16
.LBB221_17:                             ;   in Loop: Header=BB221_3 Depth=1
	s_wait_alu 0xfffe
	s_or_b32 exec_lo, exec_lo, s3
	s_delay_alu instid0(SALU_CYCLE_1)
	s_and_not1_b32 vcc_lo, exec_lo, s28
	s_mov_b32 s3, -1
	; wave barrier
	s_wait_loadcnt_dscnt 0x0
	global_inv scope:SCOPE_SE
	s_wait_alu 0xfffe
	s_cbranch_vccnz .LBB221_38
; %bb.18:                               ;   in Loop: Header=BB221_3 Depth=1
	s_mov_b32 s20, 0
	s_mov_b32 s3, s26
	s_branch .LBB221_20
.LBB221_19:                             ;   in Loop: Header=BB221_20 Depth=2
	s_cmp_gt_i32 s3, -1
	s_cselect_b32 s18, -1, 0
	s_add_co_i32 s19, s20, 1
	s_cmp_lt_u32 s20, 2
	s_cselect_b32 s20, -1, 0
	s_delay_alu instid0(SALU_CYCLE_1)
	s_and_b32 s18, s18, s20
	s_mov_b32 s20, s19
	s_and_b32 vcc_lo, exec_lo, s18
	s_wait_alu 0xfffe
	s_cbranch_vccz .LBB221_37
.LBB221_20:                             ;   Parent Loop BB221_3 Depth=1
                                        ; =>  This Loop Header: Depth=2
                                        ;       Child Loop BB221_23 Depth 3
                                        ;         Child Loop BB221_24 Depth 4
                                        ;         Child Loop BB221_26 Depth 4
                                        ;           Child Loop BB221_27 Depth 5
                                        ;         Child Loop BB221_31 Depth 4
                                        ;           Child Loop BB221_33 Depth 5
	s_getpc_b64 s[18:19]
	s_sext_i32_i16 s19, s19
	s_add_co_u32 s18, s18, __const._ZL38rocblas_trsm_small_left_device_sharedBILi20ELi20ELb1E19rocblas_complex_numIdES1_PKPKS1_PKPS1_Ev13rocblas_fill_18rocblas_operation_17rocblas_diagonal_iiT3_T4_lilT5_lili.step_sizes@rel32@lo+8
	s_add_co_ci_u32 s19, s19, __const._ZL38rocblas_trsm_small_left_device_sharedBILi20ELi20ELb1E19rocblas_complex_numIdES1_PKPKS1_PKPS1_Ev13rocblas_fill_18rocblas_operation_17rocblas_diagonal_iiT3_T4_lilT5_lili.step_sizes@rel32@hi+16
	s_lshl_b64 s[34:35], s[20:21], 2
	s_delay_alu instid0(SALU_CYCLE_1) | instskip(SKIP_3) | instid1(SALU_CYCLE_1)
	s_add_nc_u64 s[18:19], s[18:19], s[34:35]
	s_load_b32 s18, s[18:19], 0x0
	s_wait_kmcnt 0x0
	s_add_co_i32 s19, s18, -1
	s_cmp_lt_i32 s3, s19
	s_cbranch_scc1 .LBB221_19
; %bb.21:                               ;   in Loop: Header=BB221_20 Depth=2
	s_mul_i32 s33, s3, 0x140
	s_max_i32 s23, s18, 1
	s_wait_alu 0xfffe
	v_add_nc_u32_e32 v4, s33, v8
	s_mul_i32 s31, s18, 0xfffffec0
	s_add_co_i32 s33, s22, s33
	s_mul_i32 s34, s3, 0x150
	s_mul_i32 s35, s18, 0xfffffeb0
	s_branch .LBB221_23
.LBB221_22:                             ;   in Loop: Header=BB221_23 Depth=3
	v_add_nc_u32_e32 v4, s31, v4
	s_sub_co_i32 s3, s3, s18
	s_add_co_i32 s33, s33, s31
	s_add_co_i32 s34, s34, s35
	s_wait_alu 0xfffe
	s_cmp_lt_i32 s3, s19
	s_cbranch_scc1 .LBB221_19
.LBB221_23:                             ;   Parent Loop BB221_3 Depth=1
                                        ;     Parent Loop BB221_20 Depth=2
                                        ; =>    This Loop Header: Depth=3
                                        ;         Child Loop BB221_24 Depth 4
                                        ;         Child Loop BB221_26 Depth 4
                                        ;           Child Loop BB221_27 Depth 5
                                        ;         Child Loop BB221_31 Depth 4
                                        ;           Child Loop BB221_33 Depth 5
	v_mov_b32_e32 v0, v4
	s_mov_b32 s36, 0
	s_mov_b32 s37, s23
.LBB221_24:                             ;   Parent Loop BB221_3 Depth=1
                                        ;     Parent Loop BB221_20 Depth=2
                                        ;       Parent Loop BB221_23 Depth=3
                                        ; =>      This Inner Loop Header: Depth=4
	ds_load_b128 v[20:23], v0
	v_add_nc_u32_e32 v0, 0xfffffec0, v0
	s_wait_alu 0xfffe
	s_add_co_i32 s37, s37, -1
	s_wait_dscnt 0x0
	scratch_store_b128 off, v[20:23], s36
	s_add_co_i32 s36, s36, 16
	s_wait_alu 0xfffe
	s_cmp_eq_u32 s37, 0
	s_cbranch_scc0 .LBB221_24
; %bb.25:                               ;   in Loop: Header=BB221_23 Depth=3
	s_cmp_le_i32 s26, s3
	s_mov_b32 s36, s33
	s_mov_b32 s37, s26
	s_cbranch_scc1 .LBB221_29
.LBB221_26:                             ;   Parent Loop BB221_3 Depth=1
                                        ;     Parent Loop BB221_20 Depth=2
                                        ;       Parent Loop BB221_23 Depth=3
                                        ; =>      This Loop Header: Depth=4
                                        ;           Child Loop BB221_27 Depth 5
	s_wait_alu 0xfffe
	v_mad_co_u64_u32 v[0:1], null, 0x140, s37, v[8:9]
	s_mov_b32 s38, s30
	s_mov_b32 s39, s36
	;; [unrolled: 1-line block ×3, first 2 shown]
	ds_load_b128 v[0:3], v0
.LBB221_27:                             ;   Parent Loop BB221_3 Depth=1
                                        ;     Parent Loop BB221_20 Depth=2
                                        ;       Parent Loop BB221_23 Depth=3
                                        ;         Parent Loop BB221_26 Depth=4
                                        ; =>        This Inner Loop Header: Depth=5
	scratch_load_b128 v[20:23], off, s38 offset:-8
	s_wait_alu 0xfffe
	v_mov_b32_e32 v5, s39
	s_add_co_i32 s40, s40, -1
	s_addk_co_i32 s39, 0xfec0
	ds_load_b128 v[24:27], v5
	s_wait_dscnt 0x0
	v_mul_f64_e32 v[5:6], v[2:3], v[26:27]
	v_mul_f64_e32 v[26:27], v[0:1], v[26:27]
	s_delay_alu instid0(VALU_DEP_2) | instskip(NEXT) | instid1(VALU_DEP_2)
	v_fma_f64 v[5:6], v[0:1], v[24:25], -v[5:6]
	v_fma_f64 v[24:25], v[2:3], v[24:25], v[26:27]
	s_wait_loadcnt 0x0
	s_delay_alu instid0(VALU_DEP_2) | instskip(NEXT) | instid1(VALU_DEP_2)
	v_add_f64_e64 v[20:21], v[20:21], -v[5:6]
	v_add_f64_e64 v[22:23], v[22:23], -v[24:25]
	scratch_store_b128 off, v[20:23], s38 offset:-8
	s_add_co_i32 s38, s38, 16
	s_wait_alu 0xfffe
	s_cmp_eq_u32 s40, 0
	s_cbranch_scc0 .LBB221_27
; %bb.28:                               ;   in Loop: Header=BB221_26 Depth=4
	s_add_co_i32 s37, s37, -1
	s_add_co_i32 s36, s36, -16
	s_wait_alu 0xfffe
	s_cmp_le_i32 s37, s3
	s_cbranch_scc0 .LBB221_26
.LBB221_29:                             ;   in Loop: Header=BB221_23 Depth=3
	s_mul_i32 s36, s3, 0x140
	s_mov_b32 s37, 0
	s_mov_b32 s38, s34
	s_branch .LBB221_31
.LBB221_30:                             ;   in Loop: Header=BB221_31 Depth=4
	s_wait_alu 0xfffe
	s_mulk_i32 s40, 0x150
	s_addk_co_i32 s38, 0xfec0
	s_wait_alu 0xfffe
	v_mov_b32_e32 v5, s40
	s_lshl_b32 s40, s37, 4
	s_add_co_i32 s37, s37, 1
	s_wait_alu 0xfffe
	s_cmp_eq_u32 s37, s23
	ds_load_b128 v[20:23], v5
	s_wait_loadcnt_dscnt 0x0
	v_mul_f64_e32 v[5:6], v[22:23], v[2:3]
	v_mul_f64_e32 v[2:3], v[20:21], v[2:3]
	s_delay_alu instid0(VALU_DEP_2) | instskip(NEXT) | instid1(VALU_DEP_2)
	v_fma_f64 v[20:21], v[20:21], v[0:1], -v[5:6]
	v_fma_f64 v[22:23], v[22:23], v[0:1], v[2:3]
	v_add_nc_u32_e32 v0, s39, v8
	scratch_store_b128 off, v[20:23], s40
	ds_store_b128 v0, v[20:23]
	s_cbranch_scc1 .LBB221_22
.LBB221_31:                             ;   Parent Loop BB221_3 Depth=1
                                        ;     Parent Loop BB221_20 Depth=2
                                        ;       Parent Loop BB221_23 Depth=3
                                        ; =>      This Loop Header: Depth=4
                                        ;           Child Loop BB221_33 Depth 5
	s_wait_alu 0xfffe
	s_cmp_lg_u32 s37, 0
	s_cbranch_scc0 .LBB221_35
; %bb.32:                               ;   in Loop: Header=BB221_31 Depth=4
	s_lshl_b32 s41, s37, 4
	s_sub_co_i32 s40, s3, s37
	scratch_load_b128 v[0:3], off, s41
	s_wait_alu 0xfffe
	s_mul_i32 s39, s40, 0x140
	s_mov_b32 s42, s30
	s_mov_b32 s43, s38
	;; [unrolled: 1-line block ×3, first 2 shown]
.LBB221_33:                             ;   Parent Loop BB221_3 Depth=1
                                        ;     Parent Loop BB221_20 Depth=2
                                        ;       Parent Loop BB221_23 Depth=3
                                        ;         Parent Loop BB221_31 Depth=4
                                        ; =>        This Inner Loop Header: Depth=5
	scratch_load_b128 v[20:23], off, s42 offset:-8
	s_wait_alu 0xfffe
	v_mov_b32_e32 v5, s43
	s_add_co_i32 s44, s44, -1
	s_add_co_i32 s43, s43, -16
	s_add_co_i32 s42, s42, 16
	s_cmp_eq_u32 s44, 0
	ds_load_b128 v[24:27], v5
	s_wait_loadcnt_dscnt 0x0
	v_mul_f64_e32 v[5:6], v[26:27], v[22:23]
	v_mul_f64_e32 v[22:23], v[24:25], v[22:23]
	s_delay_alu instid0(VALU_DEP_2) | instskip(NEXT) | instid1(VALU_DEP_2)
	v_fma_f64 v[5:6], v[24:25], v[20:21], -v[5:6]
	v_fma_f64 v[20:21], v[26:27], v[20:21], v[22:23]
	s_delay_alu instid0(VALU_DEP_2) | instskip(NEXT) | instid1(VALU_DEP_2)
	v_add_f64_e64 v[0:1], v[0:1], -v[5:6]
	v_add_f64_e64 v[2:3], v[2:3], -v[20:21]
	scratch_store_b128 off, v[0:3], s41
	s_cbranch_scc0 .LBB221_33
; %bb.34:                               ;   in Loop: Header=BB221_31 Depth=4
	s_branch .LBB221_30
.LBB221_35:                             ;   in Loop: Header=BB221_31 Depth=4
                                        ; implicit-def: $vgpr0_vgpr1
                                        ; implicit-def: $sgpr40
                                        ; implicit-def: $sgpr39
	s_cbranch_execz .LBB221_30
; %bb.36:                               ;   in Loop: Header=BB221_31 Depth=4
	scratch_load_b128 v[0:3], off, off
	s_mov_b32 s39, s36
	s_mov_b32 s40, s3
	s_branch .LBB221_30
.LBB221_37:                             ;   in Loop: Header=BB221_3 Depth=1
	s_mov_b32 s3, 0
.LBB221_38:                             ;   in Loop: Header=BB221_3 Depth=1
	s_wait_alu 0xfffe
	s_and_b32 vcc_lo, exec_lo, s3
	s_wait_alu 0xfffe
	s_cbranch_vccz .LBB221_59
; %bb.39:                               ;   in Loop: Header=BB221_3 Depth=1
	s_mov_b32 s20, 0
	s_delay_alu instid0(SALU_CYCLE_1)
	s_mov_b32 s3, s20
	s_branch .LBB221_41
.LBB221_40:                             ;   in Loop: Header=BB221_41 Depth=2
	s_cmp_lt_i32 s3, s25
	s_cselect_b32 s18, -1, 0
	s_add_co_i32 s19, s20, 1
	s_cmp_lt_u32 s20, 2
	s_cselect_b32 s20, -1, 0
	s_delay_alu instid0(SALU_CYCLE_1)
	s_and_b32 s18, s18, s20
	s_mov_b32 s20, s19
	s_and_not1_b32 vcc_lo, exec_lo, s18
	s_wait_alu 0xfffe
	s_cbranch_vccnz .LBB221_59
.LBB221_41:                             ;   Parent Loop BB221_3 Depth=1
                                        ; =>  This Loop Header: Depth=2
                                        ;       Child Loop BB221_44 Depth 3
                                        ;         Child Loop BB221_45 Depth 4
                                        ;         Child Loop BB221_48 Depth 4
                                        ;           Child Loop BB221_49 Depth 5
                                        ;         Child Loop BB221_53 Depth 4
                                        ;           Child Loop BB221_55 Depth 5
	s_getpc_b64 s[18:19]
	s_sext_i32_i16 s19, s19
	s_add_co_u32 s18, s18, __const._ZL38rocblas_trsm_small_left_device_sharedBILi20ELi20ELb1E19rocblas_complex_numIdES1_PKPKS1_PKPS1_Ev13rocblas_fill_18rocblas_operation_17rocblas_diagonal_iiT3_T4_lilT5_lili.step_sizes@rel32@lo+8
	s_add_co_ci_u32 s19, s19, __const._ZL38rocblas_trsm_small_left_device_sharedBILi20ELi20ELb1E19rocblas_complex_numIdES1_PKPKS1_PKPS1_Ev13rocblas_fill_18rocblas_operation_17rocblas_diagonal_iiT3_T4_lilT5_lili.step_sizes@rel32@hi+16
	s_lshl_b64 s[34:35], s[20:21], 2
	s_delay_alu instid0(SALU_CYCLE_1) | instskip(SKIP_3) | instid1(SALU_CYCLE_1)
	s_add_nc_u64 s[18:19], s[18:19], s[34:35]
	s_load_b32 s18, s[18:19], 0x0
	s_wait_kmcnt 0x0
	s_add_co_i32 s19, s18, -1
	s_add_co_i32 s23, s19, s3
	s_delay_alu instid0(SALU_CYCLE_1)
	s_cmp_ge_i32 s23, s25
	s_cbranch_scc1 .LBB221_40
; %bb.42:                               ;   in Loop: Header=BB221_41 Depth=2
	v_mad_co_u64_u32 v[4:5], null, 0x140, s3, v[8:9]
	s_max_i32 s23, s18, 1
	s_mul_i32 s31, s18, 0x140
	s_lshl_b32 s33, s3, 4
	s_lshl_b32 s34, s18, 4
	s_mul_i32 s35, s3, 0x150
	s_mul_i32 s36, s18, 0x150
	s_branch .LBB221_44
.LBB221_43:                             ;   in Loop: Header=BB221_44 Depth=3
	s_add_co_i32 s3, s3, s18
	v_add_nc_u32_e32 v4, s31, v4
	s_wait_alu 0xfffe
	s_add_co_i32 s37, s19, s3
	s_add_co_i32 s33, s33, s34
	;; [unrolled: 1-line block ×3, first 2 shown]
	s_wait_alu 0xfffe
	s_cmp_ge_i32 s37, s25
	s_cbranch_scc1 .LBB221_40
.LBB221_44:                             ;   Parent Loop BB221_3 Depth=1
                                        ;     Parent Loop BB221_41 Depth=2
                                        ; =>    This Loop Header: Depth=3
                                        ;         Child Loop BB221_45 Depth 4
                                        ;         Child Loop BB221_48 Depth 4
                                        ;           Child Loop BB221_49 Depth 5
                                        ;         Child Loop BB221_53 Depth 4
                                        ;           Child Loop BB221_55 Depth 5
	v_mov_b32_e32 v0, v4
	s_mov_b32 s37, 0
	s_mov_b32 s38, s23
.LBB221_45:                             ;   Parent Loop BB221_3 Depth=1
                                        ;     Parent Loop BB221_41 Depth=2
                                        ;       Parent Loop BB221_44 Depth=3
                                        ; =>      This Inner Loop Header: Depth=4
	ds_load_b128 v[20:23], v0
	v_add_nc_u32_e32 v0, 0x140, v0
	s_wait_alu 0xfffe
	s_add_co_i32 s38, s38, -1
	s_wait_dscnt 0x0
	scratch_store_b128 off, v[20:23], s37
	s_add_co_i32 s37, s37, 16
	s_wait_alu 0xfffe
	s_cmp_eq_u32 s38, 0
	s_cbranch_scc0 .LBB221_45
; %bb.46:                               ;   in Loop: Header=BB221_44 Depth=3
	s_cmp_lt_i32 s3, 1
	s_cbranch_scc1 .LBB221_51
; %bb.47:                               ;   in Loop: Header=BB221_44 Depth=3
	s_mov_b32 s37, 0
	s_mov_b32 s38, s33
.LBB221_48:                             ;   Parent Loop BB221_3 Depth=1
                                        ;     Parent Loop BB221_41 Depth=2
                                        ;       Parent Loop BB221_44 Depth=3
                                        ; =>      This Loop Header: Depth=4
                                        ;           Child Loop BB221_49 Depth 5
	s_wait_alu 0xfffe
	v_mad_co_u64_u32 v[0:1], null, 0x140, s37, v[8:9]
	s_mov_b32 s39, s30
	s_mov_b32 s40, s38
	;; [unrolled: 1-line block ×3, first 2 shown]
	ds_load_b128 v[0:3], v0
.LBB221_49:                             ;   Parent Loop BB221_3 Depth=1
                                        ;     Parent Loop BB221_41 Depth=2
                                        ;       Parent Loop BB221_44 Depth=3
                                        ;         Parent Loop BB221_48 Depth=4
                                        ; =>        This Inner Loop Header: Depth=5
	scratch_load_b128 v[20:23], off, s39 offset:-8
	s_wait_alu 0xfffe
	v_mov_b32_e32 v5, s40
	s_add_co_i32 s41, s41, -1
	s_add_co_i32 s40, s40, 16
	ds_load_b128 v[24:27], v5
	s_wait_dscnt 0x0
	v_mul_f64_e32 v[5:6], v[2:3], v[26:27]
	v_mul_f64_e32 v[26:27], v[0:1], v[26:27]
	s_delay_alu instid0(VALU_DEP_2) | instskip(NEXT) | instid1(VALU_DEP_2)
	v_fma_f64 v[5:6], v[0:1], v[24:25], -v[5:6]
	v_fma_f64 v[24:25], v[2:3], v[24:25], v[26:27]
	s_wait_loadcnt 0x0
	s_delay_alu instid0(VALU_DEP_2) | instskip(NEXT) | instid1(VALU_DEP_2)
	v_add_f64_e64 v[20:21], v[20:21], -v[5:6]
	v_add_f64_e64 v[22:23], v[22:23], -v[24:25]
	scratch_store_b128 off, v[20:23], s39 offset:-8
	s_add_co_i32 s39, s39, 16
	s_wait_alu 0xfffe
	s_cmp_eq_u32 s41, 0
	s_cbranch_scc0 .LBB221_49
; %bb.50:                               ;   in Loop: Header=BB221_48 Depth=4
	s_add_co_i32 s37, s37, 1
	s_addk_co_i32 s38, 0x140
	s_wait_alu 0xfffe
	s_cmp_eq_u32 s37, s3
	s_cbranch_scc0 .LBB221_48
.LBB221_51:                             ;   in Loop: Header=BB221_44 Depth=3
	s_mov_b32 s37, 0
	s_mov_b32 s38, s35
	s_branch .LBB221_53
.LBB221_52:                             ;   in Loop: Header=BB221_53 Depth=4
	s_add_co_i32 s39, s37, s3
	s_add_co_i32 s38, s38, 16
	s_wait_alu 0xfffe
	s_mul_i32 s40, s39, 0x150
	s_wait_alu 0xfffe
	v_mov_b32_e32 v5, s40
	ds_load_b128 v[20:23], v5
	s_wait_loadcnt_dscnt 0x0
	v_mul_f64_e32 v[5:6], v[22:23], v[2:3]
	v_mul_f64_e32 v[2:3], v[20:21], v[2:3]
	s_delay_alu instid0(VALU_DEP_2) | instskip(NEXT) | instid1(VALU_DEP_2)
	v_fma_f64 v[20:21], v[20:21], v[0:1], -v[5:6]
	v_fma_f64 v[22:23], v[22:23], v[0:1], v[2:3]
	v_mad_co_u64_u32 v[0:1], null, 0x140, s39, v[8:9]
	s_lshl_b32 s39, s37, 4
	s_add_co_i32 s37, s37, 1
	s_wait_alu 0xfffe
	s_cmp_eq_u32 s37, s23
	scratch_store_b128 off, v[20:23], s39
	ds_store_b128 v0, v[20:23]
	s_cbranch_scc1 .LBB221_43
.LBB221_53:                             ;   Parent Loop BB221_3 Depth=1
                                        ;     Parent Loop BB221_41 Depth=2
                                        ;       Parent Loop BB221_44 Depth=3
                                        ; =>      This Loop Header: Depth=4
                                        ;           Child Loop BB221_55 Depth 5
	s_wait_alu 0xfffe
	s_cmp_lg_u32 s37, 0
	s_cbranch_scc0 .LBB221_57
; %bb.54:                               ;   in Loop: Header=BB221_53 Depth=4
	s_lshl_b32 s39, s37, 4
	s_mov_b32 s40, s30
	scratch_load_b128 v[0:3], off, s39
	s_mov_b32 s41, s38
	s_mov_b32 s42, s37
.LBB221_55:                             ;   Parent Loop BB221_3 Depth=1
                                        ;     Parent Loop BB221_41 Depth=2
                                        ;       Parent Loop BB221_44 Depth=3
                                        ;         Parent Loop BB221_53 Depth=4
                                        ; =>        This Inner Loop Header: Depth=5
	scratch_load_b128 v[20:23], off, s40 offset:-8
	s_wait_alu 0xfffe
	v_mov_b32_e32 v5, s41
	s_add_co_i32 s42, s42, -1
	s_addk_co_i32 s41, 0x140
	s_add_co_i32 s40, s40, 16
	s_wait_alu 0xfffe
	s_cmp_eq_u32 s42, 0
	ds_load_b128 v[24:27], v5
	s_wait_loadcnt_dscnt 0x0
	v_mul_f64_e32 v[5:6], v[26:27], v[22:23]
	v_mul_f64_e32 v[22:23], v[24:25], v[22:23]
	s_delay_alu instid0(VALU_DEP_2) | instskip(NEXT) | instid1(VALU_DEP_2)
	v_fma_f64 v[5:6], v[24:25], v[20:21], -v[5:6]
	v_fma_f64 v[20:21], v[26:27], v[20:21], v[22:23]
	s_delay_alu instid0(VALU_DEP_2) | instskip(NEXT) | instid1(VALU_DEP_2)
	v_add_f64_e64 v[0:1], v[0:1], -v[5:6]
	v_add_f64_e64 v[2:3], v[2:3], -v[20:21]
	scratch_store_b128 off, v[0:3], s39
	s_cbranch_scc0 .LBB221_55
; %bb.56:                               ;   in Loop: Header=BB221_53 Depth=4
	s_branch .LBB221_52
.LBB221_57:                             ;   in Loop: Header=BB221_53 Depth=4
                                        ; implicit-def: $vgpr0_vgpr1
	s_cbranch_execz .LBB221_52
; %bb.58:                               ;   in Loop: Header=BB221_53 Depth=4
	scratch_load_b128 v[0:3], off, off
	s_branch .LBB221_52
.LBB221_59:                             ;   in Loop: Header=BB221_3 Depth=1
	s_wait_storecnt 0x0
	; wave barrier
	s_wait_loadcnt_dscnt 0x0
	global_inv scope:SCOPE_SE
	s_and_saveexec_b32 s3, s29
	s_cbranch_execz .LBB221_2
; %bb.60:                               ;   in Loop: Header=BB221_3 Depth=1
	v_add_co_u32 v0, vcc_lo, v11, s10
	s_wait_alu 0xfffd
	v_add_co_ci_u32_e64 v1, null, s11, v12, vcc_lo
	v_mov_b32_e32 v2, v8
	s_delay_alu instid0(VALU_DEP_3) | instskip(SKIP_1) | instid1(VALU_DEP_3)
	v_add_co_u32 v0, vcc_lo, v0, s16
	s_wait_alu 0xfffd
	v_add_co_ci_u32_e64 v1, null, s17, v1, vcc_lo
	s_mov_b32 s18, s25
	v_add_co_u32 v0, vcc_lo, v0, v9
	s_wait_alu 0xfffd
	v_add_co_ci_u32_e64 v1, null, v1, v10, vcc_lo
.LBB221_61:                             ;   Parent Loop BB221_3 Depth=1
                                        ; =>  This Inner Loop Header: Depth=2
	ds_load_2addr_b64 v[3:6], v2 offset1:1
	v_add_nc_u32_e32 v2, 0x140, v2
	s_add_co_i32 s18, s18, -1
	s_delay_alu instid0(SALU_CYCLE_1)
	s_cmp_lg_u32 s18, 0
	s_wait_dscnt 0x0
	flat_store_b128 v[0:1], v[3:6]
	v_add_co_u32 v0, vcc_lo, v0, 16
	s_wait_alu 0xfffd
	v_add_co_ci_u32_e64 v1, null, 0, v1, vcc_lo
	s_cbranch_scc1 .LBB221_61
	s_branch .LBB221_2
.LBB221_62:
	s_endpgm
	.section	.rodata,"a",@progbits
	.p2align	6, 0x0
	.amdhsa_kernel _ZL38rocblas_trsm_small_left_device_sharedBILi20ELi20ELb1E19rocblas_complex_numIdES1_PKPKS1_PKPS1_Ev13rocblas_fill_18rocblas_operation_17rocblas_diagonal_iiT3_T4_lilT5_lili
		.amdhsa_group_segment_fixed_size 12800
		.amdhsa_private_segment_fixed_size 336
		.amdhsa_kernarg_size 368
		.amdhsa_user_sgpr_count 2
		.amdhsa_user_sgpr_dispatch_ptr 0
		.amdhsa_user_sgpr_queue_ptr 0
		.amdhsa_user_sgpr_kernarg_segment_ptr 1
		.amdhsa_user_sgpr_dispatch_id 0
		.amdhsa_user_sgpr_private_segment_size 0
		.amdhsa_wavefront_size32 1
		.amdhsa_uses_dynamic_stack 0
		.amdhsa_enable_private_segment 1
		.amdhsa_system_sgpr_workgroup_id_x 1
		.amdhsa_system_sgpr_workgroup_id_y 0
		.amdhsa_system_sgpr_workgroup_id_z 1
		.amdhsa_system_sgpr_workgroup_info 0
		.amdhsa_system_vgpr_workitem_id 0
		.amdhsa_next_free_vgpr 241
		.amdhsa_next_free_sgpr 45
		.amdhsa_reserve_vcc 1
		.amdhsa_float_round_mode_32 0
		.amdhsa_float_round_mode_16_64 0
		.amdhsa_float_denorm_mode_32 3
		.amdhsa_float_denorm_mode_16_64 3
		.amdhsa_fp16_overflow 0
		.amdhsa_workgroup_processor_mode 1
		.amdhsa_memory_ordered 1
		.amdhsa_forward_progress 1
		.amdhsa_inst_pref_size 25
		.amdhsa_round_robin_scheduling 0
		.amdhsa_exception_fp_ieee_invalid_op 0
		.amdhsa_exception_fp_denorm_src 0
		.amdhsa_exception_fp_ieee_div_zero 0
		.amdhsa_exception_fp_ieee_overflow 0
		.amdhsa_exception_fp_ieee_underflow 0
		.amdhsa_exception_fp_ieee_inexact 0
		.amdhsa_exception_int_div_zero 0
	.end_amdhsa_kernel
	.section	.text._ZL38rocblas_trsm_small_left_device_sharedBILi20ELi20ELb1E19rocblas_complex_numIdES1_PKPKS1_PKPS1_Ev13rocblas_fill_18rocblas_operation_17rocblas_diagonal_iiT3_T4_lilT5_lili,"axG",@progbits,_ZL38rocblas_trsm_small_left_device_sharedBILi20ELi20ELb1E19rocblas_complex_numIdES1_PKPKS1_PKPS1_Ev13rocblas_fill_18rocblas_operation_17rocblas_diagonal_iiT3_T4_lilT5_lili,comdat
.Lfunc_end221:
	.size	_ZL38rocblas_trsm_small_left_device_sharedBILi20ELi20ELb1E19rocblas_complex_numIdES1_PKPKS1_PKPS1_Ev13rocblas_fill_18rocblas_operation_17rocblas_diagonal_iiT3_T4_lilT5_lili, .Lfunc_end221-_ZL38rocblas_trsm_small_left_device_sharedBILi20ELi20ELb1E19rocblas_complex_numIdES1_PKPKS1_PKPS1_Ev13rocblas_fill_18rocblas_operation_17rocblas_diagonal_iiT3_T4_lilT5_lili
                                        ; -- End function
	.set _ZL38rocblas_trsm_small_left_device_sharedBILi20ELi20ELb1E19rocblas_complex_numIdES1_PKPKS1_PKPS1_Ev13rocblas_fill_18rocblas_operation_17rocblas_diagonal_iiT3_T4_lilT5_lili.num_vgpr, 28
	.set _ZL38rocblas_trsm_small_left_device_sharedBILi20ELi20ELb1E19rocblas_complex_numIdES1_PKPKS1_PKPS1_Ev13rocblas_fill_18rocblas_operation_17rocblas_diagonal_iiT3_T4_lilT5_lili.num_agpr, 0
	.set _ZL38rocblas_trsm_small_left_device_sharedBILi20ELi20ELb1E19rocblas_complex_numIdES1_PKPKS1_PKPS1_Ev13rocblas_fill_18rocblas_operation_17rocblas_diagonal_iiT3_T4_lilT5_lili.numbered_sgpr, 45
	.set _ZL38rocblas_trsm_small_left_device_sharedBILi20ELi20ELb1E19rocblas_complex_numIdES1_PKPKS1_PKPS1_Ev13rocblas_fill_18rocblas_operation_17rocblas_diagonal_iiT3_T4_lilT5_lili.num_named_barrier, 0
	.set _ZL38rocblas_trsm_small_left_device_sharedBILi20ELi20ELb1E19rocblas_complex_numIdES1_PKPKS1_PKPS1_Ev13rocblas_fill_18rocblas_operation_17rocblas_diagonal_iiT3_T4_lilT5_lili.private_seg_size, 336
	.set _ZL38rocblas_trsm_small_left_device_sharedBILi20ELi20ELb1E19rocblas_complex_numIdES1_PKPKS1_PKPS1_Ev13rocblas_fill_18rocblas_operation_17rocblas_diagonal_iiT3_T4_lilT5_lili.uses_vcc, 1
	.set _ZL38rocblas_trsm_small_left_device_sharedBILi20ELi20ELb1E19rocblas_complex_numIdES1_PKPKS1_PKPS1_Ev13rocblas_fill_18rocblas_operation_17rocblas_diagonal_iiT3_T4_lilT5_lili.uses_flat_scratch, 0
	.set _ZL38rocblas_trsm_small_left_device_sharedBILi20ELi20ELb1E19rocblas_complex_numIdES1_PKPKS1_PKPS1_Ev13rocblas_fill_18rocblas_operation_17rocblas_diagonal_iiT3_T4_lilT5_lili.has_dyn_sized_stack, 0
	.set _ZL38rocblas_trsm_small_left_device_sharedBILi20ELi20ELb1E19rocblas_complex_numIdES1_PKPKS1_PKPS1_Ev13rocblas_fill_18rocblas_operation_17rocblas_diagonal_iiT3_T4_lilT5_lili.has_recursion, 0
	.set _ZL38rocblas_trsm_small_left_device_sharedBILi20ELi20ELb1E19rocblas_complex_numIdES1_PKPKS1_PKPS1_Ev13rocblas_fill_18rocblas_operation_17rocblas_diagonal_iiT3_T4_lilT5_lili.has_indirect_call, 0
	.section	.AMDGPU.csdata,"",@progbits
; Kernel info:
; codeLenInByte = 3092
; TotalNumSgprs: 47
; NumVgprs: 28
; ScratchSize: 336
; MemoryBound: 0
; FloatMode: 240
; IeeeMode: 1
; LDSByteSize: 12800 bytes/workgroup (compile time only)
; SGPRBlocks: 0
; VGPRBlocks: 30
; NumSGPRsForWavesPerEU: 47
; NumVGPRsForWavesPerEU: 241
; Occupancy: 3
; WaveLimiterHint : 0
; COMPUTE_PGM_RSRC2:SCRATCH_EN: 1
; COMPUTE_PGM_RSRC2:USER_SGPR: 2
; COMPUTE_PGM_RSRC2:TRAP_HANDLER: 0
; COMPUTE_PGM_RSRC2:TGID_X_EN: 1
; COMPUTE_PGM_RSRC2:TGID_Y_EN: 0
; COMPUTE_PGM_RSRC2:TGID_Z_EN: 1
; COMPUTE_PGM_RSRC2:TIDIG_COMP_CNT: 0
	.section	.text._ZL30rocblas_trsm_small_left_deviceILi20ELi20ELb1E19rocblas_complex_numIdES1_PKPKS1_PKPS1_Ev13rocblas_fill_18rocblas_operation_17rocblas_diagonal_iiT3_T4_lilT5_lili,"axG",@progbits,_ZL30rocblas_trsm_small_left_deviceILi20ELi20ELb1E19rocblas_complex_numIdES1_PKPKS1_PKPS1_Ev13rocblas_fill_18rocblas_operation_17rocblas_diagonal_iiT3_T4_lilT5_lili,comdat
	.globl	_ZL30rocblas_trsm_small_left_deviceILi20ELi20ELb1E19rocblas_complex_numIdES1_PKPKS1_PKPS1_Ev13rocblas_fill_18rocblas_operation_17rocblas_diagonal_iiT3_T4_lilT5_lili ; -- Begin function _ZL30rocblas_trsm_small_left_deviceILi20ELi20ELb1E19rocblas_complex_numIdES1_PKPKS1_PKPS1_Ev13rocblas_fill_18rocblas_operation_17rocblas_diagonal_iiT3_T4_lilT5_lili
	.p2align	8
	.type	_ZL30rocblas_trsm_small_left_deviceILi20ELi20ELb1E19rocblas_complex_numIdES1_PKPKS1_PKPS1_Ev13rocblas_fill_18rocblas_operation_17rocblas_diagonal_iiT3_T4_lilT5_lili,@function
_ZL30rocblas_trsm_small_left_deviceILi20ELi20ELb1E19rocblas_complex_numIdES1_PKPKS1_PKPS1_Ev13rocblas_fill_18rocblas_operation_17rocblas_diagonal_iiT3_T4_lilT5_lili: ; @_ZL30rocblas_trsm_small_left_deviceILi20ELi20ELb1E19rocblas_complex_numIdES1_PKPKS1_PKPS1_Ev13rocblas_fill_18rocblas_operation_17rocblas_diagonal_iiT3_T4_lilT5_lili
; %bb.0:
	s_load_b32 s3, s[0:1], 0x68
	s_lshr_b32 s20, ttmp7, 16
	s_wait_kmcnt 0x0
	s_cmp_ge_u32 s20, s3
	s_cbranch_scc1 .LBB222_59
; %bb.1:
	s_clause 0x5
	s_load_b32 s22, s[0:1], 0x38
	s_load_b128 s[16:19], s[0:1], 0x4
	s_load_b32 s2, s[0:1], 0x58
	s_load_b32 s21, s[0:1], 0x70
	s_load_b128 s[12:15], s[0:1], 0x48
	s_load_b256 s[4:11], s[0:1], 0x18
	v_mad_co_u64_u32 v[1:2], null, ttmp9, 20, v[0:1]
	s_mul_i32 s1, ttmp9, 0xffffffec
	v_dual_mov_b32 v13, 0 :: v_dual_lshlrev_b32 v12, 4, v0
	v_mul_u32_u24_e32 v3, 0x140, v0
	s_mov_b32 s35, 0
                                        ; implicit-def: $sgpr36
                                        ; implicit-def: $sgpr37
	s_delay_alu instid0(VALU_DEP_1)
	v_add_nc_u32_e32 v18, v12, v3
	s_wait_kmcnt 0x0
	s_ashr_i32 s23, s22, 31
	s_cmp_eq_u32 s16, 0x71
	v_mad_co_i64_i32 v[1:2], null, s2, v1, 0
	s_cselect_b32 s0, -1, 0
	s_min_i32 s28, s18, 20
	s_add_co_i32 s21, s21, -1
	s_wait_alu 0xfffe
	s_add_co_i32 s2, s19, s1
	s_add_co_i32 s29, s28, -1
	s_cmp_ge_u32 ttmp9, s21
	v_lshlrev_b64_e32 v[8:9], 4, v[1:2]
	s_wait_alu 0xfffe
	s_cselect_b32 s2, s2, 20
	s_cmp_lg_u32 s17, 0x84
	v_cmp_gt_i32_e64 s1, s28, v0
	s_cselect_b32 s30, -1, 0
	s_cmp_lg_u32 s16, 0x6f
	s_wait_alu 0xfffe
	v_cmp_gt_i32_e64 s2, s2, v0
	s_cselect_b32 s31, -1, 0
	s_lshl_b64 s[16:17], s[10:11], 4
	s_lshl_b64 s[10:11], s[14:15], 4
	v_add_co_u32 v0, s14, s16, v12
	v_add_co_u32 v1, vcc_lo, v8, s10
	v_add_co_ci_u32_e64 v14, null, s17, 0, s14
	s_delay_alu instid0(VALU_DEP_3) | instskip(SKIP_1) | instid1(VALU_DEP_4)
	v_or_b32_e32 v15, 8, v0
	v_add_co_ci_u32_e64 v16, null, s11, v9, vcc_lo
	v_or_b32_e32 v17, 8, v1
	s_lshl_b32 s34, s28, 4
	s_or_b32 s33, 0, 8
	s_lshl_b64 s[14:15], s[22:23], 4
	s_add_co_i32 s34, s34, -16
	s_mov_b32 s17, 0
	s_branch .LBB222_4
.LBB222_2:                              ;   in Loop: Header=BB222_4 Depth=1
	s_add_co_i32 s20, s20, 0x10000
	s_delay_alu instid0(SALU_CYCLE_1)
	s_cmp_ge_u32 s20, s3
	s_cselect_b32 s16, -1, 0
	s_and_not1_b32 s37, s37, exec_lo
	s_wait_alu 0xfffe
	s_or_not1_b32 s16, s16, exec_lo
.LBB222_3:                              ;   in Loop: Header=BB222_4 Depth=1
	s_or_b32 exec_lo, exec_lo, s21
	s_wait_alu 0xfffe
	s_and_b32 s16, exec_lo, s16
	s_wait_alu 0xfffe
	s_or_b32 s35, s16, s35
	s_and_not1_b32 s16, s36, exec_lo
	s_and_b32 s18, s37, exec_lo
	s_wait_alu 0xfffe
	s_or_b32 s36, s16, s18
	s_and_not1_b32 exec_lo, exec_lo, s35
	s_cbranch_execz .LBB222_58
.LBB222_4:                              ; =>This Loop Header: Depth=1
                                        ;     Child Loop BB222_6 Depth 2
                                        ;     Child Loop BB222_19 Depth 2
                                        ;       Child Loop BB222_22 Depth 3
                                        ;         Child Loop BB222_23 Depth 4
                                        ;         Child Loop BB222_25 Depth 4
                                        ;           Child Loop BB222_26 Depth 5
                                        ;         Child Loop BB222_30 Depth 4
                                        ;           Child Loop BB222_32 Depth 5
                                        ;     Child Loop BB222_40 Depth 2
                                        ;       Child Loop BB222_43 Depth 3
                                        ;         Child Loop BB222_44 Depth 4
                                        ;         Child Loop BB222_47 Depth 4
                                        ;           Child Loop BB222_48 Depth 5
                                        ;         Child Loop BB222_52 Depth 4
                                        ;           Child Loop BB222_54 Depth 5
	s_wait_alu 0xfffe
	s_mov_b32 s21, s17
	s_delay_alu instid0(SALU_CYCLE_1) | instskip(NEXT) | instid1(SALU_CYCLE_1)
	s_lshl_b64 s[18:19], s[20:21], 3
	s_add_nc_u64 s[22:23], s[12:13], s[18:19]
	global_load_b64 v[10:11], v13, s[22:23]
	s_and_saveexec_b32 s16, s1
	s_cbranch_execz .LBB222_15
; %bb.5:                                ;   in Loop: Header=BB222_4 Depth=1
	s_add_nc_u64 s[18:19], s[8:9], s[18:19]
	v_mov_b32_e32 v2, v12
	global_load_b64 v[0:1], v13, s[18:19]
	s_mov_b32 s18, s28
	s_wait_loadcnt 0x0
	v_add_co_u32 v0, vcc_lo, v0, v15
	s_wait_alu 0xfffd
	v_add_co_ci_u32_e64 v1, null, v1, v14, vcc_lo
.LBB222_6:                              ;   Parent Loop BB222_4 Depth=1
                                        ; =>  This Inner Loop Header: Depth=2
	flat_load_b128 v[3:6], v[0:1] offset:-8
	v_add_co_u32 v0, vcc_lo, v0, s14
	s_wait_alu 0xfffd
	v_add_co_ci_u32_e64 v1, null, s15, v1, vcc_lo
	s_add_co_i32 s18, s18, -1
	s_delay_alu instid0(SALU_CYCLE_1) | instskip(SKIP_2) | instid1(VALU_DEP_1)
	s_cmp_eq_u32 s18, 0
	s_wait_loadcnt_dscnt 0x0
	v_xor_b32_e32 v7, 0x80000000, v6
	v_cndmask_b32_e64 v6, v6, v7, s0
	ds_store_b128 v2, v[3:6]
	v_add_nc_u32_e32 v2, 0x140, v2
	s_cbranch_scc0 .LBB222_6
; %bb.7:                                ;   in Loop: Header=BB222_4 Depth=1
	s_and_b32 vcc_lo, exec_lo, s30
	s_wait_alu 0xfffe
	s_cbranch_vccz .LBB222_13
; %bb.8:                                ;   in Loop: Header=BB222_4 Depth=1
	ds_load_b128 v[0:3], v18
                                        ; implicit-def: $vgpr6_vgpr7
	s_wait_dscnt 0x0
	v_cmp_ngt_f64_e64 s18, |v[0:1]|, |v[2:3]|
	s_and_saveexec_b32 s19, s18
	s_delay_alu instid0(SALU_CYCLE_1)
	s_xor_b32 s18, exec_lo, s19
	s_cbranch_execz .LBB222_10
; %bb.9:                                ;   in Loop: Header=BB222_4 Depth=1
	v_div_scale_f64 v[4:5], null, v[2:3], v[2:3], v[0:1]
	v_div_scale_f64 v[21:22], vcc_lo, v[0:1], v[2:3], v[0:1]
	s_delay_alu instid0(VALU_DEP_2) | instskip(NEXT) | instid1(TRANS32_DEP_1)
	v_rcp_f64_e32 v[6:7], v[4:5]
	v_fma_f64 v[19:20], -v[4:5], v[6:7], 1.0
	s_delay_alu instid0(VALU_DEP_1) | instskip(NEXT) | instid1(VALU_DEP_1)
	v_fma_f64 v[6:7], v[6:7], v[19:20], v[6:7]
	v_fma_f64 v[19:20], -v[4:5], v[6:7], 1.0
	s_delay_alu instid0(VALU_DEP_1) | instskip(NEXT) | instid1(VALU_DEP_1)
	v_fma_f64 v[6:7], v[6:7], v[19:20], v[6:7]
	v_mul_f64_e32 v[19:20], v[21:22], v[6:7]
	s_delay_alu instid0(VALU_DEP_1) | instskip(SKIP_1) | instid1(VALU_DEP_1)
	v_fma_f64 v[4:5], -v[4:5], v[19:20], v[21:22]
	s_wait_alu 0xfffd
	v_div_fmas_f64 v[4:5], v[4:5], v[6:7], v[19:20]
	s_delay_alu instid0(VALU_DEP_1) | instskip(NEXT) | instid1(VALU_DEP_1)
	v_div_fixup_f64 v[4:5], v[4:5], v[2:3], v[0:1]
	v_fma_f64 v[0:1], v[0:1], v[4:5], v[2:3]
	s_delay_alu instid0(VALU_DEP_1) | instskip(SKIP_1) | instid1(VALU_DEP_2)
	v_div_scale_f64 v[2:3], null, v[0:1], v[0:1], 1.0
	v_div_scale_f64 v[21:22], vcc_lo, 1.0, v[0:1], 1.0
	v_rcp_f64_e32 v[6:7], v[2:3]
	s_delay_alu instid0(TRANS32_DEP_1) | instskip(NEXT) | instid1(VALU_DEP_1)
	v_fma_f64 v[19:20], -v[2:3], v[6:7], 1.0
	v_fma_f64 v[6:7], v[6:7], v[19:20], v[6:7]
	s_delay_alu instid0(VALU_DEP_1) | instskip(NEXT) | instid1(VALU_DEP_1)
	v_fma_f64 v[19:20], -v[2:3], v[6:7], 1.0
	v_fma_f64 v[6:7], v[6:7], v[19:20], v[6:7]
	s_delay_alu instid0(VALU_DEP_1) | instskip(NEXT) | instid1(VALU_DEP_1)
	v_mul_f64_e32 v[19:20], v[21:22], v[6:7]
	v_fma_f64 v[2:3], -v[2:3], v[19:20], v[21:22]
	s_wait_alu 0xfffd
	s_delay_alu instid0(VALU_DEP_1) | instskip(SKIP_1) | instid1(VALU_DEP_2)
	v_div_fmas_f64 v[2:3], v[2:3], v[6:7], v[19:20]
	v_add_f64_e32 v[6:7], 0, v[4:5]
	v_div_fixup_f64 v[0:1], v[2:3], v[0:1], 1.0
	v_fma_f64 v[2:3], v[4:5], 0, -1.0
	s_delay_alu instid0(VALU_DEP_2) | instskip(NEXT) | instid1(VALU_DEP_2)
	v_mul_f64_e32 v[4:5], v[6:7], v[0:1]
	v_mul_f64_e32 v[6:7], v[2:3], v[0:1]
                                        ; implicit-def: $vgpr0_vgpr1
.LBB222_10:                             ;   in Loop: Header=BB222_4 Depth=1
	s_and_not1_saveexec_b32 s18, s18
	s_cbranch_execz .LBB222_12
; %bb.11:                               ;   in Loop: Header=BB222_4 Depth=1
	v_div_scale_f64 v[4:5], null, v[0:1], v[0:1], v[2:3]
	v_div_scale_f64 v[21:22], vcc_lo, v[2:3], v[0:1], v[2:3]
	s_delay_alu instid0(VALU_DEP_2) | instskip(NEXT) | instid1(TRANS32_DEP_1)
	v_rcp_f64_e32 v[6:7], v[4:5]
	v_fma_f64 v[19:20], -v[4:5], v[6:7], 1.0
	s_delay_alu instid0(VALU_DEP_1) | instskip(NEXT) | instid1(VALU_DEP_1)
	v_fma_f64 v[6:7], v[6:7], v[19:20], v[6:7]
	v_fma_f64 v[19:20], -v[4:5], v[6:7], 1.0
	s_delay_alu instid0(VALU_DEP_1) | instskip(NEXT) | instid1(VALU_DEP_1)
	v_fma_f64 v[6:7], v[6:7], v[19:20], v[6:7]
	v_mul_f64_e32 v[19:20], v[21:22], v[6:7]
	s_delay_alu instid0(VALU_DEP_1) | instskip(SKIP_1) | instid1(VALU_DEP_1)
	v_fma_f64 v[4:5], -v[4:5], v[19:20], v[21:22]
	s_wait_alu 0xfffd
	v_div_fmas_f64 v[4:5], v[4:5], v[6:7], v[19:20]
	s_delay_alu instid0(VALU_DEP_1) | instskip(NEXT) | instid1(VALU_DEP_1)
	v_div_fixup_f64 v[4:5], v[4:5], v[0:1], v[2:3]
	v_fma_f64 v[0:1], v[2:3], v[4:5], v[0:1]
	s_delay_alu instid0(VALU_DEP_1) | instskip(SKIP_1) | instid1(VALU_DEP_2)
	v_div_scale_f64 v[2:3], null, v[0:1], v[0:1], 1.0
	v_div_scale_f64 v[21:22], vcc_lo, 1.0, v[0:1], 1.0
	v_rcp_f64_e32 v[6:7], v[2:3]
	s_delay_alu instid0(TRANS32_DEP_1) | instskip(NEXT) | instid1(VALU_DEP_1)
	v_fma_f64 v[19:20], -v[2:3], v[6:7], 1.0
	v_fma_f64 v[6:7], v[6:7], v[19:20], v[6:7]
	s_delay_alu instid0(VALU_DEP_1) | instskip(NEXT) | instid1(VALU_DEP_1)
	v_fma_f64 v[19:20], -v[2:3], v[6:7], 1.0
	v_fma_f64 v[6:7], v[6:7], v[19:20], v[6:7]
	s_delay_alu instid0(VALU_DEP_1) | instskip(NEXT) | instid1(VALU_DEP_1)
	v_mul_f64_e32 v[19:20], v[21:22], v[6:7]
	v_fma_f64 v[2:3], -v[2:3], v[19:20], v[21:22]
	s_wait_alu 0xfffd
	s_delay_alu instid0(VALU_DEP_1) | instskip(SKIP_1) | instid1(VALU_DEP_2)
	v_div_fmas_f64 v[2:3], v[2:3], v[6:7], v[19:20]
	v_fma_f64 v[6:7], v[4:5], 0, 1.0
	v_div_fixup_f64 v[0:1], v[2:3], v[0:1], 1.0
	v_add_f64_e64 v[2:3], -v[4:5], 0
	s_delay_alu instid0(VALU_DEP_2) | instskip(NEXT) | instid1(VALU_DEP_2)
	v_mul_f64_e32 v[4:5], v[6:7], v[0:1]
	v_mul_f64_e32 v[6:7], v[2:3], v[0:1]
.LBB222_12:                             ;   in Loop: Header=BB222_4 Depth=1
	s_or_b32 exec_lo, exec_lo, s18
	s_branch .LBB222_14
.LBB222_13:                             ;   in Loop: Header=BB222_4 Depth=1
	v_mov_b32_e32 v6, 0
	v_dual_mov_b32 v7, 0 :: v_dual_mov_b32 v4, 0
	v_mov_b32_e32 v5, 0x3ff00000
.LBB222_14:                             ;   in Loop: Header=BB222_4 Depth=1
	ds_store_b128 v18, v[4:7]
.LBB222_15:                             ;   in Loop: Header=BB222_4 Depth=1
	s_wait_alu 0xfffe
	s_or_b32 exec_lo, exec_lo, s16
	s_mov_b32 s16, -1
	s_or_b32 s37, s37, exec_lo
	; wave barrier
	s_wait_loadcnt_dscnt 0x0
	global_inv scope:SCOPE_SE
	s_and_saveexec_b32 s21, s2
	s_cbranch_execz .LBB222_3
; %bb.16:                               ;   in Loop: Header=BB222_4 Depth=1
	v_add_co_u32 v0, vcc_lo, v10, s10
	s_wait_alu 0xfffd
	v_add_co_ci_u32_e64 v1, null, s11, v11, vcc_lo
	s_delay_alu instid0(VALU_DEP_2) | instskip(SKIP_1) | instid1(VALU_DEP_2)
	v_add_co_u32 v6, vcc_lo, v0, v8
	s_wait_alu 0xfffd
	v_add_co_ci_u32_e64 v7, null, v1, v9, vcc_lo
	s_and_not1_b32 vcc_lo, exec_lo, s31
	s_wait_alu 0xfffe
	s_cbranch_vccnz .LBB222_37
; %bb.17:                               ;   in Loop: Header=BB222_4 Depth=1
	v_add_co_u32 v4, vcc_lo, v10, v17
	s_wait_alu 0xfffd
	v_add_co_ci_u32_e64 v5, null, v11, v16, vcc_lo
	s_mov_b32 s16, 0
	s_mov_b32 s18, s29
	s_branch .LBB222_19
.LBB222_18:                             ;   in Loop: Header=BB222_19 Depth=2
	s_cmp_gt_i32 s18, -1
	s_cselect_b32 s19, -1, 0
	s_add_co_i32 s22, s16, 1
	s_cmp_lt_u32 s16, 2
	s_cselect_b32 s16, -1, 0
	s_wait_alu 0xfffe
	s_and_b32 s16, s19, s16
	s_wait_alu 0xfffe
	s_and_b32 vcc_lo, exec_lo, s16
	s_mov_b32 s16, s22
	s_wait_alu 0xfffe
	s_cbranch_vccz .LBB222_36
.LBB222_19:                             ;   Parent Loop BB222_4 Depth=1
                                        ; =>  This Loop Header: Depth=2
                                        ;       Child Loop BB222_22 Depth 3
                                        ;         Child Loop BB222_23 Depth 4
                                        ;         Child Loop BB222_25 Depth 4
                                        ;           Child Loop BB222_26 Depth 5
                                        ;         Child Loop BB222_30 Depth 4
                                        ;           Child Loop BB222_32 Depth 5
	s_getpc_b64 s[22:23]
	s_wait_alu 0xfffe
	s_sext_i32_i16 s23, s23
	s_add_co_u32 s22, s22, __const._ZL30rocblas_trsm_small_left_deviceILi20ELi20ELb1E19rocblas_complex_numIdES1_PKPKS1_PKPS1_Ev13rocblas_fill_18rocblas_operation_17rocblas_diagonal_iiT3_T4_lilT5_lili.step_sizes@rel32@lo+12
	s_wait_alu 0xfffe
	s_add_co_ci_u32 s23, s23, __const._ZL30rocblas_trsm_small_left_deviceILi20ELi20ELb1E19rocblas_complex_numIdES1_PKPKS1_PKPS1_Ev13rocblas_fill_18rocblas_operation_17rocblas_diagonal_iiT3_T4_lilT5_lili.step_sizes@rel32@hi+24
	s_lshl_b64 s[24:25], s[16:17], 2
	s_wait_alu 0xfffe
	s_add_nc_u64 s[22:23], s[22:23], s[24:25]
	s_load_b32 s26, s[22:23], 0x0
	s_wait_kmcnt 0x0
	s_add_co_i32 s27, s26, -1
	s_wait_alu 0xfffe
	s_cmp_lt_i32 s18, s27
	s_cbranch_scc1 .LBB222_18
; %bb.20:                               ;   in Loop: Header=BB222_19 Depth=2
	s_mul_i32 s19, s18, 0x140
	s_max_i32 s38, s26, 1
	s_add_co_i32 s39, s34, s19
	s_mul_i32 s40, s26, 0xfffffec0
	s_mul_i32 s41, s18, 0x150
	;; [unrolled: 1-line block ×3, first 2 shown]
	s_branch .LBB222_22
.LBB222_21:                             ;   in Loop: Header=BB222_22 Depth=3
	s_sub_co_i32 s18, s18, s26
	s_add_co_i32 s39, s39, s40
	s_add_co_i32 s41, s41, s42
	s_cmp_lt_i32 s18, s27
	s_cbranch_scc1 .LBB222_18
.LBB222_22:                             ;   Parent Loop BB222_4 Depth=1
                                        ;     Parent Loop BB222_19 Depth=2
                                        ; =>    This Loop Header: Depth=3
                                        ;         Child Loop BB222_23 Depth 4
                                        ;         Child Loop BB222_25 Depth 4
                                        ;           Child Loop BB222_26 Depth 5
                                        ;         Child Loop BB222_30 Depth 4
                                        ;           Child Loop BB222_32 Depth 5
	s_ashr_i32 s19, s18, 31
	s_delay_alu instid0(SALU_CYCLE_1)
	s_lshl_b64 s[22:23], s[18:19], 4
	s_wait_alu 0xfffe
	v_add_co_u32 v0, vcc_lo, v4, s22
	s_wait_alu 0xfffd
	v_add_co_ci_u32_e64 v1, null, s23, v5, vcc_lo
	s_mov_b32 s22, 8
	s_mov_b32 s23, s38
.LBB222_23:                             ;   Parent Loop BB222_4 Depth=1
                                        ;     Parent Loop BB222_19 Depth=2
                                        ;       Parent Loop BB222_22 Depth=3
                                        ; =>      This Inner Loop Header: Depth=4
	flat_load_b128 v[19:22], v[0:1] offset:-8
	v_add_co_u32 v0, vcc_lo, v0, -16
	s_wait_alu 0xfffd
	v_add_co_ci_u32_e64 v1, null, -1, v1, vcc_lo
	s_wait_alu 0xfffe
	s_add_co_i32 s23, s23, -1
	s_mov_b32 s24, s22
	s_add_co_i32 s22, s22, 16
	s_wait_alu 0xfffe
	s_cmp_eq_u32 s23, 0
	s_wait_loadcnt_dscnt 0x0
	v_mul_f64_e32 v[2:3], s[6:7], v[21:22]
	v_mul_f64_e32 v[23:24], s[4:5], v[21:22]
	s_delay_alu instid0(VALU_DEP_2) | instskip(NEXT) | instid1(VALU_DEP_2)
	v_fma_f64 v[21:22], s[4:5], v[19:20], -v[2:3]
	v_fma_f64 v[23:24], s[6:7], v[19:20], v[23:24]
	scratch_store_b128 off, v[21:24], s24 offset:-8
	s_cbranch_scc0 .LBB222_23
; %bb.24:                               ;   in Loop: Header=BB222_22 Depth=3
	s_cmp_le_i32 s29, s18
	s_mov_b32 s24, s39
	s_mov_b32 s22, s29
	s_cbranch_scc1 .LBB222_28
.LBB222_25:                             ;   Parent Loop BB222_4 Depth=1
                                        ;     Parent Loop BB222_19 Depth=2
                                        ;       Parent Loop BB222_22 Depth=3
                                        ; =>      This Loop Header: Depth=4
                                        ;           Child Loop BB222_26 Depth 5
	s_wait_alu 0xfffe
	s_ashr_i32 s23, s22, 31
	s_mov_b32 s25, s24
	s_wait_alu 0xfffe
	s_lshl_b64 s[44:45], s[22:23], 4
	s_mov_b32 s23, s33
	s_wait_alu 0xfffe
	v_add_co_u32 v0, vcc_lo, v6, s44
	s_wait_alu 0xfffd
	v_add_co_ci_u32_e64 v1, null, s45, v7, vcc_lo
	s_mov_b32 s43, s38
	flat_load_b128 v[0:3], v[0:1]
.LBB222_26:                             ;   Parent Loop BB222_4 Depth=1
                                        ;     Parent Loop BB222_19 Depth=2
                                        ;       Parent Loop BB222_22 Depth=3
                                        ;         Parent Loop BB222_25 Depth=4
                                        ; =>        This Inner Loop Header: Depth=5
	scratch_load_b128 v[19:22], off, s23 offset:-8
	v_mov_b32_e32 v23, s25
	s_wait_alu 0xfffe
	s_add_co_i32 s43, s43, -1
	s_addk_co_i32 s25, 0xfec0
	ds_load_b128 v[23:26], v23
	s_wait_loadcnt_dscnt 0x100
	v_mul_f64_e32 v[27:28], v[2:3], v[25:26]
	v_mul_f64_e32 v[25:26], v[0:1], v[25:26]
	s_delay_alu instid0(VALU_DEP_2) | instskip(NEXT) | instid1(VALU_DEP_2)
	v_fma_f64 v[27:28], v[0:1], v[23:24], -v[27:28]
	v_fma_f64 v[23:24], v[2:3], v[23:24], v[25:26]
	s_wait_loadcnt 0x0
	s_delay_alu instid0(VALU_DEP_2) | instskip(NEXT) | instid1(VALU_DEP_2)
	v_add_f64_e64 v[19:20], v[19:20], -v[27:28]
	v_add_f64_e64 v[21:22], v[21:22], -v[23:24]
	scratch_store_b128 off, v[19:22], s23 offset:-8
	s_add_co_i32 s23, s23, 16
	s_wait_alu 0xfffe
	s_cmp_eq_u32 s43, 0
	s_cbranch_scc0 .LBB222_26
; %bb.27:                               ;   in Loop: Header=BB222_25 Depth=4
	s_add_co_i32 s22, s22, -1
	s_add_co_i32 s24, s24, -16
	s_wait_alu 0xfffe
	s_cmp_le_i32 s22, s18
	s_cbranch_scc0 .LBB222_25
.LBB222_28:                             ;   in Loop: Header=BB222_22 Depth=3
	s_mov_b32 s43, 0
	s_mov_b32 s44, s41
	s_branch .LBB222_30
.LBB222_29:                             ;   in Loop: Header=BB222_30 Depth=4
	s_wait_alu 0xfffe
	s_mulk_i32 s24, 0x150
	s_lshl_b64 s[22:23], s[22:23], 4
	s_wait_alu 0xfffe
	v_mov_b32_e32 v19, s24
	s_lshl_b32 s24, s43, 4
	s_add_co_i32 s43, s43, 1
	s_addk_co_i32 s44, 0xfec0
	s_wait_alu 0xfffe
	s_cmp_eq_u32 s43, s38
	ds_load_b128 v[19:22], v19
	s_wait_loadcnt_dscnt 0x0
	v_mul_f64_e32 v[23:24], v[21:22], v[2:3]
	v_mul_f64_e32 v[2:3], v[19:20], v[2:3]
	s_delay_alu instid0(VALU_DEP_2) | instskip(NEXT) | instid1(VALU_DEP_2)
	v_fma_f64 v[19:20], v[19:20], v[0:1], -v[23:24]
	v_fma_f64 v[21:22], v[21:22], v[0:1], v[2:3]
	v_add_co_u32 v0, vcc_lo, v6, s22
	s_wait_alu 0xfffd
	v_add_co_ci_u32_e64 v1, null, s23, v7, vcc_lo
	scratch_store_b128 off, v[19:22], s24
	flat_store_b128 v[0:1], v[19:22]
	s_cbranch_scc1 .LBB222_21
.LBB222_30:                             ;   Parent Loop BB222_4 Depth=1
                                        ;     Parent Loop BB222_19 Depth=2
                                        ;       Parent Loop BB222_22 Depth=3
                                        ; =>      This Loop Header: Depth=4
                                        ;           Child Loop BB222_32 Depth 5
	s_wait_alu 0xfffe
	s_cmp_lg_u32 s43, 0
	s_cbranch_scc0 .LBB222_34
; %bb.31:                               ;   in Loop: Header=BB222_30 Depth=4
	s_lshl_b32 s22, s43, 4
	s_mov_b32 s23, s33
	scratch_load_b128 v[0:3], off, s22
	s_mov_b32 s24, s44
	s_mov_b32 s25, s43
.LBB222_32:                             ;   Parent Loop BB222_4 Depth=1
                                        ;     Parent Loop BB222_19 Depth=2
                                        ;       Parent Loop BB222_22 Depth=3
                                        ;         Parent Loop BB222_30 Depth=4
                                        ; =>        This Inner Loop Header: Depth=5
	scratch_load_b128 v[19:22], off, s23 offset:-8
	s_wait_alu 0xfffe
	v_mov_b32_e32 v23, s24
	s_add_co_i32 s25, s25, -1
	s_add_co_i32 s24, s24, -16
	s_add_co_i32 s23, s23, 16
	s_wait_alu 0xfffe
	s_cmp_eq_u32 s25, 0
	ds_load_b128 v[23:26], v23
	s_wait_loadcnt_dscnt 0x0
	v_mul_f64_e32 v[27:28], v[25:26], v[21:22]
	v_mul_f64_e32 v[21:22], v[23:24], v[21:22]
	s_delay_alu instid0(VALU_DEP_2) | instskip(NEXT) | instid1(VALU_DEP_2)
	v_fma_f64 v[23:24], v[23:24], v[19:20], -v[27:28]
	v_fma_f64 v[19:20], v[25:26], v[19:20], v[21:22]
	s_delay_alu instid0(VALU_DEP_2) | instskip(NEXT) | instid1(VALU_DEP_2)
	v_add_f64_e64 v[0:1], v[0:1], -v[23:24]
	v_add_f64_e64 v[2:3], v[2:3], -v[19:20]
	scratch_store_b128 off, v[0:3], s22
	s_cbranch_scc0 .LBB222_32
; %bb.33:                               ;   in Loop: Header=BB222_30 Depth=4
	s_sub_co_i32 s24, s18, s43
	s_wait_alu 0xfffe
	s_ashr_i32 s25, s24, 31
	s_wait_alu 0xfffe
	s_mov_b64 s[22:23], s[24:25]
	s_branch .LBB222_29
.LBB222_34:                             ;   in Loop: Header=BB222_30 Depth=4
                                        ; implicit-def: $vgpr0_vgpr1
                                        ; implicit-def: $sgpr24
                                        ; implicit-def: $sgpr22_sgpr23
	s_cbranch_execz .LBB222_29
; %bb.35:                               ;   in Loop: Header=BB222_30 Depth=4
	scratch_load_b128 v[0:3], off, off
	s_mov_b64 s[22:23], s[18:19]
	s_mov_b32 s24, s18
	s_branch .LBB222_29
.LBB222_36:                             ;   in Loop: Header=BB222_4 Depth=1
	s_mov_b32 s16, 0
.LBB222_37:                             ;   in Loop: Header=BB222_4 Depth=1
	s_wait_alu 0xfffe
	s_and_b32 vcc_lo, exec_lo, s16
	s_wait_alu 0xfffe
	s_cbranch_vccz .LBB222_2
; %bb.38:                               ;   in Loop: Header=BB222_4 Depth=1
	v_add_co_u32 v10, vcc_lo, v10, v17
	s_wait_alu 0xfffd
	v_add_co_ci_u32_e64 v11, null, v11, v16, vcc_lo
	s_mov_b32 s18, 0
	s_mov_b32 s22, 0
	s_branch .LBB222_40
.LBB222_39:                             ;   in Loop: Header=BB222_40 Depth=2
	s_cmp_lt_i32 s18, s28
	s_cselect_b32 s16, -1, 0
	s_add_co_i32 s19, s22, 1
	s_cmp_lt_u32 s22, 2
	s_cselect_b32 s22, -1, 0
	s_wait_alu 0xfffe
	s_and_b32 s16, s16, s22
	s_mov_b32 s22, s19
	s_wait_alu 0xfffe
	s_and_not1_b32 vcc_lo, exec_lo, s16
	s_wait_alu 0xfffe
	s_cbranch_vccnz .LBB222_2
.LBB222_40:                             ;   Parent Loop BB222_4 Depth=1
                                        ; =>  This Loop Header: Depth=2
                                        ;       Child Loop BB222_43 Depth 3
                                        ;         Child Loop BB222_44 Depth 4
                                        ;         Child Loop BB222_47 Depth 4
                                        ;           Child Loop BB222_48 Depth 5
                                        ;         Child Loop BB222_52 Depth 4
                                        ;           Child Loop BB222_54 Depth 5
	s_mov_b32 s23, s17
	s_getpc_b64 s[24:25]
	s_wait_alu 0xfffe
	s_sext_i32_i16 s25, s25
	s_add_co_u32 s24, s24, __const._ZL30rocblas_trsm_small_left_deviceILi20ELi20ELb1E19rocblas_complex_numIdES1_PKPKS1_PKPS1_Ev13rocblas_fill_18rocblas_operation_17rocblas_diagonal_iiT3_T4_lilT5_lili.step_sizes@rel32@lo+12
	s_wait_alu 0xfffe
	s_add_co_ci_u32 s25, s25, __const._ZL30rocblas_trsm_small_left_deviceILi20ELi20ELb1E19rocblas_complex_numIdES1_PKPKS1_PKPS1_Ev13rocblas_fill_18rocblas_operation_17rocblas_diagonal_iiT3_T4_lilT5_lili.step_sizes@rel32@hi+24
	s_lshl_b64 s[26:27], s[22:23], 2
	s_wait_alu 0xfffe
	s_add_nc_u64 s[24:25], s[24:25], s[26:27]
	s_load_b32 s24, s[24:25], 0x0
	s_wait_kmcnt 0x0
	s_add_co_i32 s23, s24, -1
	s_wait_alu 0xfffe
	s_add_co_i32 s16, s23, s18
	s_wait_alu 0xfffe
	s_cmp_ge_i32 s16, s28
	s_cbranch_scc1 .LBB222_39
; %bb.41:                               ;   in Loop: Header=BB222_40 Depth=2
	s_ashr_i32 s19, s18, 31
	s_ashr_i32 s25, s24, 31
	s_lshl_b64 s[26:27], s[18:19], 4
	s_max_i32 s38, s24, 1
	s_wait_alu 0xfffe
	v_add_co_u32 v4, vcc_lo, v10, s26
	s_wait_alu 0xfffd
	v_add_co_ci_u32_e64 v5, null, s27, v11, vcc_lo
	s_lshl_b64 s[26:27], s[24:25], 4
	s_lshl_b32 s19, s18, 4
	s_lshl_b32 s25, s24, 4
	s_mul_i32 s39, s18, 0x150
	s_mul_i32 s40, s24, 0x150
	s_branch .LBB222_43
.LBB222_42:                             ;   in Loop: Header=BB222_43 Depth=3
	v_add_co_u32 v4, vcc_lo, v4, s26
	s_add_co_i32 s18, s18, s24
	s_wait_alu 0xfffd
	v_add_co_ci_u32_e64 v5, null, s27, v5, vcc_lo
	s_add_co_i32 s16, s23, s18
	s_add_co_i32 s19, s19, s25
	;; [unrolled: 1-line block ×3, first 2 shown]
	s_wait_alu 0xfffe
	s_cmp_ge_i32 s16, s28
	s_cbranch_scc1 .LBB222_39
.LBB222_43:                             ;   Parent Loop BB222_4 Depth=1
                                        ;     Parent Loop BB222_40 Depth=2
                                        ; =>    This Loop Header: Depth=3
                                        ;         Child Loop BB222_44 Depth 4
                                        ;         Child Loop BB222_47 Depth 4
                                        ;           Child Loop BB222_48 Depth 5
                                        ;         Child Loop BB222_52 Depth 4
                                        ;           Child Loop BB222_54 Depth 5
	v_dual_mov_b32 v0, v4 :: v_dual_mov_b32 v1, v5
	s_mov_b32 s16, 8
	s_mov_b32 s41, s38
.LBB222_44:                             ;   Parent Loop BB222_4 Depth=1
                                        ;     Parent Loop BB222_40 Depth=2
                                        ;       Parent Loop BB222_43 Depth=3
                                        ; =>      This Inner Loop Header: Depth=4
	flat_load_b128 v[19:22], v[0:1] offset:-8
	v_add_co_u32 v0, vcc_lo, v0, 16
	s_wait_alu 0xfffd
	v_add_co_ci_u32_e64 v1, null, 0, v1, vcc_lo
	s_add_co_i32 s41, s41, -1
	s_wait_alu 0xfffe
	s_mov_b32 s42, s16
	s_add_co_i32 s16, s16, 16
	s_cmp_eq_u32 s41, 0
	s_wait_loadcnt_dscnt 0x0
	v_mul_f64_e32 v[2:3], s[6:7], v[21:22]
	v_mul_f64_e32 v[23:24], s[4:5], v[21:22]
	s_delay_alu instid0(VALU_DEP_2) | instskip(NEXT) | instid1(VALU_DEP_2)
	v_fma_f64 v[21:22], s[4:5], v[19:20], -v[2:3]
	v_fma_f64 v[23:24], s[6:7], v[19:20], v[23:24]
	scratch_store_b128 off, v[21:24], s42 offset:-8
	s_cbranch_scc0 .LBB222_44
; %bb.45:                               ;   in Loop: Header=BB222_43 Depth=3
	s_cmp_lt_i32 s18, 1
	s_cbranch_scc1 .LBB222_50
; %bb.46:                               ;   in Loop: Header=BB222_43 Depth=3
	s_mov_b32 s16, 0
	s_mov_b32 s41, s19
.LBB222_47:                             ;   Parent Loop BB222_4 Depth=1
                                        ;     Parent Loop BB222_40 Depth=2
                                        ;       Parent Loop BB222_43 Depth=3
                                        ; =>      This Loop Header: Depth=4
                                        ;           Child Loop BB222_48 Depth 5
	s_wait_alu 0xfffe
	s_lshl_b64 s[42:43], s[16:17], 4
	s_mov_b32 s44, s38
	s_wait_alu 0xfffe
	v_add_co_u32 v0, vcc_lo, v6, s42
	s_wait_alu 0xfffd
	v_add_co_ci_u32_e64 v1, null, s43, v7, vcc_lo
	s_mov_b32 s42, s33
	s_mov_b32 s43, s41
	flat_load_b128 v[0:3], v[0:1]
.LBB222_48:                             ;   Parent Loop BB222_4 Depth=1
                                        ;     Parent Loop BB222_40 Depth=2
                                        ;       Parent Loop BB222_43 Depth=3
                                        ;         Parent Loop BB222_47 Depth=4
                                        ; =>        This Inner Loop Header: Depth=5
	scratch_load_b128 v[19:22], off, s42 offset:-8
	s_wait_alu 0xfffe
	v_mov_b32_e32 v23, s43
	s_add_co_i32 s44, s44, -1
	s_add_co_i32 s43, s43, 16
	ds_load_b128 v[23:26], v23
	s_wait_loadcnt_dscnt 0x100
	v_mul_f64_e32 v[27:28], v[2:3], v[25:26]
	v_mul_f64_e32 v[25:26], v[0:1], v[25:26]
	s_delay_alu instid0(VALU_DEP_2) | instskip(NEXT) | instid1(VALU_DEP_2)
	v_fma_f64 v[27:28], v[0:1], v[23:24], -v[27:28]
	v_fma_f64 v[23:24], v[2:3], v[23:24], v[25:26]
	s_wait_loadcnt 0x0
	s_delay_alu instid0(VALU_DEP_2) | instskip(NEXT) | instid1(VALU_DEP_2)
	v_add_f64_e64 v[19:20], v[19:20], -v[27:28]
	v_add_f64_e64 v[21:22], v[21:22], -v[23:24]
	scratch_store_b128 off, v[19:22], s42 offset:-8
	s_add_co_i32 s42, s42, 16
	s_wait_alu 0xfffe
	s_cmp_eq_u32 s44, 0
	s_cbranch_scc0 .LBB222_48
; %bb.49:                               ;   in Loop: Header=BB222_47 Depth=4
	s_add_co_i32 s16, s16, 1
	s_addk_co_i32 s41, 0x140
	s_wait_alu 0xfffe
	s_cmp_eq_u32 s16, s18
	s_cbranch_scc0 .LBB222_47
.LBB222_50:                             ;   in Loop: Header=BB222_43 Depth=3
	s_mov_b32 s16, 0
	s_mov_b32 s41, s39
	s_branch .LBB222_52
.LBB222_51:                             ;   in Loop: Header=BB222_52 Depth=4
	s_add_co_i32 s42, s16, s18
	s_lshl_b32 s44, s16, 4
	s_wait_alu 0xfffe
	s_mul_i32 s43, s42, 0x150
	s_add_co_i32 s16, s16, 1
	s_wait_alu 0xfffe
	v_mov_b32_e32 v19, s43
	s_ashr_i32 s43, s42, 31
	s_add_co_i32 s41, s41, 16
	s_wait_alu 0xfffe
	s_lshl_b64 s[42:43], s[42:43], 4
	s_cmp_eq_u32 s16, s38
	ds_load_b128 v[19:22], v19
	s_wait_loadcnt_dscnt 0x0
	v_mul_f64_e32 v[23:24], v[21:22], v[2:3]
	v_mul_f64_e32 v[2:3], v[19:20], v[2:3]
	s_delay_alu instid0(VALU_DEP_2) | instskip(NEXT) | instid1(VALU_DEP_2)
	v_fma_f64 v[19:20], v[19:20], v[0:1], -v[23:24]
	v_fma_f64 v[21:22], v[21:22], v[0:1], v[2:3]
	s_wait_alu 0xfffe
	v_add_co_u32 v0, vcc_lo, v6, s42
	s_wait_alu 0xfffd
	v_add_co_ci_u32_e64 v1, null, s43, v7, vcc_lo
	scratch_store_b128 off, v[19:22], s44
	flat_store_b128 v[0:1], v[19:22]
	s_cbranch_scc1 .LBB222_42
.LBB222_52:                             ;   Parent Loop BB222_4 Depth=1
                                        ;     Parent Loop BB222_40 Depth=2
                                        ;       Parent Loop BB222_43 Depth=3
                                        ; =>      This Loop Header: Depth=4
                                        ;           Child Loop BB222_54 Depth 5
	s_wait_alu 0xfffe
	s_cmp_lg_u32 s16, 0
	s_cbranch_scc0 .LBB222_56
; %bb.53:                               ;   in Loop: Header=BB222_52 Depth=4
	s_lshl_b32 s42, s16, 4
	s_mov_b32 s43, s33
	scratch_load_b128 v[0:3], off, s42
	s_mov_b32 s44, s41
	s_mov_b32 s45, s16
.LBB222_54:                             ;   Parent Loop BB222_4 Depth=1
                                        ;     Parent Loop BB222_40 Depth=2
                                        ;       Parent Loop BB222_43 Depth=3
                                        ;         Parent Loop BB222_52 Depth=4
                                        ; =>        This Inner Loop Header: Depth=5
	scratch_load_b128 v[19:22], off, s43 offset:-8
	s_wait_alu 0xfffe
	v_mov_b32_e32 v23, s44
	s_add_co_i32 s45, s45, -1
	s_addk_co_i32 s44, 0x140
	s_add_co_i32 s43, s43, 16
	s_wait_alu 0xfffe
	s_cmp_eq_u32 s45, 0
	ds_load_b128 v[23:26], v23
	s_wait_loadcnt_dscnt 0x0
	v_mul_f64_e32 v[27:28], v[25:26], v[21:22]
	v_mul_f64_e32 v[21:22], v[23:24], v[21:22]
	s_delay_alu instid0(VALU_DEP_2) | instskip(NEXT) | instid1(VALU_DEP_2)
	v_fma_f64 v[23:24], v[23:24], v[19:20], -v[27:28]
	v_fma_f64 v[19:20], v[25:26], v[19:20], v[21:22]
	s_delay_alu instid0(VALU_DEP_2) | instskip(NEXT) | instid1(VALU_DEP_2)
	v_add_f64_e64 v[0:1], v[0:1], -v[23:24]
	v_add_f64_e64 v[2:3], v[2:3], -v[19:20]
	scratch_store_b128 off, v[0:3], s42
	s_cbranch_scc0 .LBB222_54
; %bb.55:                               ;   in Loop: Header=BB222_52 Depth=4
	s_branch .LBB222_51
.LBB222_56:                             ;   in Loop: Header=BB222_52 Depth=4
                                        ; implicit-def: $vgpr0_vgpr1
	s_cbranch_execz .LBB222_51
; %bb.57:                               ;   in Loop: Header=BB222_52 Depth=4
	scratch_load_b128 v[0:3], off, off
	s_branch .LBB222_51
.LBB222_58:
	s_or_b32 exec_lo, exec_lo, s35
	s_and_saveexec_b32 s0, s36
	s_wait_alu 0xfffe
	s_xor_b32 s0, exec_lo, s0
.LBB222_59:
	s_endpgm
	.section	.rodata,"a",@progbits
	.p2align	6, 0x0
	.amdhsa_kernel _ZL30rocblas_trsm_small_left_deviceILi20ELi20ELb1E19rocblas_complex_numIdES1_PKPKS1_PKPS1_Ev13rocblas_fill_18rocblas_operation_17rocblas_diagonal_iiT3_T4_lilT5_lili
		.amdhsa_group_segment_fixed_size 6400
		.amdhsa_private_segment_fixed_size 336
		.amdhsa_kernarg_size 368
		.amdhsa_user_sgpr_count 2
		.amdhsa_user_sgpr_dispatch_ptr 0
		.amdhsa_user_sgpr_queue_ptr 0
		.amdhsa_user_sgpr_kernarg_segment_ptr 1
		.amdhsa_user_sgpr_dispatch_id 0
		.amdhsa_user_sgpr_private_segment_size 0
		.amdhsa_wavefront_size32 1
		.amdhsa_uses_dynamic_stack 0
		.amdhsa_enable_private_segment 1
		.amdhsa_system_sgpr_workgroup_id_x 1
		.amdhsa_system_sgpr_workgroup_id_y 0
		.amdhsa_system_sgpr_workgroup_id_z 1
		.amdhsa_system_sgpr_workgroup_info 0
		.amdhsa_system_vgpr_workitem_id 0
		.amdhsa_next_free_vgpr 241
		.amdhsa_next_free_sgpr 46
		.amdhsa_reserve_vcc 1
		.amdhsa_float_round_mode_32 0
		.amdhsa_float_round_mode_16_64 0
		.amdhsa_float_denorm_mode_32 3
		.amdhsa_float_denorm_mode_16_64 3
		.amdhsa_fp16_overflow 0
		.amdhsa_workgroup_processor_mode 1
		.amdhsa_memory_ordered 1
		.amdhsa_forward_progress 1
		.amdhsa_inst_pref_size 25
		.amdhsa_round_robin_scheduling 0
		.amdhsa_exception_fp_ieee_invalid_op 0
		.amdhsa_exception_fp_denorm_src 0
		.amdhsa_exception_fp_ieee_div_zero 0
		.amdhsa_exception_fp_ieee_overflow 0
		.amdhsa_exception_fp_ieee_underflow 0
		.amdhsa_exception_fp_ieee_inexact 0
		.amdhsa_exception_int_div_zero 0
	.end_amdhsa_kernel
	.section	.text._ZL30rocblas_trsm_small_left_deviceILi20ELi20ELb1E19rocblas_complex_numIdES1_PKPKS1_PKPS1_Ev13rocblas_fill_18rocblas_operation_17rocblas_diagonal_iiT3_T4_lilT5_lili,"axG",@progbits,_ZL30rocblas_trsm_small_left_deviceILi20ELi20ELb1E19rocblas_complex_numIdES1_PKPKS1_PKPS1_Ev13rocblas_fill_18rocblas_operation_17rocblas_diagonal_iiT3_T4_lilT5_lili,comdat
.Lfunc_end222:
	.size	_ZL30rocblas_trsm_small_left_deviceILi20ELi20ELb1E19rocblas_complex_numIdES1_PKPKS1_PKPS1_Ev13rocblas_fill_18rocblas_operation_17rocblas_diagonal_iiT3_T4_lilT5_lili, .Lfunc_end222-_ZL30rocblas_trsm_small_left_deviceILi20ELi20ELb1E19rocblas_complex_numIdES1_PKPKS1_PKPS1_Ev13rocblas_fill_18rocblas_operation_17rocblas_diagonal_iiT3_T4_lilT5_lili
                                        ; -- End function
	.set _ZL30rocblas_trsm_small_left_deviceILi20ELi20ELb1E19rocblas_complex_numIdES1_PKPKS1_PKPS1_Ev13rocblas_fill_18rocblas_operation_17rocblas_diagonal_iiT3_T4_lilT5_lili.num_vgpr, 29
	.set _ZL30rocblas_trsm_small_left_deviceILi20ELi20ELb1E19rocblas_complex_numIdES1_PKPKS1_PKPS1_Ev13rocblas_fill_18rocblas_operation_17rocblas_diagonal_iiT3_T4_lilT5_lili.num_agpr, 0
	.set _ZL30rocblas_trsm_small_left_deviceILi20ELi20ELb1E19rocblas_complex_numIdES1_PKPKS1_PKPS1_Ev13rocblas_fill_18rocblas_operation_17rocblas_diagonal_iiT3_T4_lilT5_lili.numbered_sgpr, 46
	.set _ZL30rocblas_trsm_small_left_deviceILi20ELi20ELb1E19rocblas_complex_numIdES1_PKPKS1_PKPS1_Ev13rocblas_fill_18rocblas_operation_17rocblas_diagonal_iiT3_T4_lilT5_lili.num_named_barrier, 0
	.set _ZL30rocblas_trsm_small_left_deviceILi20ELi20ELb1E19rocblas_complex_numIdES1_PKPKS1_PKPS1_Ev13rocblas_fill_18rocblas_operation_17rocblas_diagonal_iiT3_T4_lilT5_lili.private_seg_size, 336
	.set _ZL30rocblas_trsm_small_left_deviceILi20ELi20ELb1E19rocblas_complex_numIdES1_PKPKS1_PKPS1_Ev13rocblas_fill_18rocblas_operation_17rocblas_diagonal_iiT3_T4_lilT5_lili.uses_vcc, 1
	.set _ZL30rocblas_trsm_small_left_deviceILi20ELi20ELb1E19rocblas_complex_numIdES1_PKPKS1_PKPS1_Ev13rocblas_fill_18rocblas_operation_17rocblas_diagonal_iiT3_T4_lilT5_lili.uses_flat_scratch, 0
	.set _ZL30rocblas_trsm_small_left_deviceILi20ELi20ELb1E19rocblas_complex_numIdES1_PKPKS1_PKPS1_Ev13rocblas_fill_18rocblas_operation_17rocblas_diagonal_iiT3_T4_lilT5_lili.has_dyn_sized_stack, 0
	.set _ZL30rocblas_trsm_small_left_deviceILi20ELi20ELb1E19rocblas_complex_numIdES1_PKPKS1_PKPS1_Ev13rocblas_fill_18rocblas_operation_17rocblas_diagonal_iiT3_T4_lilT5_lili.has_recursion, 0
	.set _ZL30rocblas_trsm_small_left_deviceILi20ELi20ELb1E19rocblas_complex_numIdES1_PKPKS1_PKPS1_Ev13rocblas_fill_18rocblas_operation_17rocblas_diagonal_iiT3_T4_lilT5_lili.has_indirect_call, 0
	.section	.AMDGPU.csdata,"",@progbits
; Kernel info:
; codeLenInByte = 3144
; TotalNumSgprs: 48
; NumVgprs: 29
; ScratchSize: 336
; MemoryBound: 0
; FloatMode: 240
; IeeeMode: 1
; LDSByteSize: 6400 bytes/workgroup (compile time only)
; SGPRBlocks: 0
; VGPRBlocks: 30
; NumSGPRsForWavesPerEU: 48
; NumVGPRsForWavesPerEU: 241
; Occupancy: 5
; WaveLimiterHint : 1
; COMPUTE_PGM_RSRC2:SCRATCH_EN: 1
; COMPUTE_PGM_RSRC2:USER_SGPR: 2
; COMPUTE_PGM_RSRC2:TRAP_HANDLER: 0
; COMPUTE_PGM_RSRC2:TGID_X_EN: 1
; COMPUTE_PGM_RSRC2:TGID_Y_EN: 0
; COMPUTE_PGM_RSRC2:TGID_Z_EN: 1
; COMPUTE_PGM_RSRC2:TIDIG_COMP_CNT: 0
	.section	.text._ZL31rocblas_trsm_small_right_deviceI19rocblas_complex_numIdES1_PKPKS1_PKPS1_Li20EEv13rocblas_fill_18rocblas_operation_17rocblas_diagonal_iiT0_T1_lilT2_lili,"axG",@progbits,_ZL31rocblas_trsm_small_right_deviceI19rocblas_complex_numIdES1_PKPKS1_PKPS1_Li20EEv13rocblas_fill_18rocblas_operation_17rocblas_diagonal_iiT0_T1_lilT2_lili,comdat
	.globl	_ZL31rocblas_trsm_small_right_deviceI19rocblas_complex_numIdES1_PKPKS1_PKPS1_Li20EEv13rocblas_fill_18rocblas_operation_17rocblas_diagonal_iiT0_T1_lilT2_lili ; -- Begin function _ZL31rocblas_trsm_small_right_deviceI19rocblas_complex_numIdES1_PKPKS1_PKPS1_Li20EEv13rocblas_fill_18rocblas_operation_17rocblas_diagonal_iiT0_T1_lilT2_lili
	.p2align	8
	.type	_ZL31rocblas_trsm_small_right_deviceI19rocblas_complex_numIdES1_PKPKS1_PKPS1_Li20EEv13rocblas_fill_18rocblas_operation_17rocblas_diagonal_iiT0_T1_lilT2_lili,@function
_ZL31rocblas_trsm_small_right_deviceI19rocblas_complex_numIdES1_PKPKS1_PKPS1_Li20EEv13rocblas_fill_18rocblas_operation_17rocblas_diagonal_iiT0_T1_lilT2_lili: ; @_ZL31rocblas_trsm_small_right_deviceI19rocblas_complex_numIdES1_PKPKS1_PKPS1_Li20EEv13rocblas_fill_18rocblas_operation_17rocblas_diagonal_iiT0_T1_lilT2_lili
; %bb.0:
	s_load_b32 s24, s[0:1], 0x68
	s_lshr_b32 s2, ttmp7, 16
	s_wait_kmcnt 0x0
	s_cmp_ge_u32 s2, s24
	s_cbranch_scc1 .LBB223_146
; %bb.1:
	s_clause 0x6
	s_load_b32 s20, s[0:1], 0x38
	s_load_b32 s34, s[0:1], 0x58
	s_load_b128 s[16:19], s[0:1], 0x0
	s_load_b32 s25, s[0:1], 0x10
	s_load_b32 s3, s[0:1], 0x70
	s_load_b128 s[12:15], s[0:1], 0x48
	s_load_b256 s[4:11], s[0:1], 0x18
	s_mul_i32 s1, ttmp9, 0xffffffec
	v_dual_mov_b32 v1, 0 :: v_dual_lshlrev_b32 v32, 4, v0
	s_mov_b32 s22, ttmp9
	v_mul_u32_u24_e32 v2, 0x140, v0
	s_delay_alu instid0(VALU_DEP_2) | instskip(NEXT) | instid1(VALU_DEP_2)
	v_add_nc_u32_e32 v27, 0x1900, v32
	v_dual_mov_b32 v2, 0x3ff00000 :: v_dual_add_nc_u32 v39, v32, v2
	s_wait_kmcnt 0x0
	s_ashr_i32 s21, s20, 31
	s_ashr_i32 s35, s34, 31
	s_cmp_lg_u32 s16, 0x7a
	s_cselect_b32 s29, -1, 0
	s_cmp_eq_u32 s17, 0x71
	s_cselect_b32 s0, -1, 0
	s_min_i32 s26, s25, 20
	s_add_co_i32 s3, s3, -1
	s_add_co_i32 s1, s19, s1
	s_add_co_i32 s27, s26, -1
	s_cmp_ge_u32 ttmp9, s3
	s_mul_i32 s33, s26, 0x140
	s_cselect_b32 s19, s1, 20
	s_ashr_i32 s23, ttmp9, 31
	s_cmp_eq_u32 s18, 0x84
	v_cmp_gt_i32_e32 vcc_lo, s19, v0
	s_cselect_b32 s28, -1, 0
	s_cmp_gt_i32 s25, 0
	v_cmp_gt_i32_e64 s1, s26, v0
	s_cselect_b32 s18, -1, 0
	s_cmp_lg_u32 s17, 0x6f
	v_add3_u32 v38, s33, v32, 0x17c0
	s_cselect_b32 s17, -1, 0
	s_cmp_lg_u32 s16, 0x79
	v_lshlrev_b32_e32 v0, 4, v0
	s_cselect_b32 s16, -1, 0
	s_or_b32 s29, s29, s17
	s_or_b32 s30, s16, s17
	s_cmp_gt_i32 s25, 3
	v_cndmask_b32_e64 v33, 0, 1, s16
	s_mul_u64 s[16:17], s[22:23], 0x140
	s_cselect_b32 s22, -1, 0
	s_wait_alu 0xfffe
	s_and_b32 s23, vcc_lo, s18
	s_lshl_b64 s[18:19], s[10:11], 4
	s_lshl_b64 s[10:11], s[14:15], 4
	s_wait_alu 0xfffe
	v_add_co_u32 v3, s14, s18, v32
	s_delay_alu instid0(VALU_DEP_1)
	v_add_co_ci_u32_e64 v34, null, s19, 0, s14
	s_add_nc_u64 s[18:19], s[16:17], s[10:11]
	v_or_b32_e32 v35, 8, v3
	s_wait_alu 0xfffe
	v_add_co_u32 v4, s18, s18, v32
	s_wait_alu 0xf1ff
	v_add_co_ci_u32_e64 v36, null, s19, 0, s18
	s_lshl_b64 s[18:19], s[34:35], 4
	v_or_b32_e32 v37, 8, v4
	s_mul_i32 s34, s26, 0x150
	s_lshl_b32 s35, s26, 4
	s_mov_b32 s3, 0
	s_lshl_b64 s[14:15], s[20:21], 4
	s_add_co_i32 s31, s34, 0xfffffe80
	s_addk_co_i32 s33, 0xfec0
	s_addk_co_i32 s34, 0xfaf0
	s_add_co_i32 s35, s35, -16
	s_branch .LBB223_3
.LBB223_2:                              ;   in Loop: Header=BB223_3 Depth=1
	s_wait_alu 0xfffe
	s_or_b32 exec_lo, exec_lo, s20
	s_add_co_i32 s2, s2, 0x10000
	s_delay_alu instid0(SALU_CYCLE_1)
	s_cmp_lt_u32 s2, s24
	s_cbranch_scc0 .LBB223_146
.LBB223_3:                              ; =>This Loop Header: Depth=1
                                        ;     Child Loop BB223_5 Depth 2
                                        ;     Child Loop BB223_10 Depth 2
	;; [unrolled: 1-line block ×3, first 2 shown]
                                        ;       Child Loop BB223_17 Depth 3
                                        ;     Child Loop BB223_39 Depth 2
                                        ;       Child Loop BB223_40 Depth 3
                                        ;     Child Loop BB223_48 Depth 2
	;; [unrolled: 2-line block ×8, first 2 shown]
	s_lshl_b64 s[20:21], s[2:3], 3
	s_wait_alu 0xfffe
	s_add_nc_u64 s[36:37], s[12:13], s[20:21]
	global_load_b64 v[28:29], v1, s[36:37]
	s_and_saveexec_b32 s36, s1
	s_cbranch_execz .LBB223_8
; %bb.4:                                ;   in Loop: Header=BB223_3 Depth=1
	s_add_nc_u64 s[20:21], s[8:9], s[20:21]
	v_mov_b32_e32 v5, v32
	global_load_b64 v[3:4], v1, s[20:21]
	s_mov_b32 s20, s26
	s_wait_loadcnt 0x0
	v_add_co_u32 v3, vcc_lo, v3, v35
	s_wait_alu 0xfffd
	v_add_co_ci_u32_e64 v4, null, v4, v34, vcc_lo
.LBB223_5:                              ;   Parent Loop BB223_3 Depth=1
                                        ; =>  This Inner Loop Header: Depth=2
	flat_load_b128 v[6:9], v[3:4] offset:-8
	s_wait_alu 0xfffe
	v_add_co_u32 v3, vcc_lo, v3, s14
	s_wait_alu 0xfffd
	v_add_co_ci_u32_e64 v4, null, s15, v4, vcc_lo
	s_add_co_i32 s20, s20, -1
	s_wait_alu 0xfffe
	s_cmp_eq_u32 s20, 0
	s_wait_loadcnt_dscnt 0x0
	v_xor_b32_e32 v10, 0x80000000, v9
	s_delay_alu instid0(VALU_DEP_1)
	v_cndmask_b32_e64 v9, v9, v10, s0
	ds_store_b128 v5, v[6:9]
	v_add_nc_u32_e32 v5, 0x140, v5
	s_cbranch_scc0 .LBB223_5
; %bb.6:                                ;   in Loop: Header=BB223_3 Depth=1
	s_and_b32 vcc_lo, exec_lo, s28
	s_wait_alu 0xfffe
	s_cbranch_vccz .LBB223_8
; %bb.7:                                ;   in Loop: Header=BB223_3 Depth=1
	v_dual_mov_b32 v3, v1 :: v_dual_mov_b32 v4, v1
	ds_store_b128 v39, v[1:4]
.LBB223_8:                              ;   in Loop: Header=BB223_3 Depth=1
	s_wait_alu 0xfffe
	s_or_b32 exec_lo, exec_lo, s36
	s_and_saveexec_b32 s20, s23
	s_cbranch_execz .LBB223_11
; %bb.9:                                ;   in Loop: Header=BB223_3 Depth=1
	s_wait_loadcnt 0x0
	v_add_co_u32 v3, vcc_lo, v28, v37
	s_wait_alu 0xfffd
	v_add_co_ci_u32_e64 v4, null, v29, v36, vcc_lo
	v_mov_b32_e32 v5, v27
	s_mov_b32 s21, s25
.LBB223_10:                             ;   Parent Loop BB223_3 Depth=1
                                        ; =>  This Inner Loop Header: Depth=2
	flat_load_b128 v[6:9], v[3:4] offset:-8
	s_wait_alu 0xfffe
	v_add_co_u32 v3, vcc_lo, v3, s18
	s_wait_alu 0xfffd
	v_add_co_ci_u32_e64 v4, null, s19, v4, vcc_lo
	s_add_co_i32 s21, s21, -1
	s_wait_alu 0xfffe
	s_cmp_lg_u32 s21, 0
	s_wait_loadcnt_dscnt 0x0
	v_mul_f64_e32 v[10:11], s[6:7], v[8:9]
	v_mul_f64_e32 v[12:13], s[4:5], v[8:9]
	s_delay_alu instid0(VALU_DEP_2) | instskip(NEXT) | instid1(VALU_DEP_2)
	v_fma_f64 v[8:9], s[4:5], v[6:7], -v[10:11]
	v_fma_f64 v[10:11], s[6:7], v[6:7], v[12:13]
	ds_store_b128 v5, v[8:11]
	v_add_nc_u32_e32 v5, 0x140, v5
	s_cbranch_scc1 .LBB223_10
.LBB223_11:                             ;   in Loop: Header=BB223_3 Depth=1
	s_wait_alu 0xfffe
	s_or_b32 exec_lo, exec_lo, s20
	s_delay_alu instid0(SALU_CYCLE_1)
	s_and_b32 vcc_lo, exec_lo, s30
	s_mov_b32 s20, -1
	; wave barrier
	s_wait_loadcnt_dscnt 0x0
	global_inv scope:SCOPE_SE
	s_wait_alu 0xfffe
	s_cbranch_vccz .LBB223_111
; %bb.12:                               ;   in Loop: Header=BB223_3 Depth=1
	s_and_b32 vcc_lo, exec_lo, s29
	s_wait_alu 0xfffe
	s_cbranch_vccz .LBB223_79
; %bb.13:                               ;   in Loop: Header=BB223_3 Depth=1
	v_cmp_ne_u32_e32 vcc_lo, 1, v33
	s_cbranch_vccnz .LBB223_46
; %bb.14:                               ;   in Loop: Header=BB223_3 Depth=1
	s_and_not1_b32 vcc_lo, exec_lo, s22
	s_mov_b32 s36, 0
	s_wait_alu 0xfffe
	s_cbranch_vccnz .LBB223_36
; %bb.15:                               ;   in Loop: Header=BB223_3 Depth=1
	s_mov_b32 s20, 0
	s_mov_b32 s21, 0
.LBB223_16:                             ;   Parent Loop BB223_3 Depth=1
                                        ; =>  This Loop Header: Depth=2
                                        ;       Child Loop BB223_17 Depth 3
	s_wait_alu 0xfffe
	v_mad_co_u64_u32 v[30:31], null, 0x140, s21, v[27:28]
	s_or_b32 s36, s21, 3
	v_mov_b32_e32 v11, v27
	s_wait_alu 0xfffe
	s_mulk_i32 s36, 0x140
	s_cmp_eq_u32 s21, 0
	s_wait_alu 0xfffe
	v_add_nc_u32_e32 v31, s36, v27
	s_mov_b32 s36, s20
	ds_load_b128 v[19:22], v30
	ds_load_b128 v[15:18], v30 offset:320
	ds_load_b128 v[7:10], v30 offset:640
	ds_load_b128 v[3:6], v31
	s_mov_b32 s37, s21
	s_cbranch_scc1 .LBB223_18
.LBB223_17:                             ;   Parent Loop BB223_3 Depth=1
                                        ;     Parent Loop BB223_16 Depth=2
                                        ; =>    This Inner Loop Header: Depth=3
	s_wait_alu 0xfffe
	v_mov_b32_e32 v12, s36
	s_add_co_i32 s37, s37, -1
	s_addk_co_i32 s36, 0x140
	s_wait_alu 0xfffe
	s_cmp_eq_u32 s37, 0
	ds_load_b128 v[23:26], v11
	ds_load_b128 v[40:43], v12
	ds_load_b128 v[44:47], v12 offset:16
	ds_load_b128 v[48:51], v12 offset:32
	;; [unrolled: 1-line block ×3, first 2 shown]
	v_add_nc_u32_e32 v11, 0x140, v11
	s_wait_dscnt 0x3
	v_mul_f64_e32 v[12:13], v[25:26], v[42:43]
	v_mul_f64_e32 v[42:43], v[23:24], v[42:43]
	s_wait_dscnt 0x2
	v_mul_f64_e32 v[56:57], v[25:26], v[46:47]
	v_mul_f64_e32 v[46:47], v[23:24], v[46:47]
	;; [unrolled: 3-line block ×4, first 2 shown]
	v_fma_f64 v[12:13], v[23:24], v[40:41], -v[12:13]
	v_fma_f64 v[40:41], v[25:26], v[40:41], v[42:43]
	v_fma_f64 v[42:43], v[23:24], v[44:45], -v[56:57]
	v_fma_f64 v[44:45], v[25:26], v[44:45], v[46:47]
	;; [unrolled: 2-line block ×4, first 2 shown]
	v_add_f64_e64 v[19:20], v[19:20], -v[12:13]
	v_add_f64_e64 v[21:22], v[21:22], -v[40:41]
	;; [unrolled: 1-line block ×8, first 2 shown]
	s_cbranch_scc0 .LBB223_17
.LBB223_18:                             ;   in Loop: Header=BB223_16 Depth=2
	s_lshl_b32 s36, s21, 4
	s_mul_i32 s37, s21, 0x140
	s_wait_alu 0xfffe
	s_add_co_i32 s37, s36, s37
	s_wait_alu 0xfffe
	v_mov_b32_e32 v11, s37
	ds_load_b128 v[23:26], v11
                                        ; implicit-def: $vgpr13_vgpr14
	s_wait_dscnt 0x0
	v_cmp_ngt_f64_e64 s38, |v[23:24]|, |v[25:26]|
	s_and_b32 vcc_lo, exec_lo, s38
	s_mov_b32 s38, -1
	s_wait_alu 0xfffe
	s_cbranch_vccz .LBB223_20
; %bb.19:                               ;   in Loop: Header=BB223_16 Depth=2
	v_div_scale_f64 v[11:12], null, v[25:26], v[25:26], v[23:24]
	v_div_scale_f64 v[42:43], vcc_lo, v[23:24], v[25:26], v[23:24]
	s_mov_b32 s38, 0
	v_rcp_f64_e32 v[13:14], v[11:12]
	s_delay_alu instid0(TRANS32_DEP_1) | instskip(NEXT) | instid1(VALU_DEP_1)
	v_fma_f64 v[40:41], -v[11:12], v[13:14], 1.0
	v_fma_f64 v[13:14], v[13:14], v[40:41], v[13:14]
	s_delay_alu instid0(VALU_DEP_1) | instskip(NEXT) | instid1(VALU_DEP_1)
	v_fma_f64 v[40:41], -v[11:12], v[13:14], 1.0
	v_fma_f64 v[13:14], v[13:14], v[40:41], v[13:14]
	s_delay_alu instid0(VALU_DEP_1) | instskip(NEXT) | instid1(VALU_DEP_1)
	v_mul_f64_e32 v[40:41], v[42:43], v[13:14]
	v_fma_f64 v[11:12], -v[11:12], v[40:41], v[42:43]
	s_wait_alu 0xfffd
	s_delay_alu instid0(VALU_DEP_1) | instskip(NEXT) | instid1(VALU_DEP_1)
	v_div_fmas_f64 v[11:12], v[11:12], v[13:14], v[40:41]
	v_div_fixup_f64 v[11:12], v[11:12], v[25:26], v[23:24]
	s_delay_alu instid0(VALU_DEP_1) | instskip(NEXT) | instid1(VALU_DEP_1)
	v_fma_f64 v[13:14], v[23:24], v[11:12], v[25:26]
	v_div_scale_f64 v[40:41], null, v[13:14], v[13:14], 1.0
	v_div_scale_f64 v[46:47], vcc_lo, 1.0, v[13:14], 1.0
	s_delay_alu instid0(VALU_DEP_2) | instskip(NEXT) | instid1(TRANS32_DEP_1)
	v_rcp_f64_e32 v[42:43], v[40:41]
	v_fma_f64 v[44:45], -v[40:41], v[42:43], 1.0
	s_delay_alu instid0(VALU_DEP_1) | instskip(NEXT) | instid1(VALU_DEP_1)
	v_fma_f64 v[42:43], v[42:43], v[44:45], v[42:43]
	v_fma_f64 v[44:45], -v[40:41], v[42:43], 1.0
	s_delay_alu instid0(VALU_DEP_1) | instskip(NEXT) | instid1(VALU_DEP_1)
	v_fma_f64 v[42:43], v[42:43], v[44:45], v[42:43]
	v_mul_f64_e32 v[44:45], v[46:47], v[42:43]
	s_delay_alu instid0(VALU_DEP_1) | instskip(SKIP_1) | instid1(VALU_DEP_1)
	v_fma_f64 v[40:41], -v[40:41], v[44:45], v[46:47]
	s_wait_alu 0xfffd
	v_div_fmas_f64 v[40:41], v[40:41], v[42:43], v[44:45]
	v_fma_f64 v[42:43], v[19:20], v[11:12], v[21:22]
	s_delay_alu instid0(VALU_DEP_2) | instskip(SKIP_1) | instid1(VALU_DEP_2)
	v_div_fixup_f64 v[13:14], v[40:41], v[13:14], 1.0
	v_fma_f64 v[40:41], v[21:22], v[11:12], -v[19:20]
	v_mul_f64_e32 v[11:12], v[42:43], v[13:14]
	s_delay_alu instid0(VALU_DEP_2)
	v_mul_f64_e32 v[13:14], v[40:41], v[13:14]
.LBB223_20:                             ;   in Loop: Header=BB223_16 Depth=2
	s_wait_alu 0xfffe
	s_and_not1_b32 vcc_lo, exec_lo, s38
	s_wait_alu 0xfffe
	s_cbranch_vccnz .LBB223_22
; %bb.21:                               ;   in Loop: Header=BB223_16 Depth=2
	v_div_scale_f64 v[11:12], null, v[23:24], v[23:24], v[25:26]
	v_div_scale_f64 v[42:43], vcc_lo, v[25:26], v[23:24], v[25:26]
	s_delay_alu instid0(VALU_DEP_2) | instskip(NEXT) | instid1(TRANS32_DEP_1)
	v_rcp_f64_e32 v[13:14], v[11:12]
	v_fma_f64 v[40:41], -v[11:12], v[13:14], 1.0
	s_delay_alu instid0(VALU_DEP_1) | instskip(NEXT) | instid1(VALU_DEP_1)
	v_fma_f64 v[13:14], v[13:14], v[40:41], v[13:14]
	v_fma_f64 v[40:41], -v[11:12], v[13:14], 1.0
	s_delay_alu instid0(VALU_DEP_1) | instskip(NEXT) | instid1(VALU_DEP_1)
	v_fma_f64 v[13:14], v[13:14], v[40:41], v[13:14]
	v_mul_f64_e32 v[40:41], v[42:43], v[13:14]
	s_delay_alu instid0(VALU_DEP_1) | instskip(SKIP_1) | instid1(VALU_DEP_1)
	v_fma_f64 v[11:12], -v[11:12], v[40:41], v[42:43]
	s_wait_alu 0xfffd
	v_div_fmas_f64 v[11:12], v[11:12], v[13:14], v[40:41]
	s_delay_alu instid0(VALU_DEP_1) | instskip(NEXT) | instid1(VALU_DEP_1)
	v_div_fixup_f64 v[11:12], v[11:12], v[23:24], v[25:26]
	v_fma_f64 v[13:14], v[25:26], v[11:12], v[23:24]
	s_delay_alu instid0(VALU_DEP_1) | instskip(SKIP_1) | instid1(VALU_DEP_2)
	v_div_scale_f64 v[23:24], null, v[13:14], v[13:14], 1.0
	v_div_scale_f64 v[42:43], vcc_lo, 1.0, v[13:14], 1.0
	v_rcp_f64_e32 v[25:26], v[23:24]
	s_delay_alu instid0(TRANS32_DEP_1) | instskip(NEXT) | instid1(VALU_DEP_1)
	v_fma_f64 v[40:41], -v[23:24], v[25:26], 1.0
	v_fma_f64 v[25:26], v[25:26], v[40:41], v[25:26]
	s_delay_alu instid0(VALU_DEP_1) | instskip(NEXT) | instid1(VALU_DEP_1)
	v_fma_f64 v[40:41], -v[23:24], v[25:26], 1.0
	v_fma_f64 v[25:26], v[25:26], v[40:41], v[25:26]
	s_delay_alu instid0(VALU_DEP_1) | instskip(NEXT) | instid1(VALU_DEP_1)
	v_mul_f64_e32 v[40:41], v[42:43], v[25:26]
	v_fma_f64 v[23:24], -v[23:24], v[40:41], v[42:43]
	s_wait_alu 0xfffd
	s_delay_alu instid0(VALU_DEP_1) | instskip(SKIP_2) | instid1(VALU_DEP_3)
	v_div_fmas_f64 v[23:24], v[23:24], v[25:26], v[40:41]
	v_fma_f64 v[25:26], v[21:22], v[11:12], v[19:20]
	v_fma_f64 v[19:20], -v[19:20], v[11:12], v[21:22]
	v_div_fixup_f64 v[13:14], v[23:24], v[13:14], 1.0
	s_delay_alu instid0(VALU_DEP_1) | instskip(NEXT) | instid1(VALU_DEP_3)
	v_mul_f64_e32 v[11:12], v[25:26], v[13:14]
	v_mul_f64_e32 v[13:14], v[19:20], v[13:14]
.LBB223_22:                             ;   in Loop: Header=BB223_16 Depth=2
	v_mov_b32_e32 v19, s37
	ds_load_b128 v[23:26], v19 offset:16
	ds_load_b128 v[19:22], v19 offset:336
	ds_store_b128 v30, v[11:14]
	s_wait_dscnt 0x2
	v_mul_f64_e32 v[40:41], v[13:14], v[25:26]
	v_mul_f64_e32 v[25:26], v[11:12], v[25:26]
	s_wait_dscnt 0x1
	v_cmp_ngt_f64_e64 s38, |v[19:20]|, |v[21:22]|
	s_delay_alu instid0(VALU_DEP_3) | instskip(NEXT) | instid1(VALU_DEP_3)
	v_fma_f64 v[40:41], v[11:12], v[23:24], -v[40:41]
	v_fma_f64 v[25:26], v[13:14], v[23:24], v[25:26]
	s_and_b32 vcc_lo, exec_lo, s38
	s_mov_b32 s38, -1
	s_delay_alu instid0(VALU_DEP_2) | instskip(NEXT) | instid1(VALU_DEP_2)
	v_add_f64_e64 v[23:24], v[15:16], -v[40:41]
	v_add_f64_e64 v[25:26], v[17:18], -v[25:26]
                                        ; implicit-def: $vgpr17_vgpr18
	s_wait_alu 0xfffe
	s_cbranch_vccz .LBB223_24
; %bb.23:                               ;   in Loop: Header=BB223_16 Depth=2
	v_div_scale_f64 v[15:16], null, v[21:22], v[21:22], v[19:20]
	v_div_scale_f64 v[42:43], vcc_lo, v[19:20], v[21:22], v[19:20]
	s_mov_b32 s38, 0
	v_rcp_f64_e32 v[17:18], v[15:16]
	s_delay_alu instid0(TRANS32_DEP_1) | instskip(NEXT) | instid1(VALU_DEP_1)
	v_fma_f64 v[40:41], -v[15:16], v[17:18], 1.0
	v_fma_f64 v[17:18], v[17:18], v[40:41], v[17:18]
	s_delay_alu instid0(VALU_DEP_1) | instskip(NEXT) | instid1(VALU_DEP_1)
	v_fma_f64 v[40:41], -v[15:16], v[17:18], 1.0
	v_fma_f64 v[17:18], v[17:18], v[40:41], v[17:18]
	s_delay_alu instid0(VALU_DEP_1) | instskip(NEXT) | instid1(VALU_DEP_1)
	v_mul_f64_e32 v[40:41], v[42:43], v[17:18]
	v_fma_f64 v[15:16], -v[15:16], v[40:41], v[42:43]
	s_wait_alu 0xfffd
	s_delay_alu instid0(VALU_DEP_1) | instskip(NEXT) | instid1(VALU_DEP_1)
	v_div_fmas_f64 v[15:16], v[15:16], v[17:18], v[40:41]
	v_div_fixup_f64 v[15:16], v[15:16], v[21:22], v[19:20]
	s_delay_alu instid0(VALU_DEP_1) | instskip(NEXT) | instid1(VALU_DEP_1)
	v_fma_f64 v[17:18], v[19:20], v[15:16], v[21:22]
	v_div_scale_f64 v[40:41], null, v[17:18], v[17:18], 1.0
	v_div_scale_f64 v[46:47], vcc_lo, 1.0, v[17:18], 1.0
	s_delay_alu instid0(VALU_DEP_2) | instskip(NEXT) | instid1(TRANS32_DEP_1)
	v_rcp_f64_e32 v[42:43], v[40:41]
	v_fma_f64 v[44:45], -v[40:41], v[42:43], 1.0
	s_delay_alu instid0(VALU_DEP_1) | instskip(NEXT) | instid1(VALU_DEP_1)
	v_fma_f64 v[42:43], v[42:43], v[44:45], v[42:43]
	v_fma_f64 v[44:45], -v[40:41], v[42:43], 1.0
	s_delay_alu instid0(VALU_DEP_1) | instskip(NEXT) | instid1(VALU_DEP_1)
	v_fma_f64 v[42:43], v[42:43], v[44:45], v[42:43]
	v_mul_f64_e32 v[44:45], v[46:47], v[42:43]
	s_delay_alu instid0(VALU_DEP_1) | instskip(SKIP_1) | instid1(VALU_DEP_1)
	v_fma_f64 v[40:41], -v[40:41], v[44:45], v[46:47]
	s_wait_alu 0xfffd
	v_div_fmas_f64 v[40:41], v[40:41], v[42:43], v[44:45]
	v_fma_f64 v[42:43], v[15:16], v[23:24], v[25:26]
	s_delay_alu instid0(VALU_DEP_2) | instskip(SKIP_1) | instid1(VALU_DEP_2)
	v_div_fixup_f64 v[17:18], v[40:41], v[17:18], 1.0
	v_fma_f64 v[40:41], v[15:16], v[25:26], -v[23:24]
	v_mul_f64_e32 v[15:16], v[42:43], v[17:18]
	s_delay_alu instid0(VALU_DEP_2)
	v_mul_f64_e32 v[17:18], v[40:41], v[17:18]
.LBB223_24:                             ;   in Loop: Header=BB223_16 Depth=2
	s_wait_alu 0xfffe
	s_and_not1_b32 vcc_lo, exec_lo, s38
	s_wait_alu 0xfffe
	s_cbranch_vccnz .LBB223_26
; %bb.25:                               ;   in Loop: Header=BB223_16 Depth=2
	v_div_scale_f64 v[15:16], null, v[19:20], v[19:20], v[21:22]
	v_div_scale_f64 v[42:43], vcc_lo, v[21:22], v[19:20], v[21:22]
	s_delay_alu instid0(VALU_DEP_2) | instskip(NEXT) | instid1(TRANS32_DEP_1)
	v_rcp_f64_e32 v[17:18], v[15:16]
	v_fma_f64 v[40:41], -v[15:16], v[17:18], 1.0
	s_delay_alu instid0(VALU_DEP_1) | instskip(NEXT) | instid1(VALU_DEP_1)
	v_fma_f64 v[17:18], v[17:18], v[40:41], v[17:18]
	v_fma_f64 v[40:41], -v[15:16], v[17:18], 1.0
	s_delay_alu instid0(VALU_DEP_1) | instskip(NEXT) | instid1(VALU_DEP_1)
	v_fma_f64 v[17:18], v[17:18], v[40:41], v[17:18]
	v_mul_f64_e32 v[40:41], v[42:43], v[17:18]
	s_delay_alu instid0(VALU_DEP_1) | instskip(SKIP_1) | instid1(VALU_DEP_1)
	v_fma_f64 v[15:16], -v[15:16], v[40:41], v[42:43]
	s_wait_alu 0xfffd
	v_div_fmas_f64 v[15:16], v[15:16], v[17:18], v[40:41]
	s_delay_alu instid0(VALU_DEP_1) | instskip(NEXT) | instid1(VALU_DEP_1)
	v_div_fixup_f64 v[15:16], v[15:16], v[19:20], v[21:22]
	v_fma_f64 v[17:18], v[21:22], v[15:16], v[19:20]
	s_delay_alu instid0(VALU_DEP_1) | instskip(SKIP_1) | instid1(VALU_DEP_2)
	v_div_scale_f64 v[19:20], null, v[17:18], v[17:18], 1.0
	v_div_scale_f64 v[42:43], vcc_lo, 1.0, v[17:18], 1.0
	v_rcp_f64_e32 v[21:22], v[19:20]
	s_delay_alu instid0(TRANS32_DEP_1) | instskip(NEXT) | instid1(VALU_DEP_1)
	v_fma_f64 v[40:41], -v[19:20], v[21:22], 1.0
	v_fma_f64 v[21:22], v[21:22], v[40:41], v[21:22]
	s_delay_alu instid0(VALU_DEP_1) | instskip(NEXT) | instid1(VALU_DEP_1)
	v_fma_f64 v[40:41], -v[19:20], v[21:22], 1.0
	v_fma_f64 v[21:22], v[21:22], v[40:41], v[21:22]
	s_delay_alu instid0(VALU_DEP_1) | instskip(NEXT) | instid1(VALU_DEP_1)
	v_mul_f64_e32 v[40:41], v[42:43], v[21:22]
	v_fma_f64 v[19:20], -v[19:20], v[40:41], v[42:43]
	s_wait_alu 0xfffd
	s_delay_alu instid0(VALU_DEP_1) | instskip(SKIP_1) | instid1(VALU_DEP_2)
	v_div_fmas_f64 v[19:20], v[19:20], v[21:22], v[40:41]
	v_fma_f64 v[21:22], v[15:16], v[25:26], v[23:24]
	v_div_fixup_f64 v[17:18], v[19:20], v[17:18], 1.0
	v_fma_f64 v[19:20], -v[15:16], v[23:24], v[25:26]
	s_delay_alu instid0(VALU_DEP_2) | instskip(NEXT) | instid1(VALU_DEP_2)
	v_mul_f64_e32 v[15:16], v[21:22], v[17:18]
	v_mul_f64_e32 v[17:18], v[19:20], v[17:18]
.LBB223_26:                             ;   in Loop: Header=BB223_16 Depth=2
	s_add_co_i32 s38, s37, 0x150
	s_or_b32 s39, s36, 16
	s_wait_alu 0xfffe
	s_sub_co_i32 s39, s38, s39
	s_wait_alu 0xfffe
	s_add_co_i32 s39, s39, s36
	s_wait_alu 0xfffe
	v_dual_mov_b32 v19, s37 :: v_dual_mov_b32 v40, s39
	ds_load_b128 v[23:26], v19 offset:32
	ds_load_b128 v[19:22], v19 offset:672
	;; [unrolled: 1-line block ×3, first 2 shown]
	ds_store_b128 v30, v[15:18] offset:320
	s_wait_dscnt 0x3
	v_mul_f64_e32 v[44:45], v[13:14], v[25:26]
	v_mul_f64_e32 v[25:26], v[11:12], v[25:26]
	s_wait_dscnt 0x1
	v_mul_f64_e32 v[46:47], v[17:18], v[42:43]
	v_mul_f64_e32 v[42:43], v[15:16], v[42:43]
	v_cmp_ngt_f64_e64 s40, |v[19:20]|, |v[21:22]|
	v_fma_f64 v[44:45], v[11:12], v[23:24], -v[44:45]
	v_fma_f64 v[23:24], v[13:14], v[23:24], v[25:26]
	v_fma_f64 v[25:26], v[15:16], v[40:41], -v[46:47]
	v_fma_f64 v[40:41], v[17:18], v[40:41], v[42:43]
	s_and_b32 vcc_lo, exec_lo, s40
	s_mov_b32 s40, -1
	s_delay_alu instid0(VALU_DEP_4) | instskip(NEXT) | instid1(VALU_DEP_4)
	v_add_f64_e64 v[7:8], v[7:8], -v[44:45]
	v_add_f64_e64 v[9:10], v[9:10], -v[23:24]
	s_delay_alu instid0(VALU_DEP_2) | instskip(NEXT) | instid1(VALU_DEP_2)
	v_add_f64_e64 v[23:24], v[7:8], -v[25:26]
	v_add_f64_e64 v[25:26], v[9:10], -v[40:41]
                                        ; implicit-def: $vgpr9_vgpr10
	s_wait_alu 0xfffe
	s_cbranch_vccz .LBB223_28
; %bb.27:                               ;   in Loop: Header=BB223_16 Depth=2
	v_div_scale_f64 v[7:8], null, v[21:22], v[21:22], v[19:20]
	v_div_scale_f64 v[42:43], vcc_lo, v[19:20], v[21:22], v[19:20]
	s_mov_b32 s40, 0
	v_rcp_f64_e32 v[9:10], v[7:8]
	s_delay_alu instid0(TRANS32_DEP_1) | instskip(NEXT) | instid1(VALU_DEP_1)
	v_fma_f64 v[40:41], -v[7:8], v[9:10], 1.0
	v_fma_f64 v[9:10], v[9:10], v[40:41], v[9:10]
	s_delay_alu instid0(VALU_DEP_1) | instskip(NEXT) | instid1(VALU_DEP_1)
	v_fma_f64 v[40:41], -v[7:8], v[9:10], 1.0
	v_fma_f64 v[9:10], v[9:10], v[40:41], v[9:10]
	s_delay_alu instid0(VALU_DEP_1) | instskip(NEXT) | instid1(VALU_DEP_1)
	v_mul_f64_e32 v[40:41], v[42:43], v[9:10]
	v_fma_f64 v[7:8], -v[7:8], v[40:41], v[42:43]
	s_wait_alu 0xfffd
	s_delay_alu instid0(VALU_DEP_1) | instskip(NEXT) | instid1(VALU_DEP_1)
	v_div_fmas_f64 v[7:8], v[7:8], v[9:10], v[40:41]
	v_div_fixup_f64 v[7:8], v[7:8], v[21:22], v[19:20]
	s_delay_alu instid0(VALU_DEP_1) | instskip(NEXT) | instid1(VALU_DEP_1)
	v_fma_f64 v[9:10], v[19:20], v[7:8], v[21:22]
	v_div_scale_f64 v[40:41], null, v[9:10], v[9:10], 1.0
	v_div_scale_f64 v[46:47], vcc_lo, 1.0, v[9:10], 1.0
	s_delay_alu instid0(VALU_DEP_2) | instskip(NEXT) | instid1(TRANS32_DEP_1)
	v_rcp_f64_e32 v[42:43], v[40:41]
	v_fma_f64 v[44:45], -v[40:41], v[42:43], 1.0
	s_delay_alu instid0(VALU_DEP_1) | instskip(NEXT) | instid1(VALU_DEP_1)
	v_fma_f64 v[42:43], v[42:43], v[44:45], v[42:43]
	v_fma_f64 v[44:45], -v[40:41], v[42:43], 1.0
	s_delay_alu instid0(VALU_DEP_1) | instskip(NEXT) | instid1(VALU_DEP_1)
	v_fma_f64 v[42:43], v[42:43], v[44:45], v[42:43]
	v_mul_f64_e32 v[44:45], v[46:47], v[42:43]
	s_delay_alu instid0(VALU_DEP_1) | instskip(SKIP_1) | instid1(VALU_DEP_1)
	v_fma_f64 v[40:41], -v[40:41], v[44:45], v[46:47]
	s_wait_alu 0xfffd
	v_div_fmas_f64 v[40:41], v[40:41], v[42:43], v[44:45]
	v_fma_f64 v[42:43], v[7:8], v[23:24], v[25:26]
	s_delay_alu instid0(VALU_DEP_2) | instskip(SKIP_1) | instid1(VALU_DEP_2)
	v_div_fixup_f64 v[9:10], v[40:41], v[9:10], 1.0
	v_fma_f64 v[40:41], v[7:8], v[25:26], -v[23:24]
	v_mul_f64_e32 v[7:8], v[42:43], v[9:10]
	s_delay_alu instid0(VALU_DEP_2)
	v_mul_f64_e32 v[9:10], v[40:41], v[9:10]
.LBB223_28:                             ;   in Loop: Header=BB223_16 Depth=2
	s_and_not1_b32 vcc_lo, exec_lo, s40
	s_wait_alu 0xfffe
	s_cbranch_vccnz .LBB223_30
; %bb.29:                               ;   in Loop: Header=BB223_16 Depth=2
	v_div_scale_f64 v[7:8], null, v[19:20], v[19:20], v[21:22]
	v_div_scale_f64 v[42:43], vcc_lo, v[21:22], v[19:20], v[21:22]
	s_delay_alu instid0(VALU_DEP_2) | instskip(NEXT) | instid1(TRANS32_DEP_1)
	v_rcp_f64_e32 v[9:10], v[7:8]
	v_fma_f64 v[40:41], -v[7:8], v[9:10], 1.0
	s_delay_alu instid0(VALU_DEP_1) | instskip(NEXT) | instid1(VALU_DEP_1)
	v_fma_f64 v[9:10], v[9:10], v[40:41], v[9:10]
	v_fma_f64 v[40:41], -v[7:8], v[9:10], 1.0
	s_delay_alu instid0(VALU_DEP_1) | instskip(NEXT) | instid1(VALU_DEP_1)
	v_fma_f64 v[9:10], v[9:10], v[40:41], v[9:10]
	v_mul_f64_e32 v[40:41], v[42:43], v[9:10]
	s_delay_alu instid0(VALU_DEP_1) | instskip(SKIP_1) | instid1(VALU_DEP_1)
	v_fma_f64 v[7:8], -v[7:8], v[40:41], v[42:43]
	s_wait_alu 0xfffd
	v_div_fmas_f64 v[7:8], v[7:8], v[9:10], v[40:41]
	s_delay_alu instid0(VALU_DEP_1) | instskip(NEXT) | instid1(VALU_DEP_1)
	v_div_fixup_f64 v[7:8], v[7:8], v[19:20], v[21:22]
	v_fma_f64 v[9:10], v[21:22], v[7:8], v[19:20]
	s_delay_alu instid0(VALU_DEP_1) | instskip(SKIP_1) | instid1(VALU_DEP_2)
	v_div_scale_f64 v[19:20], null, v[9:10], v[9:10], 1.0
	v_div_scale_f64 v[42:43], vcc_lo, 1.0, v[9:10], 1.0
	v_rcp_f64_e32 v[21:22], v[19:20]
	s_delay_alu instid0(TRANS32_DEP_1) | instskip(NEXT) | instid1(VALU_DEP_1)
	v_fma_f64 v[40:41], -v[19:20], v[21:22], 1.0
	v_fma_f64 v[21:22], v[21:22], v[40:41], v[21:22]
	s_delay_alu instid0(VALU_DEP_1) | instskip(NEXT) | instid1(VALU_DEP_1)
	v_fma_f64 v[40:41], -v[19:20], v[21:22], 1.0
	v_fma_f64 v[21:22], v[21:22], v[40:41], v[21:22]
	s_delay_alu instid0(VALU_DEP_1) | instskip(NEXT) | instid1(VALU_DEP_1)
	v_mul_f64_e32 v[40:41], v[42:43], v[21:22]
	v_fma_f64 v[19:20], -v[19:20], v[40:41], v[42:43]
	s_wait_alu 0xfffd
	s_delay_alu instid0(VALU_DEP_1) | instskip(SKIP_1) | instid1(VALU_DEP_2)
	v_div_fmas_f64 v[19:20], v[19:20], v[21:22], v[40:41]
	v_fma_f64 v[21:22], v[7:8], v[25:26], v[23:24]
	v_div_fixup_f64 v[9:10], v[19:20], v[9:10], 1.0
	v_fma_f64 v[19:20], -v[7:8], v[23:24], v[25:26]
	s_delay_alu instid0(VALU_DEP_2) | instskip(NEXT) | instid1(VALU_DEP_2)
	v_mul_f64_e32 v[7:8], v[21:22], v[9:10]
	v_mul_f64_e32 v[9:10], v[19:20], v[9:10]
.LBB223_30:                             ;   in Loop: Header=BB223_16 Depth=2
	v_dual_mov_b32 v19, s37 :: v_dual_mov_b32 v40, s39
	s_or_b32 s37, s36, 32
	ds_load_b128 v[23:26], v19 offset:48
	ds_load_b128 v[19:22], v19 offset:1008
	;; [unrolled: 1-line block ×3, first 2 shown]
	s_wait_alu 0xfffe
	s_sub_co_i32 s37, s38, s37
	ds_store_b128 v30, v[7:10] offset:640
	s_wait_alu 0xfffe
	s_add_co_i32 s36, s37, s36
	s_wait_alu 0xfffe
	v_mov_b32_e32 v44, s36
	ds_load_b128 v[44:47], v44 offset:384
	s_wait_dscnt 0x4
	v_mul_f64_e32 v[48:49], v[13:14], v[25:26]
	v_mul_f64_e32 v[25:26], v[11:12], v[25:26]
	s_wait_dscnt 0x2
	v_mul_f64_e32 v[50:51], v[17:18], v[42:43]
	v_mul_f64_e32 v[42:43], v[15:16], v[42:43]
	v_cmp_ngt_f64_e64 s36, |v[19:20]|, |v[21:22]|
	v_fma_f64 v[11:12], v[11:12], v[23:24], -v[48:49]
	v_fma_f64 v[13:14], v[13:14], v[23:24], v[25:26]
	s_wait_dscnt 0x0
	v_mul_f64_e32 v[23:24], v[9:10], v[46:47]
	v_mul_f64_e32 v[25:26], v[7:8], v[46:47]
	v_fma_f64 v[15:16], v[15:16], v[40:41], -v[50:51]
	v_fma_f64 v[17:18], v[17:18], v[40:41], v[42:43]
	s_and_b32 vcc_lo, exec_lo, s36
	s_mov_b32 s36, -1
	v_add_f64_e64 v[3:4], v[3:4], -v[11:12]
	v_add_f64_e64 v[5:6], v[5:6], -v[13:14]
	v_fma_f64 v[11:12], v[7:8], v[44:45], -v[23:24]
	v_fma_f64 v[13:14], v[9:10], v[44:45], v[25:26]
	s_delay_alu instid0(VALU_DEP_4) | instskip(NEXT) | instid1(VALU_DEP_4)
	v_add_f64_e64 v[3:4], v[3:4], -v[15:16]
	v_add_f64_e64 v[5:6], v[5:6], -v[17:18]
	s_delay_alu instid0(VALU_DEP_2) | instskip(NEXT) | instid1(VALU_DEP_2)
	v_add_f64_e64 v[11:12], v[3:4], -v[11:12]
	v_add_f64_e64 v[13:14], v[5:6], -v[13:14]
                                        ; implicit-def: $vgpr5_vgpr6
	s_wait_alu 0xfffe
	s_cbranch_vccz .LBB223_32
; %bb.31:                               ;   in Loop: Header=BB223_16 Depth=2
	v_div_scale_f64 v[3:4], null, v[21:22], v[21:22], v[19:20]
	v_div_scale_f64 v[9:10], vcc_lo, v[19:20], v[21:22], v[19:20]
	s_mov_b32 s36, 0
	v_rcp_f64_e32 v[5:6], v[3:4]
	s_delay_alu instid0(TRANS32_DEP_1) | instskip(NEXT) | instid1(VALU_DEP_1)
	v_fma_f64 v[7:8], -v[3:4], v[5:6], 1.0
	v_fma_f64 v[5:6], v[5:6], v[7:8], v[5:6]
	s_delay_alu instid0(VALU_DEP_1) | instskip(NEXT) | instid1(VALU_DEP_1)
	v_fma_f64 v[7:8], -v[3:4], v[5:6], 1.0
	v_fma_f64 v[5:6], v[5:6], v[7:8], v[5:6]
	s_delay_alu instid0(VALU_DEP_1) | instskip(NEXT) | instid1(VALU_DEP_1)
	v_mul_f64_e32 v[7:8], v[9:10], v[5:6]
	v_fma_f64 v[3:4], -v[3:4], v[7:8], v[9:10]
	s_wait_alu 0xfffd
	s_delay_alu instid0(VALU_DEP_1) | instskip(NEXT) | instid1(VALU_DEP_1)
	v_div_fmas_f64 v[3:4], v[3:4], v[5:6], v[7:8]
	v_div_fixup_f64 v[3:4], v[3:4], v[21:22], v[19:20]
	s_delay_alu instid0(VALU_DEP_1) | instskip(NEXT) | instid1(VALU_DEP_1)
	v_fma_f64 v[5:6], v[19:20], v[3:4], v[21:22]
	v_div_scale_f64 v[7:8], null, v[5:6], v[5:6], 1.0
	v_div_scale_f64 v[17:18], vcc_lo, 1.0, v[5:6], 1.0
	s_delay_alu instid0(VALU_DEP_2) | instskip(NEXT) | instid1(TRANS32_DEP_1)
	v_rcp_f64_e32 v[9:10], v[7:8]
	v_fma_f64 v[15:16], -v[7:8], v[9:10], 1.0
	s_delay_alu instid0(VALU_DEP_1) | instskip(NEXT) | instid1(VALU_DEP_1)
	v_fma_f64 v[9:10], v[9:10], v[15:16], v[9:10]
	v_fma_f64 v[15:16], -v[7:8], v[9:10], 1.0
	s_delay_alu instid0(VALU_DEP_1) | instskip(NEXT) | instid1(VALU_DEP_1)
	v_fma_f64 v[9:10], v[9:10], v[15:16], v[9:10]
	v_mul_f64_e32 v[15:16], v[17:18], v[9:10]
	s_delay_alu instid0(VALU_DEP_1) | instskip(SKIP_1) | instid1(VALU_DEP_1)
	v_fma_f64 v[7:8], -v[7:8], v[15:16], v[17:18]
	s_wait_alu 0xfffd
	v_div_fmas_f64 v[7:8], v[7:8], v[9:10], v[15:16]
	v_fma_f64 v[9:10], v[3:4], v[11:12], v[13:14]
	s_delay_alu instid0(VALU_DEP_2) | instskip(SKIP_1) | instid1(VALU_DEP_2)
	v_div_fixup_f64 v[5:6], v[7:8], v[5:6], 1.0
	v_fma_f64 v[7:8], v[3:4], v[13:14], -v[11:12]
	v_mul_f64_e32 v[3:4], v[9:10], v[5:6]
	s_delay_alu instid0(VALU_DEP_2)
	v_mul_f64_e32 v[5:6], v[7:8], v[5:6]
.LBB223_32:                             ;   in Loop: Header=BB223_16 Depth=2
	s_wait_alu 0xfffe
	s_and_not1_b32 vcc_lo, exec_lo, s36
	s_wait_alu 0xfffe
	s_cbranch_vccnz .LBB223_34
; %bb.33:                               ;   in Loop: Header=BB223_16 Depth=2
	v_div_scale_f64 v[3:4], null, v[19:20], v[19:20], v[21:22]
	v_div_scale_f64 v[9:10], vcc_lo, v[21:22], v[19:20], v[21:22]
	s_delay_alu instid0(VALU_DEP_2) | instskip(NEXT) | instid1(TRANS32_DEP_1)
	v_rcp_f64_e32 v[5:6], v[3:4]
	v_fma_f64 v[7:8], -v[3:4], v[5:6], 1.0
	s_delay_alu instid0(VALU_DEP_1) | instskip(NEXT) | instid1(VALU_DEP_1)
	v_fma_f64 v[5:6], v[5:6], v[7:8], v[5:6]
	v_fma_f64 v[7:8], -v[3:4], v[5:6], 1.0
	s_delay_alu instid0(VALU_DEP_1) | instskip(NEXT) | instid1(VALU_DEP_1)
	v_fma_f64 v[5:6], v[5:6], v[7:8], v[5:6]
	v_mul_f64_e32 v[7:8], v[9:10], v[5:6]
	s_delay_alu instid0(VALU_DEP_1) | instskip(SKIP_1) | instid1(VALU_DEP_1)
	v_fma_f64 v[3:4], -v[3:4], v[7:8], v[9:10]
	s_wait_alu 0xfffd
	v_div_fmas_f64 v[3:4], v[3:4], v[5:6], v[7:8]
	s_delay_alu instid0(VALU_DEP_1) | instskip(NEXT) | instid1(VALU_DEP_1)
	v_div_fixup_f64 v[3:4], v[3:4], v[19:20], v[21:22]
	v_fma_f64 v[5:6], v[21:22], v[3:4], v[19:20]
	s_delay_alu instid0(VALU_DEP_1) | instskip(SKIP_1) | instid1(VALU_DEP_2)
	v_div_scale_f64 v[7:8], null, v[5:6], v[5:6], 1.0
	v_div_scale_f64 v[17:18], vcc_lo, 1.0, v[5:6], 1.0
	v_rcp_f64_e32 v[9:10], v[7:8]
	s_delay_alu instid0(TRANS32_DEP_1) | instskip(NEXT) | instid1(VALU_DEP_1)
	v_fma_f64 v[15:16], -v[7:8], v[9:10], 1.0
	v_fma_f64 v[9:10], v[9:10], v[15:16], v[9:10]
	s_delay_alu instid0(VALU_DEP_1) | instskip(NEXT) | instid1(VALU_DEP_1)
	v_fma_f64 v[15:16], -v[7:8], v[9:10], 1.0
	v_fma_f64 v[9:10], v[9:10], v[15:16], v[9:10]
	s_delay_alu instid0(VALU_DEP_1) | instskip(NEXT) | instid1(VALU_DEP_1)
	v_mul_f64_e32 v[15:16], v[17:18], v[9:10]
	v_fma_f64 v[7:8], -v[7:8], v[15:16], v[17:18]
	s_wait_alu 0xfffd
	s_delay_alu instid0(VALU_DEP_1) | instskip(SKIP_1) | instid1(VALU_DEP_2)
	v_div_fmas_f64 v[7:8], v[7:8], v[9:10], v[15:16]
	v_fma_f64 v[9:10], v[3:4], v[13:14], v[11:12]
	v_div_fixup_f64 v[5:6], v[7:8], v[5:6], 1.0
	v_fma_f64 v[7:8], -v[3:4], v[11:12], v[13:14]
	s_delay_alu instid0(VALU_DEP_2) | instskip(NEXT) | instid1(VALU_DEP_2)
	v_mul_f64_e32 v[3:4], v[9:10], v[5:6]
	v_mul_f64_e32 v[5:6], v[7:8], v[5:6]
.LBB223_34:                             ;   in Loop: Header=BB223_16 Depth=2
	s_add_co_i32 s36, s21, 4
	s_add_co_i32 s21, s21, 7
	;; [unrolled: 1-line block ×3, first 2 shown]
	s_wait_alu 0xfffe
	s_cmp_ge_i32 s21, s26
	ds_store_b128 v31, v[3:6]
	s_cbranch_scc1 .LBB223_36
; %bb.35:                               ;   in Loop: Header=BB223_16 Depth=2
	s_mov_b32 s21, s36
	s_branch .LBB223_16
.LBB223_36:                             ;   in Loop: Header=BB223_3 Depth=1
	s_cmp_ge_i32 s36, s26
	s_cbranch_scc1 .LBB223_45
; %bb.37:                               ;   in Loop: Header=BB223_3 Depth=1
	s_lshl_b32 s20, s36, 4
	s_branch .LBB223_39
.LBB223_38:                             ;   in Loop: Header=BB223_39 Depth=2
	s_add_co_i32 s36, s36, 1
	s_add_co_i32 s20, s20, 16
	s_wait_alu 0xfffe
	s_cmp_ge_i32 s36, s26
	ds_store_b128 v15, v[11:14]
	s_cbranch_scc1 .LBB223_45
.LBB223_39:                             ;   Parent Loop BB223_3 Depth=1
                                        ; =>  This Loop Header: Depth=2
                                        ;       Child Loop BB223_40 Depth 3
	s_mul_i32 s21, s36, 0x140
	v_mov_b32_e32 v7, v27
	s_wait_alu 0xfffe
	v_add_nc_u32_e32 v15, s21, v27
	s_cmp_eq_u32 s36, 0
	s_mov_b32 s37, s20
	s_mov_b32 s38, s36
	ds_load_b128 v[3:6], v15
	s_cbranch_scc1 .LBB223_41
.LBB223_40:                             ;   Parent Loop BB223_3 Depth=1
                                        ;     Parent Loop BB223_39 Depth=2
                                        ; =>    This Inner Loop Header: Depth=3
	s_wait_alu 0xfffe
	v_mov_b32_e32 v12, s37
	s_add_co_i32 s38, s38, -1
	s_addk_co_i32 s37, 0x140
	s_wait_alu 0xfffe
	s_cmp_eq_u32 s38, 0
	ds_load_b128 v[8:11], v7
	ds_load_b128 v[16:19], v12
	v_add_nc_u32_e32 v7, 0x140, v7
	s_wait_dscnt 0x0
	v_mul_f64_e32 v[12:13], v[18:19], v[10:11]
	v_mul_f64_e32 v[10:11], v[16:17], v[10:11]
	s_delay_alu instid0(VALU_DEP_2) | instskip(NEXT) | instid1(VALU_DEP_2)
	v_fma_f64 v[12:13], v[16:17], v[8:9], -v[12:13]
	v_fma_f64 v[8:9], v[18:19], v[8:9], v[10:11]
	s_delay_alu instid0(VALU_DEP_2) | instskip(NEXT) | instid1(VALU_DEP_2)
	v_add_f64_e64 v[3:4], v[3:4], -v[12:13]
	v_add_f64_e64 v[5:6], v[5:6], -v[8:9]
	s_cbranch_scc0 .LBB223_40
.LBB223_41:                             ;   in Loop: Header=BB223_39 Depth=2
	s_lshl_b32 s37, s36, 4
                                        ; implicit-def: $vgpr11_vgpr12
	s_wait_alu 0xfffe
	s_add_co_i32 s21, s37, s21
	s_wait_alu 0xfffe
	v_mov_b32_e32 v7, s21
	ds_load_b128 v[7:10], v7
	s_wait_dscnt 0x0
	v_cmp_ngt_f64_e64 s21, |v[7:8]|, |v[9:10]|
	s_and_b32 vcc_lo, exec_lo, s21
	s_mov_b32 s21, -1
	s_wait_alu 0xfffe
	s_cbranch_vccz .LBB223_43
; %bb.42:                               ;   in Loop: Header=BB223_39 Depth=2
	v_div_scale_f64 v[11:12], null, v[9:10], v[9:10], v[7:8]
	v_div_scale_f64 v[18:19], vcc_lo, v[7:8], v[9:10], v[7:8]
	s_mov_b32 s21, 0
	v_rcp_f64_e32 v[13:14], v[11:12]
	s_delay_alu instid0(TRANS32_DEP_1) | instskip(NEXT) | instid1(VALU_DEP_1)
	v_fma_f64 v[16:17], -v[11:12], v[13:14], 1.0
	v_fma_f64 v[13:14], v[13:14], v[16:17], v[13:14]
	s_delay_alu instid0(VALU_DEP_1) | instskip(NEXT) | instid1(VALU_DEP_1)
	v_fma_f64 v[16:17], -v[11:12], v[13:14], 1.0
	v_fma_f64 v[13:14], v[13:14], v[16:17], v[13:14]
	s_delay_alu instid0(VALU_DEP_1) | instskip(NEXT) | instid1(VALU_DEP_1)
	v_mul_f64_e32 v[16:17], v[18:19], v[13:14]
	v_fma_f64 v[11:12], -v[11:12], v[16:17], v[18:19]
	s_wait_alu 0xfffd
	s_delay_alu instid0(VALU_DEP_1) | instskip(NEXT) | instid1(VALU_DEP_1)
	v_div_fmas_f64 v[11:12], v[11:12], v[13:14], v[16:17]
	v_div_fixup_f64 v[11:12], v[11:12], v[9:10], v[7:8]
	s_delay_alu instid0(VALU_DEP_1) | instskip(NEXT) | instid1(VALU_DEP_1)
	v_fma_f64 v[13:14], v[7:8], v[11:12], v[9:10]
	v_div_scale_f64 v[16:17], null, v[13:14], v[13:14], 1.0
	v_div_scale_f64 v[22:23], vcc_lo, 1.0, v[13:14], 1.0
	s_delay_alu instid0(VALU_DEP_2) | instskip(NEXT) | instid1(TRANS32_DEP_1)
	v_rcp_f64_e32 v[18:19], v[16:17]
	v_fma_f64 v[20:21], -v[16:17], v[18:19], 1.0
	s_delay_alu instid0(VALU_DEP_1) | instskip(NEXT) | instid1(VALU_DEP_1)
	v_fma_f64 v[18:19], v[18:19], v[20:21], v[18:19]
	v_fma_f64 v[20:21], -v[16:17], v[18:19], 1.0
	s_delay_alu instid0(VALU_DEP_1) | instskip(NEXT) | instid1(VALU_DEP_1)
	v_fma_f64 v[18:19], v[18:19], v[20:21], v[18:19]
	v_mul_f64_e32 v[20:21], v[22:23], v[18:19]
	s_delay_alu instid0(VALU_DEP_1) | instskip(SKIP_1) | instid1(VALU_DEP_1)
	v_fma_f64 v[16:17], -v[16:17], v[20:21], v[22:23]
	s_wait_alu 0xfffd
	v_div_fmas_f64 v[16:17], v[16:17], v[18:19], v[20:21]
	v_fma_f64 v[18:19], v[3:4], v[11:12], v[5:6]
	s_delay_alu instid0(VALU_DEP_2) | instskip(SKIP_1) | instid1(VALU_DEP_2)
	v_div_fixup_f64 v[13:14], v[16:17], v[13:14], 1.0
	v_fma_f64 v[16:17], v[5:6], v[11:12], -v[3:4]
	v_mul_f64_e32 v[11:12], v[18:19], v[13:14]
	s_delay_alu instid0(VALU_DEP_2)
	v_mul_f64_e32 v[13:14], v[16:17], v[13:14]
.LBB223_43:                             ;   in Loop: Header=BB223_39 Depth=2
	s_wait_alu 0xfffe
	s_and_not1_b32 vcc_lo, exec_lo, s21
	s_wait_alu 0xfffe
	s_cbranch_vccnz .LBB223_38
; %bb.44:                               ;   in Loop: Header=BB223_39 Depth=2
	v_div_scale_f64 v[11:12], null, v[7:8], v[7:8], v[9:10]
	v_div_scale_f64 v[18:19], vcc_lo, v[9:10], v[7:8], v[9:10]
	s_delay_alu instid0(VALU_DEP_2) | instskip(NEXT) | instid1(TRANS32_DEP_1)
	v_rcp_f64_e32 v[13:14], v[11:12]
	v_fma_f64 v[16:17], -v[11:12], v[13:14], 1.0
	s_delay_alu instid0(VALU_DEP_1) | instskip(NEXT) | instid1(VALU_DEP_1)
	v_fma_f64 v[13:14], v[13:14], v[16:17], v[13:14]
	v_fma_f64 v[16:17], -v[11:12], v[13:14], 1.0
	s_delay_alu instid0(VALU_DEP_1) | instskip(NEXT) | instid1(VALU_DEP_1)
	v_fma_f64 v[13:14], v[13:14], v[16:17], v[13:14]
	v_mul_f64_e32 v[16:17], v[18:19], v[13:14]
	s_delay_alu instid0(VALU_DEP_1) | instskip(SKIP_1) | instid1(VALU_DEP_1)
	v_fma_f64 v[11:12], -v[11:12], v[16:17], v[18:19]
	s_wait_alu 0xfffd
	v_div_fmas_f64 v[11:12], v[11:12], v[13:14], v[16:17]
	s_delay_alu instid0(VALU_DEP_1) | instskip(NEXT) | instid1(VALU_DEP_1)
	v_div_fixup_f64 v[11:12], v[11:12], v[7:8], v[9:10]
	v_fma_f64 v[7:8], v[9:10], v[11:12], v[7:8]
	s_delay_alu instid0(VALU_DEP_1) | instskip(SKIP_1) | instid1(VALU_DEP_2)
	v_div_scale_f64 v[9:10], null, v[7:8], v[7:8], 1.0
	v_div_scale_f64 v[18:19], vcc_lo, 1.0, v[7:8], 1.0
	v_rcp_f64_e32 v[13:14], v[9:10]
	s_delay_alu instid0(TRANS32_DEP_1) | instskip(NEXT) | instid1(VALU_DEP_1)
	v_fma_f64 v[16:17], -v[9:10], v[13:14], 1.0
	v_fma_f64 v[13:14], v[13:14], v[16:17], v[13:14]
	s_delay_alu instid0(VALU_DEP_1) | instskip(NEXT) | instid1(VALU_DEP_1)
	v_fma_f64 v[16:17], -v[9:10], v[13:14], 1.0
	v_fma_f64 v[13:14], v[13:14], v[16:17], v[13:14]
	s_delay_alu instid0(VALU_DEP_1) | instskip(NEXT) | instid1(VALU_DEP_1)
	v_mul_f64_e32 v[16:17], v[18:19], v[13:14]
	v_fma_f64 v[9:10], -v[9:10], v[16:17], v[18:19]
	s_wait_alu 0xfffd
	s_delay_alu instid0(VALU_DEP_1) | instskip(SKIP_2) | instid1(VALU_DEP_3)
	v_div_fmas_f64 v[9:10], v[9:10], v[13:14], v[16:17]
	v_fma_f64 v[13:14], v[5:6], v[11:12], v[3:4]
	v_fma_f64 v[3:4], -v[3:4], v[11:12], v[5:6]
	v_div_fixup_f64 v[7:8], v[9:10], v[7:8], 1.0
	s_delay_alu instid0(VALU_DEP_1) | instskip(NEXT) | instid1(VALU_DEP_3)
	v_mul_f64_e32 v[11:12], v[13:14], v[7:8]
	v_mul_f64_e32 v[13:14], v[3:4], v[7:8]
	s_branch .LBB223_38
.LBB223_45:                             ;   in Loop: Header=BB223_3 Depth=1
	s_mov_b32 s20, 0
.LBB223_46:                             ;   in Loop: Header=BB223_3 Depth=1
	s_wait_alu 0xfffe
	s_and_b32 vcc_lo, exec_lo, s20
	s_wait_alu 0xfffe
	s_cbranch_vccz .LBB223_78
; %bb.47:                               ;   in Loop: Header=BB223_3 Depth=1
	s_mov_b32 s36, s27
	s_and_not1_b32 vcc_lo, exec_lo, s22
	s_mov_b32 s20, s31
	s_mov_b32 s21, s27
	s_wait_alu 0xfffe
	s_cbranch_vccnz .LBB223_69
.LBB223_48:                             ;   Parent Loop BB223_3 Depth=1
                                        ; =>  This Loop Header: Depth=2
                                        ;       Child Loop BB223_49 Depth 3
	s_wait_alu 0xfffe
	s_mul_i32 s37, s21, 0x140
	s_mov_b32 s38, s27
	s_wait_alu 0xfffe
	v_add_nc_u32_e32 v41, s37, v27
	s_add_co_i32 s36, s37, 0xfffffc40
	s_cmp_le_i32 s27, s21
	s_wait_alu 0xfffe
	v_add_nc_u32_e32 v30, s36, v27
	s_mov_b32 s36, s20
	v_dual_mov_b32 v11, v38 :: v_dual_add_nc_u32 v40, 0xfffffec0, v41
	v_add_nc_u32_e32 v31, 0xfffffd80, v41
	ds_load_b128 v[19:22], v41
	ds_load_b128 v[15:18], v40
	;; [unrolled: 1-line block ×4, first 2 shown]
	s_cbranch_scc1 .LBB223_50
.LBB223_49:                             ;   Parent Loop BB223_3 Depth=1
                                        ;     Parent Loop BB223_48 Depth=2
                                        ; =>    This Inner Loop Header: Depth=3
	s_wait_alu 0xfffe
	v_mov_b32_e32 v12, s36
	s_add_co_i32 s38, s38, -1
	s_addk_co_i32 s36, 0xfec0
	s_wait_alu 0xfffe
	s_cmp_le_i32 s38, s21
	ds_load_b128 v[23:26], v11
	ds_load_b128 v[42:45], v12 offset:48
	ds_load_b128 v[46:49], v12 offset:32
	;; [unrolled: 1-line block ×3, first 2 shown]
	ds_load_b128 v[54:57], v12
	v_add_nc_u32_e32 v11, 0xfffffec0, v11
	s_wait_dscnt 0x3
	v_mul_f64_e32 v[12:13], v[25:26], v[44:45]
	v_mul_f64_e32 v[44:45], v[23:24], v[44:45]
	s_wait_dscnt 0x2
	v_mul_f64_e32 v[58:59], v[25:26], v[48:49]
	v_mul_f64_e32 v[48:49], v[23:24], v[48:49]
	;; [unrolled: 3-line block ×4, first 2 shown]
	v_fma_f64 v[12:13], v[23:24], v[42:43], -v[12:13]
	v_fma_f64 v[42:43], v[25:26], v[42:43], v[44:45]
	v_fma_f64 v[44:45], v[23:24], v[46:47], -v[58:59]
	v_fma_f64 v[46:47], v[25:26], v[46:47], v[48:49]
	;; [unrolled: 2-line block ×4, first 2 shown]
	v_add_f64_e64 v[19:20], v[19:20], -v[12:13]
	v_add_f64_e64 v[21:22], v[21:22], -v[42:43]
	;; [unrolled: 1-line block ×8, first 2 shown]
	s_cbranch_scc0 .LBB223_49
.LBB223_50:                             ;   in Loop: Header=BB223_48 Depth=2
	s_add_co_i32 s36, s21, -3
; %bb.51:                               ;   in Loop: Header=BB223_48 Depth=2
	s_lshl_b32 s38, s21, 4
	s_wait_alu 0xfffe
	s_add_co_i32 s37, s38, s37
	s_wait_alu 0xfffe
	v_mov_b32_e32 v11, s37
	ds_load_b128 v[23:26], v11
                                        ; implicit-def: $vgpr13_vgpr14
	s_wait_dscnt 0x0
	v_cmp_ngt_f64_e64 s38, |v[23:24]|, |v[25:26]|
	s_and_b32 vcc_lo, exec_lo, s38
	s_mov_b32 s38, -1
	s_wait_alu 0xfffe
	s_cbranch_vccz .LBB223_53
; %bb.52:                               ;   in Loop: Header=BB223_48 Depth=2
	v_div_scale_f64 v[11:12], null, v[25:26], v[25:26], v[23:24]
	v_div_scale_f64 v[44:45], vcc_lo, v[23:24], v[25:26], v[23:24]
	s_mov_b32 s38, 0
	v_rcp_f64_e32 v[13:14], v[11:12]
	s_delay_alu instid0(TRANS32_DEP_1) | instskip(NEXT) | instid1(VALU_DEP_1)
	v_fma_f64 v[42:43], -v[11:12], v[13:14], 1.0
	v_fma_f64 v[13:14], v[13:14], v[42:43], v[13:14]
	s_delay_alu instid0(VALU_DEP_1) | instskip(NEXT) | instid1(VALU_DEP_1)
	v_fma_f64 v[42:43], -v[11:12], v[13:14], 1.0
	v_fma_f64 v[13:14], v[13:14], v[42:43], v[13:14]
	s_delay_alu instid0(VALU_DEP_1) | instskip(NEXT) | instid1(VALU_DEP_1)
	v_mul_f64_e32 v[42:43], v[44:45], v[13:14]
	v_fma_f64 v[11:12], -v[11:12], v[42:43], v[44:45]
	s_wait_alu 0xfffd
	s_delay_alu instid0(VALU_DEP_1) | instskip(NEXT) | instid1(VALU_DEP_1)
	v_div_fmas_f64 v[11:12], v[11:12], v[13:14], v[42:43]
	v_div_fixup_f64 v[11:12], v[11:12], v[25:26], v[23:24]
	s_delay_alu instid0(VALU_DEP_1) | instskip(NEXT) | instid1(VALU_DEP_1)
	v_fma_f64 v[13:14], v[23:24], v[11:12], v[25:26]
	v_div_scale_f64 v[42:43], null, v[13:14], v[13:14], 1.0
	v_div_scale_f64 v[48:49], vcc_lo, 1.0, v[13:14], 1.0
	s_delay_alu instid0(VALU_DEP_2) | instskip(NEXT) | instid1(TRANS32_DEP_1)
	v_rcp_f64_e32 v[44:45], v[42:43]
	v_fma_f64 v[46:47], -v[42:43], v[44:45], 1.0
	s_delay_alu instid0(VALU_DEP_1) | instskip(NEXT) | instid1(VALU_DEP_1)
	v_fma_f64 v[44:45], v[44:45], v[46:47], v[44:45]
	v_fma_f64 v[46:47], -v[42:43], v[44:45], 1.0
	s_delay_alu instid0(VALU_DEP_1) | instskip(NEXT) | instid1(VALU_DEP_1)
	v_fma_f64 v[44:45], v[44:45], v[46:47], v[44:45]
	v_mul_f64_e32 v[46:47], v[48:49], v[44:45]
	s_delay_alu instid0(VALU_DEP_1) | instskip(SKIP_1) | instid1(VALU_DEP_1)
	v_fma_f64 v[42:43], -v[42:43], v[46:47], v[48:49]
	s_wait_alu 0xfffd
	v_div_fmas_f64 v[42:43], v[42:43], v[44:45], v[46:47]
	v_fma_f64 v[44:45], v[19:20], v[11:12], v[21:22]
	s_delay_alu instid0(VALU_DEP_2) | instskip(SKIP_1) | instid1(VALU_DEP_2)
	v_div_fixup_f64 v[13:14], v[42:43], v[13:14], 1.0
	v_fma_f64 v[42:43], v[21:22], v[11:12], -v[19:20]
	v_mul_f64_e32 v[11:12], v[44:45], v[13:14]
	s_delay_alu instid0(VALU_DEP_2)
	v_mul_f64_e32 v[13:14], v[42:43], v[13:14]
.LBB223_53:                             ;   in Loop: Header=BB223_48 Depth=2
	s_wait_alu 0xfffe
	s_and_not1_b32 vcc_lo, exec_lo, s38
	s_wait_alu 0xfffe
	s_cbranch_vccnz .LBB223_55
; %bb.54:                               ;   in Loop: Header=BB223_48 Depth=2
	v_div_scale_f64 v[11:12], null, v[23:24], v[23:24], v[25:26]
	v_div_scale_f64 v[44:45], vcc_lo, v[25:26], v[23:24], v[25:26]
	s_delay_alu instid0(VALU_DEP_2) | instskip(NEXT) | instid1(TRANS32_DEP_1)
	v_rcp_f64_e32 v[13:14], v[11:12]
	v_fma_f64 v[42:43], -v[11:12], v[13:14], 1.0
	s_delay_alu instid0(VALU_DEP_1) | instskip(NEXT) | instid1(VALU_DEP_1)
	v_fma_f64 v[13:14], v[13:14], v[42:43], v[13:14]
	v_fma_f64 v[42:43], -v[11:12], v[13:14], 1.0
	s_delay_alu instid0(VALU_DEP_1) | instskip(NEXT) | instid1(VALU_DEP_1)
	v_fma_f64 v[13:14], v[13:14], v[42:43], v[13:14]
	v_mul_f64_e32 v[42:43], v[44:45], v[13:14]
	s_delay_alu instid0(VALU_DEP_1) | instskip(SKIP_1) | instid1(VALU_DEP_1)
	v_fma_f64 v[11:12], -v[11:12], v[42:43], v[44:45]
	s_wait_alu 0xfffd
	v_div_fmas_f64 v[11:12], v[11:12], v[13:14], v[42:43]
	s_delay_alu instid0(VALU_DEP_1) | instskip(NEXT) | instid1(VALU_DEP_1)
	v_div_fixup_f64 v[11:12], v[11:12], v[23:24], v[25:26]
	v_fma_f64 v[13:14], v[25:26], v[11:12], v[23:24]
	s_delay_alu instid0(VALU_DEP_1) | instskip(SKIP_1) | instid1(VALU_DEP_2)
	v_div_scale_f64 v[23:24], null, v[13:14], v[13:14], 1.0
	v_div_scale_f64 v[44:45], vcc_lo, 1.0, v[13:14], 1.0
	v_rcp_f64_e32 v[25:26], v[23:24]
	s_delay_alu instid0(TRANS32_DEP_1) | instskip(NEXT) | instid1(VALU_DEP_1)
	v_fma_f64 v[42:43], -v[23:24], v[25:26], 1.0
	v_fma_f64 v[25:26], v[25:26], v[42:43], v[25:26]
	s_delay_alu instid0(VALU_DEP_1) | instskip(NEXT) | instid1(VALU_DEP_1)
	v_fma_f64 v[42:43], -v[23:24], v[25:26], 1.0
	v_fma_f64 v[25:26], v[25:26], v[42:43], v[25:26]
	s_delay_alu instid0(VALU_DEP_1) | instskip(NEXT) | instid1(VALU_DEP_1)
	v_mul_f64_e32 v[42:43], v[44:45], v[25:26]
	v_fma_f64 v[23:24], -v[23:24], v[42:43], v[44:45]
	s_wait_alu 0xfffd
	s_delay_alu instid0(VALU_DEP_1) | instskip(SKIP_2) | instid1(VALU_DEP_3)
	v_div_fmas_f64 v[23:24], v[23:24], v[25:26], v[42:43]
	v_fma_f64 v[25:26], v[21:22], v[11:12], v[19:20]
	v_fma_f64 v[19:20], -v[19:20], v[11:12], v[21:22]
	v_div_fixup_f64 v[13:14], v[23:24], v[13:14], 1.0
	s_delay_alu instid0(VALU_DEP_1) | instskip(NEXT) | instid1(VALU_DEP_3)
	v_mul_f64_e32 v[11:12], v[25:26], v[13:14]
	v_mul_f64_e32 v[13:14], v[19:20], v[13:14]
.LBB223_55:                             ;   in Loop: Header=BB223_48 Depth=2
	s_add_co_i32 s38, s37, -16
	s_add_co_i32 s39, s37, 0xfffffeb0
	s_wait_alu 0xfffe
	v_mov_b32_e32 v19, s38
	ds_store_b128 v41, v[11:14]
	ds_load_b128 v[23:26], v19
	v_mov_b32_e32 v19, s39
	ds_load_b128 v[19:22], v19
	s_wait_dscnt 0x1
	v_mul_f64_e32 v[42:43], v[13:14], v[25:26]
	v_mul_f64_e32 v[25:26], v[11:12], v[25:26]
	s_wait_dscnt 0x0
	v_cmp_ngt_f64_e64 s38, |v[19:20]|, |v[21:22]|
	s_delay_alu instid0(VALU_DEP_3) | instskip(NEXT) | instid1(VALU_DEP_3)
	v_fma_f64 v[42:43], v[11:12], v[23:24], -v[42:43]
	v_fma_f64 v[25:26], v[13:14], v[23:24], v[25:26]
	s_and_b32 vcc_lo, exec_lo, s38
	s_mov_b32 s38, -1
	s_delay_alu instid0(VALU_DEP_2) | instskip(NEXT) | instid1(VALU_DEP_2)
	v_add_f64_e64 v[23:24], v[15:16], -v[42:43]
	v_add_f64_e64 v[25:26], v[17:18], -v[25:26]
                                        ; implicit-def: $vgpr17_vgpr18
	s_wait_alu 0xfffe
	s_cbranch_vccz .LBB223_57
; %bb.56:                               ;   in Loop: Header=BB223_48 Depth=2
	v_div_scale_f64 v[15:16], null, v[21:22], v[21:22], v[19:20]
	v_div_scale_f64 v[43:44], vcc_lo, v[19:20], v[21:22], v[19:20]
	s_mov_b32 s38, 0
	v_rcp_f64_e32 v[17:18], v[15:16]
	s_delay_alu instid0(TRANS32_DEP_1) | instskip(NEXT) | instid1(VALU_DEP_1)
	v_fma_f64 v[41:42], -v[15:16], v[17:18], 1.0
	v_fma_f64 v[17:18], v[17:18], v[41:42], v[17:18]
	s_delay_alu instid0(VALU_DEP_1) | instskip(NEXT) | instid1(VALU_DEP_1)
	v_fma_f64 v[41:42], -v[15:16], v[17:18], 1.0
	v_fma_f64 v[17:18], v[17:18], v[41:42], v[17:18]
	s_delay_alu instid0(VALU_DEP_1) | instskip(NEXT) | instid1(VALU_DEP_1)
	v_mul_f64_e32 v[41:42], v[43:44], v[17:18]
	v_fma_f64 v[15:16], -v[15:16], v[41:42], v[43:44]
	s_wait_alu 0xfffd
	s_delay_alu instid0(VALU_DEP_1) | instskip(NEXT) | instid1(VALU_DEP_1)
	v_div_fmas_f64 v[15:16], v[15:16], v[17:18], v[41:42]
	v_div_fixup_f64 v[15:16], v[15:16], v[21:22], v[19:20]
	s_delay_alu instid0(VALU_DEP_1) | instskip(NEXT) | instid1(VALU_DEP_1)
	v_fma_f64 v[17:18], v[19:20], v[15:16], v[21:22]
	v_div_scale_f64 v[41:42], null, v[17:18], v[17:18], 1.0
	v_div_scale_f64 v[47:48], vcc_lo, 1.0, v[17:18], 1.0
	s_delay_alu instid0(VALU_DEP_2) | instskip(NEXT) | instid1(TRANS32_DEP_1)
	v_rcp_f64_e32 v[43:44], v[41:42]
	v_fma_f64 v[45:46], -v[41:42], v[43:44], 1.0
	s_delay_alu instid0(VALU_DEP_1) | instskip(NEXT) | instid1(VALU_DEP_1)
	v_fma_f64 v[43:44], v[43:44], v[45:46], v[43:44]
	v_fma_f64 v[45:46], -v[41:42], v[43:44], 1.0
	s_delay_alu instid0(VALU_DEP_1) | instskip(NEXT) | instid1(VALU_DEP_1)
	v_fma_f64 v[43:44], v[43:44], v[45:46], v[43:44]
	v_mul_f64_e32 v[45:46], v[47:48], v[43:44]
	s_delay_alu instid0(VALU_DEP_1) | instskip(SKIP_1) | instid1(VALU_DEP_1)
	v_fma_f64 v[41:42], -v[41:42], v[45:46], v[47:48]
	s_wait_alu 0xfffd
	v_div_fmas_f64 v[41:42], v[41:42], v[43:44], v[45:46]
	v_fma_f64 v[43:44], v[15:16], v[23:24], v[25:26]
	s_delay_alu instid0(VALU_DEP_2) | instskip(SKIP_1) | instid1(VALU_DEP_2)
	v_div_fixup_f64 v[17:18], v[41:42], v[17:18], 1.0
	v_fma_f64 v[41:42], v[15:16], v[25:26], -v[23:24]
	v_mul_f64_e32 v[15:16], v[43:44], v[17:18]
	s_delay_alu instid0(VALU_DEP_2)
	v_mul_f64_e32 v[17:18], v[41:42], v[17:18]
.LBB223_57:                             ;   in Loop: Header=BB223_48 Depth=2
	s_wait_alu 0xfffe
	s_and_not1_b32 vcc_lo, exec_lo, s38
	s_wait_alu 0xfffe
	s_cbranch_vccnz .LBB223_59
; %bb.58:                               ;   in Loop: Header=BB223_48 Depth=2
	v_div_scale_f64 v[15:16], null, v[19:20], v[19:20], v[21:22]
	v_div_scale_f64 v[43:44], vcc_lo, v[21:22], v[19:20], v[21:22]
	s_delay_alu instid0(VALU_DEP_2) | instskip(NEXT) | instid1(TRANS32_DEP_1)
	v_rcp_f64_e32 v[17:18], v[15:16]
	v_fma_f64 v[41:42], -v[15:16], v[17:18], 1.0
	s_delay_alu instid0(VALU_DEP_1) | instskip(NEXT) | instid1(VALU_DEP_1)
	v_fma_f64 v[17:18], v[17:18], v[41:42], v[17:18]
	v_fma_f64 v[41:42], -v[15:16], v[17:18], 1.0
	s_delay_alu instid0(VALU_DEP_1) | instskip(NEXT) | instid1(VALU_DEP_1)
	v_fma_f64 v[17:18], v[17:18], v[41:42], v[17:18]
	v_mul_f64_e32 v[41:42], v[43:44], v[17:18]
	s_delay_alu instid0(VALU_DEP_1) | instskip(SKIP_1) | instid1(VALU_DEP_1)
	v_fma_f64 v[15:16], -v[15:16], v[41:42], v[43:44]
	s_wait_alu 0xfffd
	v_div_fmas_f64 v[15:16], v[15:16], v[17:18], v[41:42]
	s_delay_alu instid0(VALU_DEP_1) | instskip(NEXT) | instid1(VALU_DEP_1)
	v_div_fixup_f64 v[15:16], v[15:16], v[19:20], v[21:22]
	v_fma_f64 v[17:18], v[21:22], v[15:16], v[19:20]
	s_delay_alu instid0(VALU_DEP_1) | instskip(SKIP_1) | instid1(VALU_DEP_2)
	v_div_scale_f64 v[19:20], null, v[17:18], v[17:18], 1.0
	v_div_scale_f64 v[43:44], vcc_lo, 1.0, v[17:18], 1.0
	v_rcp_f64_e32 v[21:22], v[19:20]
	s_delay_alu instid0(TRANS32_DEP_1) | instskip(NEXT) | instid1(VALU_DEP_1)
	v_fma_f64 v[41:42], -v[19:20], v[21:22], 1.0
	v_fma_f64 v[21:22], v[21:22], v[41:42], v[21:22]
	s_delay_alu instid0(VALU_DEP_1) | instskip(NEXT) | instid1(VALU_DEP_1)
	v_fma_f64 v[41:42], -v[19:20], v[21:22], 1.0
	v_fma_f64 v[21:22], v[21:22], v[41:42], v[21:22]
	s_delay_alu instid0(VALU_DEP_1) | instskip(NEXT) | instid1(VALU_DEP_1)
	v_mul_f64_e32 v[41:42], v[43:44], v[21:22]
	v_fma_f64 v[19:20], -v[19:20], v[41:42], v[43:44]
	s_wait_alu 0xfffd
	s_delay_alu instid0(VALU_DEP_1) | instskip(SKIP_1) | instid1(VALU_DEP_2)
	v_div_fmas_f64 v[19:20], v[19:20], v[21:22], v[41:42]
	v_fma_f64 v[21:22], v[15:16], v[25:26], v[23:24]
	v_div_fixup_f64 v[17:18], v[19:20], v[17:18], 1.0
	v_fma_f64 v[19:20], -v[15:16], v[23:24], v[25:26]
	s_delay_alu instid0(VALU_DEP_2) | instskip(NEXT) | instid1(VALU_DEP_2)
	v_mul_f64_e32 v[15:16], v[21:22], v[17:18]
	v_mul_f64_e32 v[17:18], v[19:20], v[17:18]
.LBB223_59:                             ;   in Loop: Header=BB223_48 Depth=2
	s_sub_co_i32 s38, s37, 32
	s_add_co_i32 s40, s21, -2
	s_wait_alu 0xfffe
	v_mov_b32_e32 v19, s38
	s_add_co_i32 s38, s21, -1
	ds_store_b128 v40, v[15:18]
	s_wait_alu 0xfffe
	s_lshl_b32 s41, s38, 4
	s_lshl_b32 s38, s40, 4
	ds_load_b128 v[19:22], v19
	s_sub_co_i32 s40, s39, s41
	s_wait_alu 0xfffe
	s_add_co_i32 s39, s40, s38
	s_wait_alu 0xfffe
	v_mov_b32_e32 v23, s39
	s_add_co_i32 s39, s37, 0xfffffd60
	ds_load_b128 v[23:26], v23
	s_wait_dscnt 0x1
	v_mul_f64_e32 v[41:42], v[13:14], v[21:22]
	v_mul_f64_e32 v[21:22], v[11:12], v[21:22]
	s_wait_dscnt 0x0
	v_mul_f64_e32 v[43:44], v[17:18], v[25:26]
	v_mul_f64_e32 v[25:26], v[15:16], v[25:26]
	s_delay_alu instid0(VALU_DEP_4) | instskip(NEXT) | instid1(VALU_DEP_4)
	v_fma_f64 v[41:42], v[11:12], v[19:20], -v[41:42]
	v_fma_f64 v[19:20], v[13:14], v[19:20], v[21:22]
	s_delay_alu instid0(VALU_DEP_4) | instskip(NEXT) | instid1(VALU_DEP_4)
	v_fma_f64 v[43:44], v[15:16], v[23:24], -v[43:44]
	v_fma_f64 v[25:26], v[17:18], v[23:24], v[25:26]
	s_delay_alu instid0(VALU_DEP_4) | instskip(NEXT) | instid1(VALU_DEP_4)
	v_add_f64_e64 v[7:8], v[7:8], -v[41:42]
	v_add_f64_e64 v[9:10], v[9:10], -v[19:20]
	s_wait_alu 0xfffe
	v_mov_b32_e32 v19, s39
	ds_load_b128 v[19:22], v19
	s_wait_dscnt 0x0
	v_cmp_ngt_f64_e64 s41, |v[19:20]|, |v[21:22]|
	v_add_f64_e64 v[23:24], v[7:8], -v[43:44]
	v_add_f64_e64 v[25:26], v[9:10], -v[25:26]
                                        ; implicit-def: $vgpr9_vgpr10
	s_and_b32 vcc_lo, exec_lo, s41
	s_mov_b32 s41, -1
	s_wait_alu 0xfffe
	s_cbranch_vccz .LBB223_61
; %bb.60:                               ;   in Loop: Header=BB223_48 Depth=2
	v_div_scale_f64 v[7:8], null, v[21:22], v[21:22], v[19:20]
	v_div_scale_f64 v[42:43], vcc_lo, v[19:20], v[21:22], v[19:20]
	s_mov_b32 s41, 0
	v_rcp_f64_e32 v[9:10], v[7:8]
	s_delay_alu instid0(TRANS32_DEP_1) | instskip(NEXT) | instid1(VALU_DEP_1)
	v_fma_f64 v[40:41], -v[7:8], v[9:10], 1.0
	v_fma_f64 v[9:10], v[9:10], v[40:41], v[9:10]
	s_delay_alu instid0(VALU_DEP_1) | instskip(NEXT) | instid1(VALU_DEP_1)
	v_fma_f64 v[40:41], -v[7:8], v[9:10], 1.0
	v_fma_f64 v[9:10], v[9:10], v[40:41], v[9:10]
	s_delay_alu instid0(VALU_DEP_1) | instskip(NEXT) | instid1(VALU_DEP_1)
	v_mul_f64_e32 v[40:41], v[42:43], v[9:10]
	v_fma_f64 v[7:8], -v[7:8], v[40:41], v[42:43]
	s_wait_alu 0xfffd
	s_delay_alu instid0(VALU_DEP_1) | instskip(NEXT) | instid1(VALU_DEP_1)
	v_div_fmas_f64 v[7:8], v[7:8], v[9:10], v[40:41]
	v_div_fixup_f64 v[7:8], v[7:8], v[21:22], v[19:20]
	s_delay_alu instid0(VALU_DEP_1) | instskip(NEXT) | instid1(VALU_DEP_1)
	v_fma_f64 v[9:10], v[19:20], v[7:8], v[21:22]
	v_div_scale_f64 v[40:41], null, v[9:10], v[9:10], 1.0
	v_div_scale_f64 v[46:47], vcc_lo, 1.0, v[9:10], 1.0
	s_delay_alu instid0(VALU_DEP_2) | instskip(NEXT) | instid1(TRANS32_DEP_1)
	v_rcp_f64_e32 v[42:43], v[40:41]
	v_fma_f64 v[44:45], -v[40:41], v[42:43], 1.0
	s_delay_alu instid0(VALU_DEP_1) | instskip(NEXT) | instid1(VALU_DEP_1)
	v_fma_f64 v[42:43], v[42:43], v[44:45], v[42:43]
	v_fma_f64 v[44:45], -v[40:41], v[42:43], 1.0
	s_delay_alu instid0(VALU_DEP_1) | instskip(NEXT) | instid1(VALU_DEP_1)
	v_fma_f64 v[42:43], v[42:43], v[44:45], v[42:43]
	v_mul_f64_e32 v[44:45], v[46:47], v[42:43]
	s_delay_alu instid0(VALU_DEP_1) | instskip(SKIP_1) | instid1(VALU_DEP_1)
	v_fma_f64 v[40:41], -v[40:41], v[44:45], v[46:47]
	s_wait_alu 0xfffd
	v_div_fmas_f64 v[40:41], v[40:41], v[42:43], v[44:45]
	v_fma_f64 v[42:43], v[7:8], v[23:24], v[25:26]
	s_delay_alu instid0(VALU_DEP_2) | instskip(SKIP_1) | instid1(VALU_DEP_2)
	v_div_fixup_f64 v[9:10], v[40:41], v[9:10], 1.0
	v_fma_f64 v[40:41], v[7:8], v[25:26], -v[23:24]
	v_mul_f64_e32 v[7:8], v[42:43], v[9:10]
	s_delay_alu instid0(VALU_DEP_2)
	v_mul_f64_e32 v[9:10], v[40:41], v[9:10]
.LBB223_61:                             ;   in Loop: Header=BB223_48 Depth=2
	s_and_not1_b32 vcc_lo, exec_lo, s41
	s_wait_alu 0xfffe
	s_cbranch_vccnz .LBB223_63
; %bb.62:                               ;   in Loop: Header=BB223_48 Depth=2
	v_div_scale_f64 v[7:8], null, v[19:20], v[19:20], v[21:22]
	v_div_scale_f64 v[42:43], vcc_lo, v[21:22], v[19:20], v[21:22]
	s_delay_alu instid0(VALU_DEP_2) | instskip(NEXT) | instid1(TRANS32_DEP_1)
	v_rcp_f64_e32 v[9:10], v[7:8]
	v_fma_f64 v[40:41], -v[7:8], v[9:10], 1.0
	s_delay_alu instid0(VALU_DEP_1) | instskip(NEXT) | instid1(VALU_DEP_1)
	v_fma_f64 v[9:10], v[9:10], v[40:41], v[9:10]
	v_fma_f64 v[40:41], -v[7:8], v[9:10], 1.0
	s_delay_alu instid0(VALU_DEP_1) | instskip(NEXT) | instid1(VALU_DEP_1)
	v_fma_f64 v[9:10], v[9:10], v[40:41], v[9:10]
	v_mul_f64_e32 v[40:41], v[42:43], v[9:10]
	s_delay_alu instid0(VALU_DEP_1) | instskip(SKIP_1) | instid1(VALU_DEP_1)
	v_fma_f64 v[7:8], -v[7:8], v[40:41], v[42:43]
	s_wait_alu 0xfffd
	v_div_fmas_f64 v[7:8], v[7:8], v[9:10], v[40:41]
	s_delay_alu instid0(VALU_DEP_1) | instskip(NEXT) | instid1(VALU_DEP_1)
	v_div_fixup_f64 v[7:8], v[7:8], v[19:20], v[21:22]
	v_fma_f64 v[9:10], v[21:22], v[7:8], v[19:20]
	s_delay_alu instid0(VALU_DEP_1) | instskip(SKIP_1) | instid1(VALU_DEP_2)
	v_div_scale_f64 v[19:20], null, v[9:10], v[9:10], 1.0
	v_div_scale_f64 v[42:43], vcc_lo, 1.0, v[9:10], 1.0
	v_rcp_f64_e32 v[21:22], v[19:20]
	s_delay_alu instid0(TRANS32_DEP_1) | instskip(NEXT) | instid1(VALU_DEP_1)
	v_fma_f64 v[40:41], -v[19:20], v[21:22], 1.0
	v_fma_f64 v[21:22], v[21:22], v[40:41], v[21:22]
	s_delay_alu instid0(VALU_DEP_1) | instskip(NEXT) | instid1(VALU_DEP_1)
	v_fma_f64 v[40:41], -v[19:20], v[21:22], 1.0
	v_fma_f64 v[21:22], v[21:22], v[40:41], v[21:22]
	s_delay_alu instid0(VALU_DEP_1) | instskip(NEXT) | instid1(VALU_DEP_1)
	v_mul_f64_e32 v[40:41], v[42:43], v[21:22]
	v_fma_f64 v[19:20], -v[19:20], v[40:41], v[42:43]
	s_wait_alu 0xfffd
	s_delay_alu instid0(VALU_DEP_1) | instskip(SKIP_1) | instid1(VALU_DEP_2)
	v_div_fmas_f64 v[19:20], v[19:20], v[21:22], v[40:41]
	v_fma_f64 v[21:22], v[7:8], v[25:26], v[23:24]
	v_div_fixup_f64 v[9:10], v[19:20], v[9:10], 1.0
	v_fma_f64 v[19:20], -v[7:8], v[23:24], v[25:26]
	s_delay_alu instid0(VALU_DEP_2) | instskip(NEXT) | instid1(VALU_DEP_2)
	v_mul_f64_e32 v[7:8], v[21:22], v[9:10]
	v_mul_f64_e32 v[9:10], v[19:20], v[9:10]
.LBB223_63:                             ;   in Loop: Header=BB223_48 Depth=2
	s_sub_co_i32 s37, s37, 48
	s_lshl_b32 s36, s36, 4
	s_wait_alu 0xfffe
	v_mov_b32_e32 v19, s37
	s_add_co_i32 s37, s40, s36
	ds_store_b128 v31, v[7:10]
	s_wait_alu 0xfffe
	v_mov_b32_e32 v23, s37
	s_sub_co_i32 s37, s39, s38
	ds_load_b128 v[19:22], v19
	s_wait_alu 0xfffe
	s_add_co_i32 s36, s37, s36
	ds_load_b128 v[23:26], v23
	s_wait_dscnt 0x1
	v_mul_f64_e32 v[40:41], v[13:14], v[21:22]
	v_mul_f64_e32 v[21:22], v[11:12], v[21:22]
	s_delay_alu instid0(VALU_DEP_2) | instskip(SKIP_2) | instid1(VALU_DEP_3)
	v_fma_f64 v[40:41], v[11:12], v[19:20], -v[40:41]
	s_wait_alu 0xfffe
	v_mov_b32_e32 v11, s36
	v_fma_f64 v[44:45], v[13:14], v[19:20], v[21:22]
	s_add_co_i32 s36, s39, 0xfffffeb0
	ds_load_b128 v[19:22], v11
	s_wait_dscnt 0x1
	v_mul_f64_e32 v[42:43], v[17:18], v[25:26]
	v_mul_f64_e32 v[25:26], v[15:16], v[25:26]
	s_wait_alu 0xfffe
	v_mov_b32_e32 v11, s36
	ds_load_b128 v[11:14], v11
	s_wait_dscnt 0x1
	v_mul_f64_e32 v[46:47], v[9:10], v[21:22]
	v_mul_f64_e32 v[21:22], v[7:8], v[21:22]
	s_wait_dscnt 0x0
	v_cmp_ngt_f64_e64 s36, |v[11:12]|, |v[13:14]|
	v_add_f64_e64 v[3:4], v[3:4], -v[40:41]
	v_add_f64_e64 v[5:6], v[5:6], -v[44:45]
	v_fma_f64 v[15:16], v[15:16], v[23:24], -v[42:43]
	v_fma_f64 v[17:18], v[17:18], v[23:24], v[25:26]
	v_fma_f64 v[23:24], v[7:8], v[19:20], -v[46:47]
	v_fma_f64 v[19:20], v[9:10], v[19:20], v[21:22]
	s_and_b32 vcc_lo, exec_lo, s36
	s_mov_b32 s36, -1
	s_delay_alu instid0(VALU_DEP_4) | instskip(NEXT) | instid1(VALU_DEP_4)
	v_add_f64_e64 v[3:4], v[3:4], -v[15:16]
	v_add_f64_e64 v[5:6], v[5:6], -v[17:18]
	s_delay_alu instid0(VALU_DEP_2) | instskip(NEXT) | instid1(VALU_DEP_2)
	v_add_f64_e64 v[15:16], v[3:4], -v[23:24]
	v_add_f64_e64 v[17:18], v[5:6], -v[19:20]
                                        ; implicit-def: $vgpr5_vgpr6
	s_wait_alu 0xfffe
	s_cbranch_vccz .LBB223_65
; %bb.64:                               ;   in Loop: Header=BB223_48 Depth=2
	v_div_scale_f64 v[3:4], null, v[13:14], v[13:14], v[11:12]
	v_div_scale_f64 v[9:10], vcc_lo, v[11:12], v[13:14], v[11:12]
	s_mov_b32 s36, 0
	v_rcp_f64_e32 v[5:6], v[3:4]
	s_delay_alu instid0(TRANS32_DEP_1) | instskip(NEXT) | instid1(VALU_DEP_1)
	v_fma_f64 v[7:8], -v[3:4], v[5:6], 1.0
	v_fma_f64 v[5:6], v[5:6], v[7:8], v[5:6]
	s_delay_alu instid0(VALU_DEP_1) | instskip(NEXT) | instid1(VALU_DEP_1)
	v_fma_f64 v[7:8], -v[3:4], v[5:6], 1.0
	v_fma_f64 v[5:6], v[5:6], v[7:8], v[5:6]
	s_delay_alu instid0(VALU_DEP_1) | instskip(NEXT) | instid1(VALU_DEP_1)
	v_mul_f64_e32 v[7:8], v[9:10], v[5:6]
	v_fma_f64 v[3:4], -v[3:4], v[7:8], v[9:10]
	s_wait_alu 0xfffd
	s_delay_alu instid0(VALU_DEP_1) | instskip(NEXT) | instid1(VALU_DEP_1)
	v_div_fmas_f64 v[3:4], v[3:4], v[5:6], v[7:8]
	v_div_fixup_f64 v[3:4], v[3:4], v[13:14], v[11:12]
	s_delay_alu instid0(VALU_DEP_1) | instskip(NEXT) | instid1(VALU_DEP_1)
	v_fma_f64 v[5:6], v[11:12], v[3:4], v[13:14]
	v_div_scale_f64 v[7:8], null, v[5:6], v[5:6], 1.0
	v_div_scale_f64 v[21:22], vcc_lo, 1.0, v[5:6], 1.0
	s_delay_alu instid0(VALU_DEP_2) | instskip(NEXT) | instid1(TRANS32_DEP_1)
	v_rcp_f64_e32 v[9:10], v[7:8]
	v_fma_f64 v[19:20], -v[7:8], v[9:10], 1.0
	s_delay_alu instid0(VALU_DEP_1) | instskip(NEXT) | instid1(VALU_DEP_1)
	v_fma_f64 v[9:10], v[9:10], v[19:20], v[9:10]
	v_fma_f64 v[19:20], -v[7:8], v[9:10], 1.0
	s_delay_alu instid0(VALU_DEP_1) | instskip(NEXT) | instid1(VALU_DEP_1)
	v_fma_f64 v[9:10], v[9:10], v[19:20], v[9:10]
	v_mul_f64_e32 v[19:20], v[21:22], v[9:10]
	s_delay_alu instid0(VALU_DEP_1) | instskip(SKIP_1) | instid1(VALU_DEP_1)
	v_fma_f64 v[7:8], -v[7:8], v[19:20], v[21:22]
	s_wait_alu 0xfffd
	v_div_fmas_f64 v[7:8], v[7:8], v[9:10], v[19:20]
	v_fma_f64 v[9:10], v[3:4], v[15:16], v[17:18]
	s_delay_alu instid0(VALU_DEP_2) | instskip(SKIP_1) | instid1(VALU_DEP_2)
	v_div_fixup_f64 v[5:6], v[7:8], v[5:6], 1.0
	v_fma_f64 v[7:8], v[3:4], v[17:18], -v[15:16]
	v_mul_f64_e32 v[3:4], v[9:10], v[5:6]
	s_delay_alu instid0(VALU_DEP_2)
	v_mul_f64_e32 v[5:6], v[7:8], v[5:6]
.LBB223_65:                             ;   in Loop: Header=BB223_48 Depth=2
	s_wait_alu 0xfffe
	s_and_not1_b32 vcc_lo, exec_lo, s36
	s_wait_alu 0xfffe
	s_cbranch_vccnz .LBB223_67
; %bb.66:                               ;   in Loop: Header=BB223_48 Depth=2
	v_div_scale_f64 v[3:4], null, v[11:12], v[11:12], v[13:14]
	v_div_scale_f64 v[9:10], vcc_lo, v[13:14], v[11:12], v[13:14]
	s_delay_alu instid0(VALU_DEP_2) | instskip(NEXT) | instid1(TRANS32_DEP_1)
	v_rcp_f64_e32 v[5:6], v[3:4]
	v_fma_f64 v[7:8], -v[3:4], v[5:6], 1.0
	s_delay_alu instid0(VALU_DEP_1) | instskip(NEXT) | instid1(VALU_DEP_1)
	v_fma_f64 v[5:6], v[5:6], v[7:8], v[5:6]
	v_fma_f64 v[7:8], -v[3:4], v[5:6], 1.0
	s_delay_alu instid0(VALU_DEP_1) | instskip(NEXT) | instid1(VALU_DEP_1)
	v_fma_f64 v[5:6], v[5:6], v[7:8], v[5:6]
	v_mul_f64_e32 v[7:8], v[9:10], v[5:6]
	s_delay_alu instid0(VALU_DEP_1) | instskip(SKIP_1) | instid1(VALU_DEP_1)
	v_fma_f64 v[3:4], -v[3:4], v[7:8], v[9:10]
	s_wait_alu 0xfffd
	v_div_fmas_f64 v[3:4], v[3:4], v[5:6], v[7:8]
	s_delay_alu instid0(VALU_DEP_1) | instskip(NEXT) | instid1(VALU_DEP_1)
	v_div_fixup_f64 v[3:4], v[3:4], v[11:12], v[13:14]
	v_fma_f64 v[5:6], v[13:14], v[3:4], v[11:12]
	s_delay_alu instid0(VALU_DEP_1) | instskip(SKIP_1) | instid1(VALU_DEP_2)
	v_div_scale_f64 v[7:8], null, v[5:6], v[5:6], 1.0
	v_div_scale_f64 v[13:14], vcc_lo, 1.0, v[5:6], 1.0
	v_rcp_f64_e32 v[9:10], v[7:8]
	s_delay_alu instid0(TRANS32_DEP_1) | instskip(NEXT) | instid1(VALU_DEP_1)
	v_fma_f64 v[11:12], -v[7:8], v[9:10], 1.0
	v_fma_f64 v[9:10], v[9:10], v[11:12], v[9:10]
	s_delay_alu instid0(VALU_DEP_1) | instskip(NEXT) | instid1(VALU_DEP_1)
	v_fma_f64 v[11:12], -v[7:8], v[9:10], 1.0
	v_fma_f64 v[9:10], v[9:10], v[11:12], v[9:10]
	s_delay_alu instid0(VALU_DEP_1) | instskip(NEXT) | instid1(VALU_DEP_1)
	v_mul_f64_e32 v[11:12], v[13:14], v[9:10]
	v_fma_f64 v[7:8], -v[7:8], v[11:12], v[13:14]
	s_wait_alu 0xfffd
	s_delay_alu instid0(VALU_DEP_1) | instskip(SKIP_1) | instid1(VALU_DEP_2)
	v_div_fmas_f64 v[7:8], v[7:8], v[9:10], v[11:12]
	v_fma_f64 v[9:10], v[3:4], v[17:18], v[15:16]
	v_div_fixup_f64 v[5:6], v[7:8], v[5:6], 1.0
	v_fma_f64 v[7:8], -v[3:4], v[15:16], v[17:18]
	s_delay_alu instid0(VALU_DEP_2) | instskip(NEXT) | instid1(VALU_DEP_2)
	v_mul_f64_e32 v[3:4], v[9:10], v[5:6]
	v_mul_f64_e32 v[5:6], v[7:8], v[5:6]
.LBB223_67:                             ;   in Loop: Header=BB223_48 Depth=2
	s_add_co_i32 s36, s21, -4
	s_sub_co_i32 s20, s20, 64
	s_cmp_lt_i32 s21, 7
	ds_store_b128 v30, v[3:6]
	s_cbranch_scc1 .LBB223_69
; %bb.68:                               ;   in Loop: Header=BB223_48 Depth=2
	s_wait_alu 0xfffe
	s_mov_b32 s21, s36
	s_branch .LBB223_48
.LBB223_69:                             ;   in Loop: Header=BB223_3 Depth=1
	s_wait_alu 0xfffe
	s_cmp_lt_i32 s36, 0
	s_cbranch_scc1 .LBB223_78
; %bb.70:                               ;   in Loop: Header=BB223_3 Depth=1
	s_lshl_b32 s20, s36, 4
	s_wait_alu 0xfffe
	s_add_co_i32 s20, s33, s20
	s_branch .LBB223_72
.LBB223_71:                             ;   in Loop: Header=BB223_72 Depth=2
	s_add_co_i32 s21, s36, -1
	s_add_co_i32 s20, s20, -16
	s_cmp_lt_i32 s36, 1
	s_wait_alu 0xfffe
	s_mov_b32 s36, s21
	ds_store_b128 v15, v[11:14]
	s_cbranch_scc1 .LBB223_78
.LBB223_72:                             ;   Parent Loop BB223_3 Depth=1
                                        ; =>  This Loop Header: Depth=2
                                        ;       Child Loop BB223_73 Depth 3
	s_wait_alu 0xfffe
	s_mul_i32 s21, s36, 0x140
	v_mov_b32_e32 v7, v38
	s_wait_alu 0xfffe
	v_add_nc_u32_e32 v15, s21, v27
	s_cmp_le_i32 s27, s36
	s_mov_b32 s37, s20
	s_mov_b32 s38, s27
	ds_load_b128 v[3:6], v15
	s_cbranch_scc1 .LBB223_74
.LBB223_73:                             ;   Parent Loop BB223_3 Depth=1
                                        ;     Parent Loop BB223_72 Depth=2
                                        ; =>    This Inner Loop Header: Depth=3
	s_wait_alu 0xfffe
	v_mov_b32_e32 v12, s37
	s_add_co_i32 s38, s38, -1
	s_addk_co_i32 s37, 0xfec0
	s_wait_alu 0xfffe
	s_cmp_le_i32 s38, s36
	ds_load_b128 v[8:11], v7
	ds_load_b128 v[16:19], v12
	v_add_nc_u32_e32 v7, 0xfffffec0, v7
	s_wait_dscnt 0x0
	v_mul_f64_e32 v[12:13], v[18:19], v[10:11]
	v_mul_f64_e32 v[10:11], v[16:17], v[10:11]
	s_delay_alu instid0(VALU_DEP_2) | instskip(NEXT) | instid1(VALU_DEP_2)
	v_fma_f64 v[12:13], v[16:17], v[8:9], -v[12:13]
	v_fma_f64 v[8:9], v[18:19], v[8:9], v[10:11]
	s_delay_alu instid0(VALU_DEP_2) | instskip(NEXT) | instid1(VALU_DEP_2)
	v_add_f64_e64 v[3:4], v[3:4], -v[12:13]
	v_add_f64_e64 v[5:6], v[5:6], -v[8:9]
	s_cbranch_scc0 .LBB223_73
.LBB223_74:                             ;   in Loop: Header=BB223_72 Depth=2
	s_lshl_b32 s37, s36, 4
                                        ; implicit-def: $vgpr11_vgpr12
	s_wait_alu 0xfffe
	s_add_co_i32 s21, s37, s21
	s_wait_alu 0xfffe
	v_mov_b32_e32 v7, s21
	ds_load_b128 v[7:10], v7
	s_wait_dscnt 0x0
	v_cmp_ngt_f64_e64 s21, |v[7:8]|, |v[9:10]|
	s_and_b32 vcc_lo, exec_lo, s21
	s_mov_b32 s21, -1
	s_wait_alu 0xfffe
	s_cbranch_vccz .LBB223_76
; %bb.75:                               ;   in Loop: Header=BB223_72 Depth=2
	v_div_scale_f64 v[11:12], null, v[9:10], v[9:10], v[7:8]
	v_div_scale_f64 v[18:19], vcc_lo, v[7:8], v[9:10], v[7:8]
	s_mov_b32 s21, 0
	v_rcp_f64_e32 v[13:14], v[11:12]
	s_delay_alu instid0(TRANS32_DEP_1) | instskip(NEXT) | instid1(VALU_DEP_1)
	v_fma_f64 v[16:17], -v[11:12], v[13:14], 1.0
	v_fma_f64 v[13:14], v[13:14], v[16:17], v[13:14]
	s_delay_alu instid0(VALU_DEP_1) | instskip(NEXT) | instid1(VALU_DEP_1)
	v_fma_f64 v[16:17], -v[11:12], v[13:14], 1.0
	v_fma_f64 v[13:14], v[13:14], v[16:17], v[13:14]
	s_delay_alu instid0(VALU_DEP_1) | instskip(NEXT) | instid1(VALU_DEP_1)
	v_mul_f64_e32 v[16:17], v[18:19], v[13:14]
	v_fma_f64 v[11:12], -v[11:12], v[16:17], v[18:19]
	s_wait_alu 0xfffd
	s_delay_alu instid0(VALU_DEP_1) | instskip(NEXT) | instid1(VALU_DEP_1)
	v_div_fmas_f64 v[11:12], v[11:12], v[13:14], v[16:17]
	v_div_fixup_f64 v[11:12], v[11:12], v[9:10], v[7:8]
	s_delay_alu instid0(VALU_DEP_1) | instskip(NEXT) | instid1(VALU_DEP_1)
	v_fma_f64 v[13:14], v[7:8], v[11:12], v[9:10]
	v_div_scale_f64 v[16:17], null, v[13:14], v[13:14], 1.0
	v_div_scale_f64 v[22:23], vcc_lo, 1.0, v[13:14], 1.0
	s_delay_alu instid0(VALU_DEP_2) | instskip(NEXT) | instid1(TRANS32_DEP_1)
	v_rcp_f64_e32 v[18:19], v[16:17]
	v_fma_f64 v[20:21], -v[16:17], v[18:19], 1.0
	s_delay_alu instid0(VALU_DEP_1) | instskip(NEXT) | instid1(VALU_DEP_1)
	v_fma_f64 v[18:19], v[18:19], v[20:21], v[18:19]
	v_fma_f64 v[20:21], -v[16:17], v[18:19], 1.0
	s_delay_alu instid0(VALU_DEP_1) | instskip(NEXT) | instid1(VALU_DEP_1)
	v_fma_f64 v[18:19], v[18:19], v[20:21], v[18:19]
	v_mul_f64_e32 v[20:21], v[22:23], v[18:19]
	s_delay_alu instid0(VALU_DEP_1) | instskip(SKIP_1) | instid1(VALU_DEP_1)
	v_fma_f64 v[16:17], -v[16:17], v[20:21], v[22:23]
	s_wait_alu 0xfffd
	v_div_fmas_f64 v[16:17], v[16:17], v[18:19], v[20:21]
	v_fma_f64 v[18:19], v[3:4], v[11:12], v[5:6]
	s_delay_alu instid0(VALU_DEP_2) | instskip(SKIP_1) | instid1(VALU_DEP_2)
	v_div_fixup_f64 v[13:14], v[16:17], v[13:14], 1.0
	v_fma_f64 v[16:17], v[5:6], v[11:12], -v[3:4]
	v_mul_f64_e32 v[11:12], v[18:19], v[13:14]
	s_delay_alu instid0(VALU_DEP_2)
	v_mul_f64_e32 v[13:14], v[16:17], v[13:14]
.LBB223_76:                             ;   in Loop: Header=BB223_72 Depth=2
	s_wait_alu 0xfffe
	s_and_not1_b32 vcc_lo, exec_lo, s21
	s_wait_alu 0xfffe
	s_cbranch_vccnz .LBB223_71
; %bb.77:                               ;   in Loop: Header=BB223_72 Depth=2
	v_div_scale_f64 v[11:12], null, v[7:8], v[7:8], v[9:10]
	v_div_scale_f64 v[18:19], vcc_lo, v[9:10], v[7:8], v[9:10]
	s_delay_alu instid0(VALU_DEP_2) | instskip(NEXT) | instid1(TRANS32_DEP_1)
	v_rcp_f64_e32 v[13:14], v[11:12]
	v_fma_f64 v[16:17], -v[11:12], v[13:14], 1.0
	s_delay_alu instid0(VALU_DEP_1) | instskip(NEXT) | instid1(VALU_DEP_1)
	v_fma_f64 v[13:14], v[13:14], v[16:17], v[13:14]
	v_fma_f64 v[16:17], -v[11:12], v[13:14], 1.0
	s_delay_alu instid0(VALU_DEP_1) | instskip(NEXT) | instid1(VALU_DEP_1)
	v_fma_f64 v[13:14], v[13:14], v[16:17], v[13:14]
	v_mul_f64_e32 v[16:17], v[18:19], v[13:14]
	s_delay_alu instid0(VALU_DEP_1) | instskip(SKIP_1) | instid1(VALU_DEP_1)
	v_fma_f64 v[11:12], -v[11:12], v[16:17], v[18:19]
	s_wait_alu 0xfffd
	v_div_fmas_f64 v[11:12], v[11:12], v[13:14], v[16:17]
	s_delay_alu instid0(VALU_DEP_1) | instskip(NEXT) | instid1(VALU_DEP_1)
	v_div_fixup_f64 v[11:12], v[11:12], v[7:8], v[9:10]
	v_fma_f64 v[7:8], v[9:10], v[11:12], v[7:8]
	s_delay_alu instid0(VALU_DEP_1) | instskip(SKIP_1) | instid1(VALU_DEP_2)
	v_div_scale_f64 v[9:10], null, v[7:8], v[7:8], 1.0
	v_div_scale_f64 v[18:19], vcc_lo, 1.0, v[7:8], 1.0
	v_rcp_f64_e32 v[13:14], v[9:10]
	s_delay_alu instid0(TRANS32_DEP_1) | instskip(NEXT) | instid1(VALU_DEP_1)
	v_fma_f64 v[16:17], -v[9:10], v[13:14], 1.0
	v_fma_f64 v[13:14], v[13:14], v[16:17], v[13:14]
	s_delay_alu instid0(VALU_DEP_1) | instskip(NEXT) | instid1(VALU_DEP_1)
	v_fma_f64 v[16:17], -v[9:10], v[13:14], 1.0
	v_fma_f64 v[13:14], v[13:14], v[16:17], v[13:14]
	s_delay_alu instid0(VALU_DEP_1) | instskip(NEXT) | instid1(VALU_DEP_1)
	v_mul_f64_e32 v[16:17], v[18:19], v[13:14]
	v_fma_f64 v[9:10], -v[9:10], v[16:17], v[18:19]
	s_wait_alu 0xfffd
	s_delay_alu instid0(VALU_DEP_1) | instskip(SKIP_2) | instid1(VALU_DEP_3)
	v_div_fmas_f64 v[9:10], v[9:10], v[13:14], v[16:17]
	v_fma_f64 v[13:14], v[5:6], v[11:12], v[3:4]
	v_fma_f64 v[3:4], -v[3:4], v[11:12], v[5:6]
	v_div_fixup_f64 v[7:8], v[9:10], v[7:8], 1.0
	s_delay_alu instid0(VALU_DEP_1) | instskip(NEXT) | instid1(VALU_DEP_3)
	v_mul_f64_e32 v[11:12], v[13:14], v[7:8]
	v_mul_f64_e32 v[13:14], v[3:4], v[7:8]
	s_branch .LBB223_71
.LBB223_78:                             ;   in Loop: Header=BB223_3 Depth=1
	s_mov_b32 s20, 0
.LBB223_79:                             ;   in Loop: Header=BB223_3 Depth=1
	s_wait_alu 0xfffe
	s_and_not1_b32 vcc_lo, exec_lo, s20
	s_wait_alu 0xfffe
	s_cbranch_vccnz .LBB223_110
; %bb.80:                               ;   in Loop: Header=BB223_3 Depth=1
	s_mov_b32 s36, s27
	s_and_not1_b32 vcc_lo, exec_lo, s22
	s_mov_b32 s20, s34
	s_mov_b32 s21, s27
	s_wait_alu 0xfffe
	s_cbranch_vccnz .LBB223_101
.LBB223_81:                             ;   Parent Loop BB223_3 Depth=1
                                        ; =>  This Loop Header: Depth=2
                                        ;       Child Loop BB223_82 Depth 3
	s_wait_alu 0xfffe
	s_mul_i32 s36, s21, 20
	s_cmp_le_i32 s27, s21
	s_wait_alu 0xfffe
	v_lshl_add_u32 v41, s36, 4, v27
	s_mov_b32 s37, s20
	s_mov_b32 s38, s27
	s_delay_alu instid0(VALU_DEP_1)
	v_dual_mov_b32 v11, v38 :: v_dual_add_nc_u32 v40, 0xfffffec0, v41
	v_add_nc_u32_e32 v31, 0xfffffd80, v41
	v_add_nc_u32_e32 v30, 0xfffffc40, v41
	ds_load_b128 v[19:22], v41
	ds_load_b128 v[15:18], v40
	;; [unrolled: 1-line block ×4, first 2 shown]
	s_cbranch_scc1 .LBB223_83
.LBB223_82:                             ;   Parent Loop BB223_3 Depth=1
                                        ;     Parent Loop BB223_81 Depth=2
                                        ; =>    This Inner Loop Header: Depth=3
	s_wait_alu 0xfffe
	v_mov_b32_e32 v12, s37
	s_add_co_i32 s38, s38, -1
	s_add_co_i32 s37, s37, -16
	s_wait_alu 0xfffe
	s_cmp_le_i32 s38, s21
	ds_load_b128 v[23:26], v11
	ds_load_b128 v[42:45], v12 offset:960
	ds_load_b128 v[46:49], v12 offset:640
	;; [unrolled: 1-line block ×3, first 2 shown]
	ds_load_b128 v[54:57], v12
	v_add_nc_u32_e32 v11, 0xfffffec0, v11
	s_wait_dscnt 0x3
	v_mul_f64_e32 v[12:13], v[25:26], v[44:45]
	v_mul_f64_e32 v[44:45], v[23:24], v[44:45]
	s_wait_dscnt 0x2
	v_mul_f64_e32 v[58:59], v[25:26], v[48:49]
	v_mul_f64_e32 v[48:49], v[23:24], v[48:49]
	;; [unrolled: 3-line block ×4, first 2 shown]
	v_fma_f64 v[12:13], v[23:24], v[42:43], -v[12:13]
	v_fma_f64 v[42:43], v[25:26], v[42:43], v[44:45]
	v_fma_f64 v[44:45], v[23:24], v[46:47], -v[58:59]
	v_fma_f64 v[46:47], v[25:26], v[46:47], v[48:49]
	;; [unrolled: 2-line block ×4, first 2 shown]
	v_add_f64_e64 v[19:20], v[19:20], -v[12:13]
	v_add_f64_e64 v[21:22], v[21:22], -v[42:43]
	;; [unrolled: 1-line block ×8, first 2 shown]
	s_cbranch_scc0 .LBB223_82
.LBB223_83:                             ;   in Loop: Header=BB223_81 Depth=2
	s_mul_i32 s37, s21, 0x150
	s_wait_alu 0xfffe
	v_mov_b32_e32 v11, s37
	ds_load_b128 v[23:26], v11
                                        ; implicit-def: $vgpr13_vgpr14
	s_wait_dscnt 0x0
	v_cmp_ngt_f64_e64 s37, |v[23:24]|, |v[25:26]|
	s_and_b32 vcc_lo, exec_lo, s37
	s_mov_b32 s37, -1
	s_wait_alu 0xfffe
	s_cbranch_vccz .LBB223_85
; %bb.84:                               ;   in Loop: Header=BB223_81 Depth=2
	v_div_scale_f64 v[11:12], null, v[25:26], v[25:26], v[23:24]
	v_div_scale_f64 v[44:45], vcc_lo, v[23:24], v[25:26], v[23:24]
	s_mov_b32 s37, 0
	v_rcp_f64_e32 v[13:14], v[11:12]
	s_delay_alu instid0(TRANS32_DEP_1) | instskip(NEXT) | instid1(VALU_DEP_1)
	v_fma_f64 v[42:43], -v[11:12], v[13:14], 1.0
	v_fma_f64 v[13:14], v[13:14], v[42:43], v[13:14]
	s_delay_alu instid0(VALU_DEP_1) | instskip(NEXT) | instid1(VALU_DEP_1)
	v_fma_f64 v[42:43], -v[11:12], v[13:14], 1.0
	v_fma_f64 v[13:14], v[13:14], v[42:43], v[13:14]
	s_delay_alu instid0(VALU_DEP_1) | instskip(NEXT) | instid1(VALU_DEP_1)
	v_mul_f64_e32 v[42:43], v[44:45], v[13:14]
	v_fma_f64 v[11:12], -v[11:12], v[42:43], v[44:45]
	s_wait_alu 0xfffd
	s_delay_alu instid0(VALU_DEP_1) | instskip(NEXT) | instid1(VALU_DEP_1)
	v_div_fmas_f64 v[11:12], v[11:12], v[13:14], v[42:43]
	v_div_fixup_f64 v[11:12], v[11:12], v[25:26], v[23:24]
	s_delay_alu instid0(VALU_DEP_1) | instskip(NEXT) | instid1(VALU_DEP_1)
	v_fma_f64 v[13:14], v[23:24], v[11:12], v[25:26]
	v_div_scale_f64 v[42:43], null, v[13:14], v[13:14], 1.0
	v_div_scale_f64 v[48:49], vcc_lo, 1.0, v[13:14], 1.0
	s_delay_alu instid0(VALU_DEP_2) | instskip(NEXT) | instid1(TRANS32_DEP_1)
	v_rcp_f64_e32 v[44:45], v[42:43]
	v_fma_f64 v[46:47], -v[42:43], v[44:45], 1.0
	s_delay_alu instid0(VALU_DEP_1) | instskip(NEXT) | instid1(VALU_DEP_1)
	v_fma_f64 v[44:45], v[44:45], v[46:47], v[44:45]
	v_fma_f64 v[46:47], -v[42:43], v[44:45], 1.0
	s_delay_alu instid0(VALU_DEP_1) | instskip(NEXT) | instid1(VALU_DEP_1)
	v_fma_f64 v[44:45], v[44:45], v[46:47], v[44:45]
	v_mul_f64_e32 v[46:47], v[48:49], v[44:45]
	s_delay_alu instid0(VALU_DEP_1) | instskip(SKIP_1) | instid1(VALU_DEP_1)
	v_fma_f64 v[42:43], -v[42:43], v[46:47], v[48:49]
	s_wait_alu 0xfffd
	v_div_fmas_f64 v[42:43], v[42:43], v[44:45], v[46:47]
	v_fma_f64 v[44:45], v[19:20], v[11:12], v[21:22]
	s_delay_alu instid0(VALU_DEP_2) | instskip(SKIP_1) | instid1(VALU_DEP_2)
	v_div_fixup_f64 v[13:14], v[42:43], v[13:14], 1.0
	v_fma_f64 v[42:43], v[21:22], v[11:12], -v[19:20]
	v_mul_f64_e32 v[11:12], v[44:45], v[13:14]
	s_delay_alu instid0(VALU_DEP_2)
	v_mul_f64_e32 v[13:14], v[42:43], v[13:14]
.LBB223_85:                             ;   in Loop: Header=BB223_81 Depth=2
	s_wait_alu 0xfffe
	s_and_not1_b32 vcc_lo, exec_lo, s37
	s_wait_alu 0xfffe
	s_cbranch_vccnz .LBB223_87
; %bb.86:                               ;   in Loop: Header=BB223_81 Depth=2
	v_div_scale_f64 v[11:12], null, v[23:24], v[23:24], v[25:26]
	v_div_scale_f64 v[44:45], vcc_lo, v[25:26], v[23:24], v[25:26]
	s_delay_alu instid0(VALU_DEP_2) | instskip(NEXT) | instid1(TRANS32_DEP_1)
	v_rcp_f64_e32 v[13:14], v[11:12]
	v_fma_f64 v[42:43], -v[11:12], v[13:14], 1.0
	s_delay_alu instid0(VALU_DEP_1) | instskip(NEXT) | instid1(VALU_DEP_1)
	v_fma_f64 v[13:14], v[13:14], v[42:43], v[13:14]
	v_fma_f64 v[42:43], -v[11:12], v[13:14], 1.0
	s_delay_alu instid0(VALU_DEP_1) | instskip(NEXT) | instid1(VALU_DEP_1)
	v_fma_f64 v[13:14], v[13:14], v[42:43], v[13:14]
	v_mul_f64_e32 v[42:43], v[44:45], v[13:14]
	s_delay_alu instid0(VALU_DEP_1) | instskip(SKIP_1) | instid1(VALU_DEP_1)
	v_fma_f64 v[11:12], -v[11:12], v[42:43], v[44:45]
	s_wait_alu 0xfffd
	v_div_fmas_f64 v[11:12], v[11:12], v[13:14], v[42:43]
	s_delay_alu instid0(VALU_DEP_1) | instskip(NEXT) | instid1(VALU_DEP_1)
	v_div_fixup_f64 v[11:12], v[11:12], v[23:24], v[25:26]
	v_fma_f64 v[13:14], v[25:26], v[11:12], v[23:24]
	s_delay_alu instid0(VALU_DEP_1) | instskip(SKIP_1) | instid1(VALU_DEP_2)
	v_div_scale_f64 v[23:24], null, v[13:14], v[13:14], 1.0
	v_div_scale_f64 v[44:45], vcc_lo, 1.0, v[13:14], 1.0
	v_rcp_f64_e32 v[25:26], v[23:24]
	s_delay_alu instid0(TRANS32_DEP_1) | instskip(NEXT) | instid1(VALU_DEP_1)
	v_fma_f64 v[42:43], -v[23:24], v[25:26], 1.0
	v_fma_f64 v[25:26], v[25:26], v[42:43], v[25:26]
	s_delay_alu instid0(VALU_DEP_1) | instskip(NEXT) | instid1(VALU_DEP_1)
	v_fma_f64 v[42:43], -v[23:24], v[25:26], 1.0
	v_fma_f64 v[25:26], v[25:26], v[42:43], v[25:26]
	s_delay_alu instid0(VALU_DEP_1) | instskip(NEXT) | instid1(VALU_DEP_1)
	v_mul_f64_e32 v[42:43], v[44:45], v[25:26]
	v_fma_f64 v[23:24], -v[23:24], v[42:43], v[44:45]
	s_wait_alu 0xfffd
	s_delay_alu instid0(VALU_DEP_1) | instskip(SKIP_2) | instid1(VALU_DEP_3)
	v_div_fmas_f64 v[23:24], v[23:24], v[25:26], v[42:43]
	v_fma_f64 v[25:26], v[21:22], v[11:12], v[19:20]
	v_fma_f64 v[19:20], -v[19:20], v[11:12], v[21:22]
	v_div_fixup_f64 v[13:14], v[23:24], v[13:14], 1.0
	s_delay_alu instid0(VALU_DEP_1) | instskip(NEXT) | instid1(VALU_DEP_3)
	v_mul_f64_e32 v[11:12], v[25:26], v[13:14]
	v_mul_f64_e32 v[13:14], v[19:20], v[13:14]
.LBB223_87:                             ;   in Loop: Header=BB223_81 Depth=2
	s_lshl_b32 s37, s36, 4
	s_lshl_b32 s36, s21, 4
	s_wait_alu 0xfffe
	s_addk_co_i32 s37, 0xfec0
	ds_store_b128 v41, v[11:14]
	s_wait_alu 0xfffe
	s_add_co_i32 s38, s37, s36
	s_wait_alu 0xfffe
	v_mov_b32_e32 v19, s38
	s_add_co_i32 s38, s38, -16
	ds_load_b128 v[23:26], v19
	s_wait_alu 0xfffe
	v_mov_b32_e32 v19, s38
	ds_load_b128 v[19:22], v19
	s_wait_dscnt 0x1
	v_mul_f64_e32 v[42:43], v[13:14], v[25:26]
	v_mul_f64_e32 v[25:26], v[11:12], v[25:26]
	s_wait_dscnt 0x0
	v_cmp_ngt_f64_e64 s38, |v[19:20]|, |v[21:22]|
	s_delay_alu instid0(VALU_DEP_3) | instskip(NEXT) | instid1(VALU_DEP_3)
	v_fma_f64 v[42:43], v[11:12], v[23:24], -v[42:43]
	v_fma_f64 v[25:26], v[13:14], v[23:24], v[25:26]
	s_and_b32 vcc_lo, exec_lo, s38
	s_mov_b32 s38, -1
	s_delay_alu instid0(VALU_DEP_2) | instskip(NEXT) | instid1(VALU_DEP_2)
	v_add_f64_e64 v[23:24], v[15:16], -v[42:43]
	v_add_f64_e64 v[25:26], v[17:18], -v[25:26]
                                        ; implicit-def: $vgpr17_vgpr18
	s_wait_alu 0xfffe
	s_cbranch_vccz .LBB223_89
; %bb.88:                               ;   in Loop: Header=BB223_81 Depth=2
	v_div_scale_f64 v[15:16], null, v[21:22], v[21:22], v[19:20]
	v_div_scale_f64 v[43:44], vcc_lo, v[19:20], v[21:22], v[19:20]
	s_mov_b32 s38, 0
	v_rcp_f64_e32 v[17:18], v[15:16]
	s_delay_alu instid0(TRANS32_DEP_1) | instskip(NEXT) | instid1(VALU_DEP_1)
	v_fma_f64 v[41:42], -v[15:16], v[17:18], 1.0
	v_fma_f64 v[17:18], v[17:18], v[41:42], v[17:18]
	s_delay_alu instid0(VALU_DEP_1) | instskip(NEXT) | instid1(VALU_DEP_1)
	v_fma_f64 v[41:42], -v[15:16], v[17:18], 1.0
	v_fma_f64 v[17:18], v[17:18], v[41:42], v[17:18]
	s_delay_alu instid0(VALU_DEP_1) | instskip(NEXT) | instid1(VALU_DEP_1)
	v_mul_f64_e32 v[41:42], v[43:44], v[17:18]
	v_fma_f64 v[15:16], -v[15:16], v[41:42], v[43:44]
	s_wait_alu 0xfffd
	s_delay_alu instid0(VALU_DEP_1) | instskip(NEXT) | instid1(VALU_DEP_1)
	v_div_fmas_f64 v[15:16], v[15:16], v[17:18], v[41:42]
	v_div_fixup_f64 v[15:16], v[15:16], v[21:22], v[19:20]
	s_delay_alu instid0(VALU_DEP_1) | instskip(NEXT) | instid1(VALU_DEP_1)
	v_fma_f64 v[17:18], v[19:20], v[15:16], v[21:22]
	v_div_scale_f64 v[41:42], null, v[17:18], v[17:18], 1.0
	v_div_scale_f64 v[47:48], vcc_lo, 1.0, v[17:18], 1.0
	s_delay_alu instid0(VALU_DEP_2) | instskip(NEXT) | instid1(TRANS32_DEP_1)
	v_rcp_f64_e32 v[43:44], v[41:42]
	v_fma_f64 v[45:46], -v[41:42], v[43:44], 1.0
	s_delay_alu instid0(VALU_DEP_1) | instskip(NEXT) | instid1(VALU_DEP_1)
	v_fma_f64 v[43:44], v[43:44], v[45:46], v[43:44]
	v_fma_f64 v[45:46], -v[41:42], v[43:44], 1.0
	s_delay_alu instid0(VALU_DEP_1) | instskip(NEXT) | instid1(VALU_DEP_1)
	v_fma_f64 v[43:44], v[43:44], v[45:46], v[43:44]
	v_mul_f64_e32 v[45:46], v[47:48], v[43:44]
	s_delay_alu instid0(VALU_DEP_1) | instskip(SKIP_1) | instid1(VALU_DEP_1)
	v_fma_f64 v[41:42], -v[41:42], v[45:46], v[47:48]
	s_wait_alu 0xfffd
	v_div_fmas_f64 v[41:42], v[41:42], v[43:44], v[45:46]
	v_fma_f64 v[43:44], v[15:16], v[23:24], v[25:26]
	s_delay_alu instid0(VALU_DEP_2) | instskip(SKIP_1) | instid1(VALU_DEP_2)
	v_div_fixup_f64 v[17:18], v[41:42], v[17:18], 1.0
	v_fma_f64 v[41:42], v[15:16], v[25:26], -v[23:24]
	v_mul_f64_e32 v[15:16], v[43:44], v[17:18]
	s_delay_alu instid0(VALU_DEP_2)
	v_mul_f64_e32 v[17:18], v[41:42], v[17:18]
.LBB223_89:                             ;   in Loop: Header=BB223_81 Depth=2
	s_wait_alu 0xfffe
	s_and_not1_b32 vcc_lo, exec_lo, s38
	s_wait_alu 0xfffe
	s_cbranch_vccnz .LBB223_91
; %bb.90:                               ;   in Loop: Header=BB223_81 Depth=2
	v_div_scale_f64 v[15:16], null, v[19:20], v[19:20], v[21:22]
	v_div_scale_f64 v[43:44], vcc_lo, v[21:22], v[19:20], v[21:22]
	s_delay_alu instid0(VALU_DEP_2) | instskip(NEXT) | instid1(TRANS32_DEP_1)
	v_rcp_f64_e32 v[17:18], v[15:16]
	v_fma_f64 v[41:42], -v[15:16], v[17:18], 1.0
	s_delay_alu instid0(VALU_DEP_1) | instskip(NEXT) | instid1(VALU_DEP_1)
	v_fma_f64 v[17:18], v[17:18], v[41:42], v[17:18]
	v_fma_f64 v[41:42], -v[15:16], v[17:18], 1.0
	s_delay_alu instid0(VALU_DEP_1) | instskip(NEXT) | instid1(VALU_DEP_1)
	v_fma_f64 v[17:18], v[17:18], v[41:42], v[17:18]
	v_mul_f64_e32 v[41:42], v[43:44], v[17:18]
	s_delay_alu instid0(VALU_DEP_1) | instskip(SKIP_1) | instid1(VALU_DEP_1)
	v_fma_f64 v[15:16], -v[15:16], v[41:42], v[43:44]
	s_wait_alu 0xfffd
	v_div_fmas_f64 v[15:16], v[15:16], v[17:18], v[41:42]
	s_delay_alu instid0(VALU_DEP_1) | instskip(NEXT) | instid1(VALU_DEP_1)
	v_div_fixup_f64 v[15:16], v[15:16], v[19:20], v[21:22]
	v_fma_f64 v[17:18], v[21:22], v[15:16], v[19:20]
	s_delay_alu instid0(VALU_DEP_1) | instskip(SKIP_1) | instid1(VALU_DEP_2)
	v_div_scale_f64 v[19:20], null, v[17:18], v[17:18], 1.0
	v_div_scale_f64 v[43:44], vcc_lo, 1.0, v[17:18], 1.0
	v_rcp_f64_e32 v[21:22], v[19:20]
	s_delay_alu instid0(TRANS32_DEP_1) | instskip(NEXT) | instid1(VALU_DEP_1)
	v_fma_f64 v[41:42], -v[19:20], v[21:22], 1.0
	v_fma_f64 v[21:22], v[21:22], v[41:42], v[21:22]
	s_delay_alu instid0(VALU_DEP_1) | instskip(NEXT) | instid1(VALU_DEP_1)
	v_fma_f64 v[41:42], -v[19:20], v[21:22], 1.0
	v_fma_f64 v[21:22], v[21:22], v[41:42], v[21:22]
	s_delay_alu instid0(VALU_DEP_1) | instskip(NEXT) | instid1(VALU_DEP_1)
	v_mul_f64_e32 v[41:42], v[43:44], v[21:22]
	v_fma_f64 v[19:20], -v[19:20], v[41:42], v[43:44]
	s_wait_alu 0xfffd
	s_delay_alu instid0(VALU_DEP_1) | instskip(SKIP_1) | instid1(VALU_DEP_2)
	v_div_fmas_f64 v[19:20], v[19:20], v[21:22], v[41:42]
	v_fma_f64 v[21:22], v[15:16], v[25:26], v[23:24]
	v_div_fixup_f64 v[17:18], v[19:20], v[17:18], 1.0
	v_fma_f64 v[19:20], -v[15:16], v[23:24], v[25:26]
	s_delay_alu instid0(VALU_DEP_2) | instskip(NEXT) | instid1(VALU_DEP_2)
	v_mul_f64_e32 v[15:16], v[21:22], v[17:18]
	v_mul_f64_e32 v[17:18], v[19:20], v[17:18]
.LBB223_91:                             ;   in Loop: Header=BB223_81 Depth=2
	s_addk_co_i32 s37, 0xfec0
	ds_store_b128 v40, v[15:18]
	s_wait_alu 0xfffe
	s_add_co_i32 s36, s37, s36
	s_wait_alu 0xfffe
	v_mov_b32_e32 v19, s36
	s_add_co_i32 s37, s36, -16
	s_wait_alu 0xfffe
	v_mov_b32_e32 v23, s37
	s_sub_co_i32 s37, s36, 32
	ds_load_b128 v[19:22], v19
	ds_load_b128 v[23:26], v23
	s_wait_dscnt 0x1
	v_mul_f64_e32 v[41:42], v[13:14], v[21:22]
	v_mul_f64_e32 v[21:22], v[11:12], v[21:22]
	s_wait_dscnt 0x0
	v_mul_f64_e32 v[43:44], v[17:18], v[25:26]
	v_mul_f64_e32 v[25:26], v[15:16], v[25:26]
	s_delay_alu instid0(VALU_DEP_4) | instskip(NEXT) | instid1(VALU_DEP_4)
	v_fma_f64 v[41:42], v[11:12], v[19:20], -v[41:42]
	v_fma_f64 v[19:20], v[13:14], v[19:20], v[21:22]
	s_delay_alu instid0(VALU_DEP_4) | instskip(NEXT) | instid1(VALU_DEP_4)
	v_fma_f64 v[43:44], v[15:16], v[23:24], -v[43:44]
	v_fma_f64 v[25:26], v[17:18], v[23:24], v[25:26]
	s_delay_alu instid0(VALU_DEP_4) | instskip(NEXT) | instid1(VALU_DEP_4)
	v_add_f64_e64 v[7:8], v[7:8], -v[41:42]
	v_add_f64_e64 v[9:10], v[9:10], -v[19:20]
	s_wait_alu 0xfffe
	v_mov_b32_e32 v19, s37
	ds_load_b128 v[19:22], v19
	s_wait_dscnt 0x0
	v_cmp_ngt_f64_e64 s37, |v[19:20]|, |v[21:22]|
	v_add_f64_e64 v[23:24], v[7:8], -v[43:44]
	v_add_f64_e64 v[25:26], v[9:10], -v[25:26]
                                        ; implicit-def: $vgpr9_vgpr10
	s_and_b32 vcc_lo, exec_lo, s37
	s_mov_b32 s37, -1
	s_wait_alu 0xfffe
	s_cbranch_vccz .LBB223_93
; %bb.92:                               ;   in Loop: Header=BB223_81 Depth=2
	v_div_scale_f64 v[7:8], null, v[21:22], v[21:22], v[19:20]
	v_div_scale_f64 v[42:43], vcc_lo, v[19:20], v[21:22], v[19:20]
	s_mov_b32 s37, 0
	v_rcp_f64_e32 v[9:10], v[7:8]
	s_delay_alu instid0(TRANS32_DEP_1) | instskip(NEXT) | instid1(VALU_DEP_1)
	v_fma_f64 v[40:41], -v[7:8], v[9:10], 1.0
	v_fma_f64 v[9:10], v[9:10], v[40:41], v[9:10]
	s_delay_alu instid0(VALU_DEP_1) | instskip(NEXT) | instid1(VALU_DEP_1)
	v_fma_f64 v[40:41], -v[7:8], v[9:10], 1.0
	v_fma_f64 v[9:10], v[9:10], v[40:41], v[9:10]
	s_delay_alu instid0(VALU_DEP_1) | instskip(NEXT) | instid1(VALU_DEP_1)
	v_mul_f64_e32 v[40:41], v[42:43], v[9:10]
	v_fma_f64 v[7:8], -v[7:8], v[40:41], v[42:43]
	s_wait_alu 0xfffd
	s_delay_alu instid0(VALU_DEP_1) | instskip(NEXT) | instid1(VALU_DEP_1)
	v_div_fmas_f64 v[7:8], v[7:8], v[9:10], v[40:41]
	v_div_fixup_f64 v[7:8], v[7:8], v[21:22], v[19:20]
	s_delay_alu instid0(VALU_DEP_1) | instskip(NEXT) | instid1(VALU_DEP_1)
	v_fma_f64 v[9:10], v[19:20], v[7:8], v[21:22]
	v_div_scale_f64 v[40:41], null, v[9:10], v[9:10], 1.0
	v_div_scale_f64 v[46:47], vcc_lo, 1.0, v[9:10], 1.0
	s_delay_alu instid0(VALU_DEP_2) | instskip(NEXT) | instid1(TRANS32_DEP_1)
	v_rcp_f64_e32 v[42:43], v[40:41]
	v_fma_f64 v[44:45], -v[40:41], v[42:43], 1.0
	s_delay_alu instid0(VALU_DEP_1) | instskip(NEXT) | instid1(VALU_DEP_1)
	v_fma_f64 v[42:43], v[42:43], v[44:45], v[42:43]
	v_fma_f64 v[44:45], -v[40:41], v[42:43], 1.0
	s_delay_alu instid0(VALU_DEP_1) | instskip(NEXT) | instid1(VALU_DEP_1)
	v_fma_f64 v[42:43], v[42:43], v[44:45], v[42:43]
	v_mul_f64_e32 v[44:45], v[46:47], v[42:43]
	s_delay_alu instid0(VALU_DEP_1) | instskip(SKIP_1) | instid1(VALU_DEP_1)
	v_fma_f64 v[40:41], -v[40:41], v[44:45], v[46:47]
	s_wait_alu 0xfffd
	v_div_fmas_f64 v[40:41], v[40:41], v[42:43], v[44:45]
	v_fma_f64 v[42:43], v[7:8], v[23:24], v[25:26]
	s_delay_alu instid0(VALU_DEP_2) | instskip(SKIP_1) | instid1(VALU_DEP_2)
	v_div_fixup_f64 v[9:10], v[40:41], v[9:10], 1.0
	v_fma_f64 v[40:41], v[7:8], v[25:26], -v[23:24]
	v_mul_f64_e32 v[7:8], v[42:43], v[9:10]
	s_delay_alu instid0(VALU_DEP_2)
	v_mul_f64_e32 v[9:10], v[40:41], v[9:10]
.LBB223_93:                             ;   in Loop: Header=BB223_81 Depth=2
	s_wait_alu 0xfffe
	s_and_not1_b32 vcc_lo, exec_lo, s37
	s_wait_alu 0xfffe
	s_cbranch_vccnz .LBB223_95
; %bb.94:                               ;   in Loop: Header=BB223_81 Depth=2
	v_div_scale_f64 v[7:8], null, v[19:20], v[19:20], v[21:22]
	v_div_scale_f64 v[42:43], vcc_lo, v[21:22], v[19:20], v[21:22]
	s_delay_alu instid0(VALU_DEP_2) | instskip(NEXT) | instid1(TRANS32_DEP_1)
	v_rcp_f64_e32 v[9:10], v[7:8]
	v_fma_f64 v[40:41], -v[7:8], v[9:10], 1.0
	s_delay_alu instid0(VALU_DEP_1) | instskip(NEXT) | instid1(VALU_DEP_1)
	v_fma_f64 v[9:10], v[9:10], v[40:41], v[9:10]
	v_fma_f64 v[40:41], -v[7:8], v[9:10], 1.0
	s_delay_alu instid0(VALU_DEP_1) | instskip(NEXT) | instid1(VALU_DEP_1)
	v_fma_f64 v[9:10], v[9:10], v[40:41], v[9:10]
	v_mul_f64_e32 v[40:41], v[42:43], v[9:10]
	s_delay_alu instid0(VALU_DEP_1) | instskip(SKIP_1) | instid1(VALU_DEP_1)
	v_fma_f64 v[7:8], -v[7:8], v[40:41], v[42:43]
	s_wait_alu 0xfffd
	v_div_fmas_f64 v[7:8], v[7:8], v[9:10], v[40:41]
	s_delay_alu instid0(VALU_DEP_1) | instskip(NEXT) | instid1(VALU_DEP_1)
	v_div_fixup_f64 v[7:8], v[7:8], v[19:20], v[21:22]
	v_fma_f64 v[9:10], v[21:22], v[7:8], v[19:20]
	s_delay_alu instid0(VALU_DEP_1) | instskip(SKIP_1) | instid1(VALU_DEP_2)
	v_div_scale_f64 v[19:20], null, v[9:10], v[9:10], 1.0
	v_div_scale_f64 v[42:43], vcc_lo, 1.0, v[9:10], 1.0
	v_rcp_f64_e32 v[21:22], v[19:20]
	s_delay_alu instid0(TRANS32_DEP_1) | instskip(NEXT) | instid1(VALU_DEP_1)
	v_fma_f64 v[40:41], -v[19:20], v[21:22], 1.0
	v_fma_f64 v[21:22], v[21:22], v[40:41], v[21:22]
	s_delay_alu instid0(VALU_DEP_1) | instskip(NEXT) | instid1(VALU_DEP_1)
	v_fma_f64 v[40:41], -v[19:20], v[21:22], 1.0
	v_fma_f64 v[21:22], v[21:22], v[40:41], v[21:22]
	s_delay_alu instid0(VALU_DEP_1) | instskip(NEXT) | instid1(VALU_DEP_1)
	v_mul_f64_e32 v[40:41], v[42:43], v[21:22]
	v_fma_f64 v[19:20], -v[19:20], v[40:41], v[42:43]
	s_wait_alu 0xfffd
	s_delay_alu instid0(VALU_DEP_1) | instskip(SKIP_1) | instid1(VALU_DEP_2)
	v_div_fmas_f64 v[19:20], v[19:20], v[21:22], v[40:41]
	v_fma_f64 v[21:22], v[7:8], v[25:26], v[23:24]
	v_div_fixup_f64 v[9:10], v[19:20], v[9:10], 1.0
	v_fma_f64 v[19:20], -v[7:8], v[23:24], v[25:26]
	s_delay_alu instid0(VALU_DEP_2) | instskip(NEXT) | instid1(VALU_DEP_2)
	v_mul_f64_e32 v[7:8], v[21:22], v[9:10]
	v_mul_f64_e32 v[9:10], v[19:20], v[9:10]
.LBB223_95:                             ;   in Loop: Header=BB223_81 Depth=2
	s_add_co_i32 s37, s36, 0xfffffec0
	ds_store_b128 v31, v[7:10]
	s_wait_alu 0xfffe
	v_mov_b32_e32 v19, s37
	s_add_co_i32 s37, s36, 0xfffffeb0
	s_wait_alu 0xfffe
	v_mov_b32_e32 v23, s37
	s_add_co_i32 s37, s36, 0xfffffea0
	ds_load_b128 v[19:22], v19
	s_addk_co_i32 s36, 0xfe90
	ds_load_b128 v[23:26], v23
	s_wait_dscnt 0x1
	v_mul_f64_e32 v[40:41], v[13:14], v[21:22]
	v_mul_f64_e32 v[21:22], v[11:12], v[21:22]
	s_delay_alu instid0(VALU_DEP_2) | instskip(SKIP_2) | instid1(VALU_DEP_3)
	v_fma_f64 v[40:41], v[11:12], v[19:20], -v[40:41]
	s_wait_alu 0xfffe
	v_mov_b32_e32 v11, s37
	v_fma_f64 v[44:45], v[13:14], v[19:20], v[21:22]
	ds_load_b128 v[19:22], v11
	s_wait_dscnt 0x1
	v_mul_f64_e32 v[42:43], v[17:18], v[25:26]
	v_mul_f64_e32 v[25:26], v[15:16], v[25:26]
	v_mov_b32_e32 v11, s36
	ds_load_b128 v[11:14], v11
	s_wait_dscnt 0x1
	v_mul_f64_e32 v[46:47], v[9:10], v[21:22]
	v_mul_f64_e32 v[21:22], v[7:8], v[21:22]
	s_wait_dscnt 0x0
	v_cmp_ngt_f64_e64 s36, |v[11:12]|, |v[13:14]|
	v_add_f64_e64 v[3:4], v[3:4], -v[40:41]
	v_add_f64_e64 v[5:6], v[5:6], -v[44:45]
	v_fma_f64 v[15:16], v[15:16], v[23:24], -v[42:43]
	v_fma_f64 v[17:18], v[17:18], v[23:24], v[25:26]
	v_fma_f64 v[23:24], v[7:8], v[19:20], -v[46:47]
	v_fma_f64 v[19:20], v[9:10], v[19:20], v[21:22]
	s_and_b32 vcc_lo, exec_lo, s36
	s_mov_b32 s36, -1
	s_delay_alu instid0(VALU_DEP_4) | instskip(NEXT) | instid1(VALU_DEP_4)
	v_add_f64_e64 v[3:4], v[3:4], -v[15:16]
	v_add_f64_e64 v[5:6], v[5:6], -v[17:18]
	s_delay_alu instid0(VALU_DEP_2) | instskip(NEXT) | instid1(VALU_DEP_2)
	v_add_f64_e64 v[15:16], v[3:4], -v[23:24]
	v_add_f64_e64 v[17:18], v[5:6], -v[19:20]
                                        ; implicit-def: $vgpr5_vgpr6
	s_wait_alu 0xfffe
	s_cbranch_vccz .LBB223_97
; %bb.96:                               ;   in Loop: Header=BB223_81 Depth=2
	v_div_scale_f64 v[3:4], null, v[13:14], v[13:14], v[11:12]
	v_div_scale_f64 v[9:10], vcc_lo, v[11:12], v[13:14], v[11:12]
	s_mov_b32 s36, 0
	v_rcp_f64_e32 v[5:6], v[3:4]
	s_delay_alu instid0(TRANS32_DEP_1) | instskip(NEXT) | instid1(VALU_DEP_1)
	v_fma_f64 v[7:8], -v[3:4], v[5:6], 1.0
	v_fma_f64 v[5:6], v[5:6], v[7:8], v[5:6]
	s_delay_alu instid0(VALU_DEP_1) | instskip(NEXT) | instid1(VALU_DEP_1)
	v_fma_f64 v[7:8], -v[3:4], v[5:6], 1.0
	v_fma_f64 v[5:6], v[5:6], v[7:8], v[5:6]
	s_delay_alu instid0(VALU_DEP_1) | instskip(NEXT) | instid1(VALU_DEP_1)
	v_mul_f64_e32 v[7:8], v[9:10], v[5:6]
	v_fma_f64 v[3:4], -v[3:4], v[7:8], v[9:10]
	s_wait_alu 0xfffd
	s_delay_alu instid0(VALU_DEP_1) | instskip(NEXT) | instid1(VALU_DEP_1)
	v_div_fmas_f64 v[3:4], v[3:4], v[5:6], v[7:8]
	v_div_fixup_f64 v[3:4], v[3:4], v[13:14], v[11:12]
	s_delay_alu instid0(VALU_DEP_1) | instskip(NEXT) | instid1(VALU_DEP_1)
	v_fma_f64 v[5:6], v[11:12], v[3:4], v[13:14]
	v_div_scale_f64 v[7:8], null, v[5:6], v[5:6], 1.0
	v_div_scale_f64 v[21:22], vcc_lo, 1.0, v[5:6], 1.0
	s_delay_alu instid0(VALU_DEP_2) | instskip(NEXT) | instid1(TRANS32_DEP_1)
	v_rcp_f64_e32 v[9:10], v[7:8]
	v_fma_f64 v[19:20], -v[7:8], v[9:10], 1.0
	s_delay_alu instid0(VALU_DEP_1) | instskip(NEXT) | instid1(VALU_DEP_1)
	v_fma_f64 v[9:10], v[9:10], v[19:20], v[9:10]
	v_fma_f64 v[19:20], -v[7:8], v[9:10], 1.0
	s_delay_alu instid0(VALU_DEP_1) | instskip(NEXT) | instid1(VALU_DEP_1)
	v_fma_f64 v[9:10], v[9:10], v[19:20], v[9:10]
	v_mul_f64_e32 v[19:20], v[21:22], v[9:10]
	s_delay_alu instid0(VALU_DEP_1) | instskip(SKIP_1) | instid1(VALU_DEP_1)
	v_fma_f64 v[7:8], -v[7:8], v[19:20], v[21:22]
	s_wait_alu 0xfffd
	v_div_fmas_f64 v[7:8], v[7:8], v[9:10], v[19:20]
	v_fma_f64 v[9:10], v[3:4], v[15:16], v[17:18]
	s_delay_alu instid0(VALU_DEP_2) | instskip(SKIP_1) | instid1(VALU_DEP_2)
	v_div_fixup_f64 v[5:6], v[7:8], v[5:6], 1.0
	v_fma_f64 v[7:8], v[3:4], v[17:18], -v[15:16]
	v_mul_f64_e32 v[3:4], v[9:10], v[5:6]
	s_delay_alu instid0(VALU_DEP_2)
	v_mul_f64_e32 v[5:6], v[7:8], v[5:6]
.LBB223_97:                             ;   in Loop: Header=BB223_81 Depth=2
	s_wait_alu 0xfffe
	s_and_not1_b32 vcc_lo, exec_lo, s36
	s_wait_alu 0xfffe
	s_cbranch_vccnz .LBB223_99
; %bb.98:                               ;   in Loop: Header=BB223_81 Depth=2
	v_div_scale_f64 v[3:4], null, v[11:12], v[11:12], v[13:14]
	v_div_scale_f64 v[9:10], vcc_lo, v[13:14], v[11:12], v[13:14]
	s_delay_alu instid0(VALU_DEP_2) | instskip(NEXT) | instid1(TRANS32_DEP_1)
	v_rcp_f64_e32 v[5:6], v[3:4]
	v_fma_f64 v[7:8], -v[3:4], v[5:6], 1.0
	s_delay_alu instid0(VALU_DEP_1) | instskip(NEXT) | instid1(VALU_DEP_1)
	v_fma_f64 v[5:6], v[5:6], v[7:8], v[5:6]
	v_fma_f64 v[7:8], -v[3:4], v[5:6], 1.0
	s_delay_alu instid0(VALU_DEP_1) | instskip(NEXT) | instid1(VALU_DEP_1)
	v_fma_f64 v[5:6], v[5:6], v[7:8], v[5:6]
	v_mul_f64_e32 v[7:8], v[9:10], v[5:6]
	s_delay_alu instid0(VALU_DEP_1) | instskip(SKIP_1) | instid1(VALU_DEP_1)
	v_fma_f64 v[3:4], -v[3:4], v[7:8], v[9:10]
	s_wait_alu 0xfffd
	v_div_fmas_f64 v[3:4], v[3:4], v[5:6], v[7:8]
	s_delay_alu instid0(VALU_DEP_1) | instskip(NEXT) | instid1(VALU_DEP_1)
	v_div_fixup_f64 v[3:4], v[3:4], v[11:12], v[13:14]
	v_fma_f64 v[5:6], v[13:14], v[3:4], v[11:12]
	s_delay_alu instid0(VALU_DEP_1) | instskip(SKIP_1) | instid1(VALU_DEP_2)
	v_div_scale_f64 v[7:8], null, v[5:6], v[5:6], 1.0
	v_div_scale_f64 v[13:14], vcc_lo, 1.0, v[5:6], 1.0
	v_rcp_f64_e32 v[9:10], v[7:8]
	s_delay_alu instid0(TRANS32_DEP_1) | instskip(NEXT) | instid1(VALU_DEP_1)
	v_fma_f64 v[11:12], -v[7:8], v[9:10], 1.0
	v_fma_f64 v[9:10], v[9:10], v[11:12], v[9:10]
	s_delay_alu instid0(VALU_DEP_1) | instskip(NEXT) | instid1(VALU_DEP_1)
	v_fma_f64 v[11:12], -v[7:8], v[9:10], 1.0
	v_fma_f64 v[9:10], v[9:10], v[11:12], v[9:10]
	s_delay_alu instid0(VALU_DEP_1) | instskip(NEXT) | instid1(VALU_DEP_1)
	v_mul_f64_e32 v[11:12], v[13:14], v[9:10]
	v_fma_f64 v[7:8], -v[7:8], v[11:12], v[13:14]
	s_wait_alu 0xfffd
	s_delay_alu instid0(VALU_DEP_1) | instskip(SKIP_1) | instid1(VALU_DEP_2)
	v_div_fmas_f64 v[7:8], v[7:8], v[9:10], v[11:12]
	v_fma_f64 v[9:10], v[3:4], v[17:18], v[15:16]
	v_div_fixup_f64 v[5:6], v[7:8], v[5:6], 1.0
	v_fma_f64 v[7:8], -v[3:4], v[15:16], v[17:18]
	s_delay_alu instid0(VALU_DEP_2) | instskip(NEXT) | instid1(VALU_DEP_2)
	v_mul_f64_e32 v[3:4], v[9:10], v[5:6]
	v_mul_f64_e32 v[5:6], v[7:8], v[5:6]
.LBB223_99:                             ;   in Loop: Header=BB223_81 Depth=2
	s_add_co_i32 s36, s21, -4
	s_addk_co_i32 s20, 0xfb00
	s_cmp_lt_i32 s21, 7
	ds_store_b128 v30, v[3:6]
	s_cbranch_scc1 .LBB223_101
; %bb.100:                              ;   in Loop: Header=BB223_81 Depth=2
	s_wait_alu 0xfffe
	s_mov_b32 s21, s36
	s_branch .LBB223_81
.LBB223_101:                            ;   in Loop: Header=BB223_3 Depth=1
	s_wait_alu 0xfffe
	s_cmp_lt_i32 s36, 0
	s_cbranch_scc1 .LBB223_110
; %bb.102:                              ;   in Loop: Header=BB223_3 Depth=1
	s_mul_i32 s20, s36, 0x140
	s_wait_alu 0xfffe
	s_add_co_i32 s20, s35, s20
	s_branch .LBB223_104
.LBB223_103:                            ;   in Loop: Header=BB223_104 Depth=2
	v_sub_co_u32 v3, s21, s36, 1
	s_and_b32 vcc_lo, exec_lo, s21
	s_addk_co_i32 s20, 0xfec0
	ds_store_b128 v15, v[11:14]
	v_readfirstlane_b32 s36, v3
	s_wait_alu 0xfffe
	s_cbranch_vccnz .LBB223_110
.LBB223_104:                            ;   Parent Loop BB223_3 Depth=1
                                        ; =>  This Loop Header: Depth=2
                                        ;       Child Loop BB223_105 Depth 3
	s_wait_alu 0xf1ff
	v_mad_co_u64_u32 v[15:16], null, 0x140, s36, v[27:28]
	v_mov_b32_e32 v7, v38
	s_cmp_le_i32 s27, s36
	s_wait_alu 0xfffe
	s_mov_b32 s21, s20
	s_mov_b32 s37, s27
	ds_load_b128 v[3:6], v15
	s_cbranch_scc1 .LBB223_106
.LBB223_105:                            ;   Parent Loop BB223_3 Depth=1
                                        ;     Parent Loop BB223_104 Depth=2
                                        ; =>    This Inner Loop Header: Depth=3
	s_wait_alu 0xfffe
	v_mov_b32_e32 v12, s21
	s_add_co_i32 s37, s37, -1
	s_add_co_i32 s21, s21, -16
	s_wait_alu 0xfffe
	s_cmp_le_u32 s37, s36
	ds_load_b128 v[8:11], v7
	ds_load_b128 v[16:19], v12
	v_add_nc_u32_e32 v7, 0xfffffec0, v7
	s_wait_dscnt 0x0
	v_mul_f64_e32 v[12:13], v[18:19], v[10:11]
	v_mul_f64_e32 v[10:11], v[16:17], v[10:11]
	s_delay_alu instid0(VALU_DEP_2) | instskip(NEXT) | instid1(VALU_DEP_2)
	v_fma_f64 v[12:13], v[16:17], v[8:9], -v[12:13]
	v_fma_f64 v[8:9], v[18:19], v[8:9], v[10:11]
	s_delay_alu instid0(VALU_DEP_2) | instskip(NEXT) | instid1(VALU_DEP_2)
	v_add_f64_e64 v[3:4], v[3:4], -v[12:13]
	v_add_f64_e64 v[5:6], v[5:6], -v[8:9]
	s_cbranch_scc0 .LBB223_105
.LBB223_106:                            ;   in Loop: Header=BB223_104 Depth=2
	s_mul_i32 s21, s36, 0x150
                                        ; implicit-def: $vgpr11_vgpr12
	s_wait_alu 0xfffe
	v_mov_b32_e32 v7, s21
	ds_load_b128 v[7:10], v7
	s_wait_dscnt 0x0
	v_cmp_ngt_f64_e64 s21, |v[7:8]|, |v[9:10]|
	s_and_b32 vcc_lo, exec_lo, s21
	s_mov_b32 s21, -1
	s_wait_alu 0xfffe
	s_cbranch_vccz .LBB223_108
; %bb.107:                              ;   in Loop: Header=BB223_104 Depth=2
	v_div_scale_f64 v[11:12], null, v[9:10], v[9:10], v[7:8]
	v_div_scale_f64 v[18:19], vcc_lo, v[7:8], v[9:10], v[7:8]
	s_mov_b32 s21, 0
	v_rcp_f64_e32 v[13:14], v[11:12]
	s_delay_alu instid0(TRANS32_DEP_1) | instskip(NEXT) | instid1(VALU_DEP_1)
	v_fma_f64 v[16:17], -v[11:12], v[13:14], 1.0
	v_fma_f64 v[13:14], v[13:14], v[16:17], v[13:14]
	s_delay_alu instid0(VALU_DEP_1) | instskip(NEXT) | instid1(VALU_DEP_1)
	v_fma_f64 v[16:17], -v[11:12], v[13:14], 1.0
	v_fma_f64 v[13:14], v[13:14], v[16:17], v[13:14]
	s_delay_alu instid0(VALU_DEP_1) | instskip(NEXT) | instid1(VALU_DEP_1)
	v_mul_f64_e32 v[16:17], v[18:19], v[13:14]
	v_fma_f64 v[11:12], -v[11:12], v[16:17], v[18:19]
	s_wait_alu 0xfffd
	s_delay_alu instid0(VALU_DEP_1) | instskip(NEXT) | instid1(VALU_DEP_1)
	v_div_fmas_f64 v[11:12], v[11:12], v[13:14], v[16:17]
	v_div_fixup_f64 v[11:12], v[11:12], v[9:10], v[7:8]
	s_delay_alu instid0(VALU_DEP_1) | instskip(NEXT) | instid1(VALU_DEP_1)
	v_fma_f64 v[13:14], v[7:8], v[11:12], v[9:10]
	v_div_scale_f64 v[16:17], null, v[13:14], v[13:14], 1.0
	v_div_scale_f64 v[22:23], vcc_lo, 1.0, v[13:14], 1.0
	s_delay_alu instid0(VALU_DEP_2) | instskip(NEXT) | instid1(TRANS32_DEP_1)
	v_rcp_f64_e32 v[18:19], v[16:17]
	v_fma_f64 v[20:21], -v[16:17], v[18:19], 1.0
	s_delay_alu instid0(VALU_DEP_1) | instskip(NEXT) | instid1(VALU_DEP_1)
	v_fma_f64 v[18:19], v[18:19], v[20:21], v[18:19]
	v_fma_f64 v[20:21], -v[16:17], v[18:19], 1.0
	s_delay_alu instid0(VALU_DEP_1) | instskip(NEXT) | instid1(VALU_DEP_1)
	v_fma_f64 v[18:19], v[18:19], v[20:21], v[18:19]
	v_mul_f64_e32 v[20:21], v[22:23], v[18:19]
	s_delay_alu instid0(VALU_DEP_1) | instskip(SKIP_1) | instid1(VALU_DEP_1)
	v_fma_f64 v[16:17], -v[16:17], v[20:21], v[22:23]
	s_wait_alu 0xfffd
	v_div_fmas_f64 v[16:17], v[16:17], v[18:19], v[20:21]
	v_fma_f64 v[18:19], v[3:4], v[11:12], v[5:6]
	s_delay_alu instid0(VALU_DEP_2) | instskip(SKIP_1) | instid1(VALU_DEP_2)
	v_div_fixup_f64 v[13:14], v[16:17], v[13:14], 1.0
	v_fma_f64 v[16:17], v[5:6], v[11:12], -v[3:4]
	v_mul_f64_e32 v[11:12], v[18:19], v[13:14]
	s_delay_alu instid0(VALU_DEP_2)
	v_mul_f64_e32 v[13:14], v[16:17], v[13:14]
.LBB223_108:                            ;   in Loop: Header=BB223_104 Depth=2
	s_wait_alu 0xfffe
	s_and_not1_b32 vcc_lo, exec_lo, s21
	s_wait_alu 0xfffe
	s_cbranch_vccnz .LBB223_103
; %bb.109:                              ;   in Loop: Header=BB223_104 Depth=2
	v_div_scale_f64 v[11:12], null, v[7:8], v[7:8], v[9:10]
	v_div_scale_f64 v[18:19], vcc_lo, v[9:10], v[7:8], v[9:10]
	s_delay_alu instid0(VALU_DEP_2) | instskip(NEXT) | instid1(TRANS32_DEP_1)
	v_rcp_f64_e32 v[13:14], v[11:12]
	v_fma_f64 v[16:17], -v[11:12], v[13:14], 1.0
	s_delay_alu instid0(VALU_DEP_1) | instskip(NEXT) | instid1(VALU_DEP_1)
	v_fma_f64 v[13:14], v[13:14], v[16:17], v[13:14]
	v_fma_f64 v[16:17], -v[11:12], v[13:14], 1.0
	s_delay_alu instid0(VALU_DEP_1) | instskip(NEXT) | instid1(VALU_DEP_1)
	v_fma_f64 v[13:14], v[13:14], v[16:17], v[13:14]
	v_mul_f64_e32 v[16:17], v[18:19], v[13:14]
	s_delay_alu instid0(VALU_DEP_1) | instskip(SKIP_1) | instid1(VALU_DEP_1)
	v_fma_f64 v[11:12], -v[11:12], v[16:17], v[18:19]
	s_wait_alu 0xfffd
	v_div_fmas_f64 v[11:12], v[11:12], v[13:14], v[16:17]
	s_delay_alu instid0(VALU_DEP_1) | instskip(NEXT) | instid1(VALU_DEP_1)
	v_div_fixup_f64 v[11:12], v[11:12], v[7:8], v[9:10]
	v_fma_f64 v[7:8], v[9:10], v[11:12], v[7:8]
	s_delay_alu instid0(VALU_DEP_1) | instskip(SKIP_1) | instid1(VALU_DEP_2)
	v_div_scale_f64 v[9:10], null, v[7:8], v[7:8], 1.0
	v_div_scale_f64 v[18:19], vcc_lo, 1.0, v[7:8], 1.0
	v_rcp_f64_e32 v[13:14], v[9:10]
	s_delay_alu instid0(TRANS32_DEP_1) | instskip(NEXT) | instid1(VALU_DEP_1)
	v_fma_f64 v[16:17], -v[9:10], v[13:14], 1.0
	v_fma_f64 v[13:14], v[13:14], v[16:17], v[13:14]
	s_delay_alu instid0(VALU_DEP_1) | instskip(NEXT) | instid1(VALU_DEP_1)
	v_fma_f64 v[16:17], -v[9:10], v[13:14], 1.0
	v_fma_f64 v[13:14], v[13:14], v[16:17], v[13:14]
	s_delay_alu instid0(VALU_DEP_1) | instskip(NEXT) | instid1(VALU_DEP_1)
	v_mul_f64_e32 v[16:17], v[18:19], v[13:14]
	v_fma_f64 v[9:10], -v[9:10], v[16:17], v[18:19]
	s_wait_alu 0xfffd
	s_delay_alu instid0(VALU_DEP_1) | instskip(SKIP_2) | instid1(VALU_DEP_3)
	v_div_fmas_f64 v[9:10], v[9:10], v[13:14], v[16:17]
	v_fma_f64 v[13:14], v[5:6], v[11:12], v[3:4]
	v_fma_f64 v[3:4], -v[3:4], v[11:12], v[5:6]
	v_div_fixup_f64 v[7:8], v[9:10], v[7:8], 1.0
	s_delay_alu instid0(VALU_DEP_1) | instskip(NEXT) | instid1(VALU_DEP_3)
	v_mul_f64_e32 v[11:12], v[13:14], v[7:8]
	v_mul_f64_e32 v[13:14], v[3:4], v[7:8]
	s_branch .LBB223_103
.LBB223_110:                            ;   in Loop: Header=BB223_3 Depth=1
	s_mov_b32 s20, 0
.LBB223_111:                            ;   in Loop: Header=BB223_3 Depth=1
	s_wait_alu 0xfffe
	s_and_not1_b32 vcc_lo, exec_lo, s20
	s_wait_alu 0xfffe
	s_cbranch_vccnz .LBB223_143
; %bb.112:                              ;   in Loop: Header=BB223_3 Depth=1
	s_and_not1_b32 vcc_lo, exec_lo, s22
	s_mov_b32 s36, 0
	s_wait_alu 0xfffe
	s_cbranch_vccnz .LBB223_134
; %bb.113:                              ;   in Loop: Header=BB223_3 Depth=1
	s_mov_b32 s20, 0
	s_mov_b32 s21, 0
.LBB223_114:                            ;   Parent Loop BB223_3 Depth=1
                                        ; =>  This Loop Header: Depth=2
                                        ;       Child Loop BB223_115 Depth 3
	s_wait_alu 0xfffe
	s_mul_i32 s36, s21, 20
	v_mov_b32_e32 v11, v27
	s_wait_alu 0xfffe
	v_lshl_add_u32 v30, s36, 4, v27
	s_cmp_eq_u32 s21, 0
	s_mov_b32 s37, s20
	s_mov_b32 s38, s21
	ds_load_b128 v[19:22], v30
	ds_load_b128 v[15:18], v30 offset:320
	ds_load_b128 v[7:10], v30 offset:640
	;; [unrolled: 1-line block ×3, first 2 shown]
	s_cbranch_scc1 .LBB223_116
.LBB223_115:                            ;   Parent Loop BB223_3 Depth=1
                                        ;     Parent Loop BB223_114 Depth=2
                                        ; =>    This Inner Loop Header: Depth=3
	s_wait_alu 0xfffe
	v_mov_b32_e32 v12, s37
	s_add_co_i32 s38, s38, -1
	s_add_co_i32 s37, s37, 16
	s_wait_alu 0xfffe
	s_cmp_eq_u32 s38, 0
	ds_load_b128 v[23:26], v11
	ds_load_b128 v[40:43], v12
	ds_load_b128 v[44:47], v12 offset:320
	ds_load_b128 v[48:51], v12 offset:640
	;; [unrolled: 1-line block ×3, first 2 shown]
	v_add_nc_u32_e32 v11, 0x140, v11
	s_wait_dscnt 0x3
	v_mul_f64_e32 v[12:13], v[25:26], v[42:43]
	v_mul_f64_e32 v[42:43], v[23:24], v[42:43]
	s_wait_dscnt 0x2
	v_mul_f64_e32 v[56:57], v[25:26], v[46:47]
	v_mul_f64_e32 v[46:47], v[23:24], v[46:47]
	;; [unrolled: 3-line block ×4, first 2 shown]
	v_fma_f64 v[12:13], v[23:24], v[40:41], -v[12:13]
	v_fma_f64 v[40:41], v[25:26], v[40:41], v[42:43]
	v_fma_f64 v[42:43], v[23:24], v[44:45], -v[56:57]
	v_fma_f64 v[44:45], v[25:26], v[44:45], v[46:47]
	;; [unrolled: 2-line block ×4, first 2 shown]
	v_add_f64_e64 v[19:20], v[19:20], -v[12:13]
	v_add_f64_e64 v[21:22], v[21:22], -v[40:41]
	;; [unrolled: 1-line block ×8, first 2 shown]
	s_cbranch_scc0 .LBB223_115
.LBB223_116:                            ;   in Loop: Header=BB223_114 Depth=2
	s_mul_i32 s37, s21, 0x150
	s_wait_alu 0xfffe
	v_mov_b32_e32 v11, s37
	ds_load_b128 v[23:26], v11
                                        ; implicit-def: $vgpr13_vgpr14
	s_wait_dscnt 0x0
	v_cmp_ngt_f64_e64 s37, |v[23:24]|, |v[25:26]|
	s_and_b32 vcc_lo, exec_lo, s37
	s_mov_b32 s37, -1
	s_wait_alu 0xfffe
	s_cbranch_vccz .LBB223_118
; %bb.117:                              ;   in Loop: Header=BB223_114 Depth=2
	v_div_scale_f64 v[11:12], null, v[25:26], v[25:26], v[23:24]
	v_div_scale_f64 v[42:43], vcc_lo, v[23:24], v[25:26], v[23:24]
	s_mov_b32 s37, 0
	v_rcp_f64_e32 v[13:14], v[11:12]
	s_delay_alu instid0(TRANS32_DEP_1) | instskip(NEXT) | instid1(VALU_DEP_1)
	v_fma_f64 v[40:41], -v[11:12], v[13:14], 1.0
	v_fma_f64 v[13:14], v[13:14], v[40:41], v[13:14]
	s_delay_alu instid0(VALU_DEP_1) | instskip(NEXT) | instid1(VALU_DEP_1)
	v_fma_f64 v[40:41], -v[11:12], v[13:14], 1.0
	v_fma_f64 v[13:14], v[13:14], v[40:41], v[13:14]
	s_delay_alu instid0(VALU_DEP_1) | instskip(NEXT) | instid1(VALU_DEP_1)
	v_mul_f64_e32 v[40:41], v[42:43], v[13:14]
	v_fma_f64 v[11:12], -v[11:12], v[40:41], v[42:43]
	s_wait_alu 0xfffd
	s_delay_alu instid0(VALU_DEP_1) | instskip(NEXT) | instid1(VALU_DEP_1)
	v_div_fmas_f64 v[11:12], v[11:12], v[13:14], v[40:41]
	v_div_fixup_f64 v[11:12], v[11:12], v[25:26], v[23:24]
	s_delay_alu instid0(VALU_DEP_1) | instskip(NEXT) | instid1(VALU_DEP_1)
	v_fma_f64 v[13:14], v[23:24], v[11:12], v[25:26]
	v_div_scale_f64 v[40:41], null, v[13:14], v[13:14], 1.0
	v_div_scale_f64 v[46:47], vcc_lo, 1.0, v[13:14], 1.0
	s_delay_alu instid0(VALU_DEP_2) | instskip(NEXT) | instid1(TRANS32_DEP_1)
	v_rcp_f64_e32 v[42:43], v[40:41]
	v_fma_f64 v[44:45], -v[40:41], v[42:43], 1.0
	s_delay_alu instid0(VALU_DEP_1) | instskip(NEXT) | instid1(VALU_DEP_1)
	v_fma_f64 v[42:43], v[42:43], v[44:45], v[42:43]
	v_fma_f64 v[44:45], -v[40:41], v[42:43], 1.0
	s_delay_alu instid0(VALU_DEP_1) | instskip(NEXT) | instid1(VALU_DEP_1)
	v_fma_f64 v[42:43], v[42:43], v[44:45], v[42:43]
	v_mul_f64_e32 v[44:45], v[46:47], v[42:43]
	s_delay_alu instid0(VALU_DEP_1) | instskip(SKIP_1) | instid1(VALU_DEP_1)
	v_fma_f64 v[40:41], -v[40:41], v[44:45], v[46:47]
	s_wait_alu 0xfffd
	v_div_fmas_f64 v[40:41], v[40:41], v[42:43], v[44:45]
	v_fma_f64 v[42:43], v[19:20], v[11:12], v[21:22]
	s_delay_alu instid0(VALU_DEP_2) | instskip(SKIP_1) | instid1(VALU_DEP_2)
	v_div_fixup_f64 v[13:14], v[40:41], v[13:14], 1.0
	v_fma_f64 v[40:41], v[21:22], v[11:12], -v[19:20]
	v_mul_f64_e32 v[11:12], v[42:43], v[13:14]
	s_delay_alu instid0(VALU_DEP_2)
	v_mul_f64_e32 v[13:14], v[40:41], v[13:14]
.LBB223_118:                            ;   in Loop: Header=BB223_114 Depth=2
	s_wait_alu 0xfffe
	s_and_not1_b32 vcc_lo, exec_lo, s37
	s_wait_alu 0xfffe
	s_cbranch_vccnz .LBB223_120
; %bb.119:                              ;   in Loop: Header=BB223_114 Depth=2
	v_div_scale_f64 v[11:12], null, v[23:24], v[23:24], v[25:26]
	v_div_scale_f64 v[42:43], vcc_lo, v[25:26], v[23:24], v[25:26]
	s_delay_alu instid0(VALU_DEP_2) | instskip(NEXT) | instid1(TRANS32_DEP_1)
	v_rcp_f64_e32 v[13:14], v[11:12]
	v_fma_f64 v[40:41], -v[11:12], v[13:14], 1.0
	s_delay_alu instid0(VALU_DEP_1) | instskip(NEXT) | instid1(VALU_DEP_1)
	v_fma_f64 v[13:14], v[13:14], v[40:41], v[13:14]
	v_fma_f64 v[40:41], -v[11:12], v[13:14], 1.0
	s_delay_alu instid0(VALU_DEP_1) | instskip(NEXT) | instid1(VALU_DEP_1)
	v_fma_f64 v[13:14], v[13:14], v[40:41], v[13:14]
	v_mul_f64_e32 v[40:41], v[42:43], v[13:14]
	s_delay_alu instid0(VALU_DEP_1) | instskip(SKIP_1) | instid1(VALU_DEP_1)
	v_fma_f64 v[11:12], -v[11:12], v[40:41], v[42:43]
	s_wait_alu 0xfffd
	v_div_fmas_f64 v[11:12], v[11:12], v[13:14], v[40:41]
	s_delay_alu instid0(VALU_DEP_1) | instskip(NEXT) | instid1(VALU_DEP_1)
	v_div_fixup_f64 v[11:12], v[11:12], v[23:24], v[25:26]
	v_fma_f64 v[13:14], v[25:26], v[11:12], v[23:24]
	s_delay_alu instid0(VALU_DEP_1) | instskip(SKIP_1) | instid1(VALU_DEP_2)
	v_div_scale_f64 v[23:24], null, v[13:14], v[13:14], 1.0
	v_div_scale_f64 v[42:43], vcc_lo, 1.0, v[13:14], 1.0
	v_rcp_f64_e32 v[25:26], v[23:24]
	s_delay_alu instid0(TRANS32_DEP_1) | instskip(NEXT) | instid1(VALU_DEP_1)
	v_fma_f64 v[40:41], -v[23:24], v[25:26], 1.0
	v_fma_f64 v[25:26], v[25:26], v[40:41], v[25:26]
	s_delay_alu instid0(VALU_DEP_1) | instskip(NEXT) | instid1(VALU_DEP_1)
	v_fma_f64 v[40:41], -v[23:24], v[25:26], 1.0
	v_fma_f64 v[25:26], v[25:26], v[40:41], v[25:26]
	s_delay_alu instid0(VALU_DEP_1) | instskip(NEXT) | instid1(VALU_DEP_1)
	v_mul_f64_e32 v[40:41], v[42:43], v[25:26]
	v_fma_f64 v[23:24], -v[23:24], v[40:41], v[42:43]
	s_wait_alu 0xfffd
	s_delay_alu instid0(VALU_DEP_1) | instskip(SKIP_2) | instid1(VALU_DEP_3)
	v_div_fmas_f64 v[23:24], v[23:24], v[25:26], v[40:41]
	v_fma_f64 v[25:26], v[21:22], v[11:12], v[19:20]
	v_fma_f64 v[19:20], -v[19:20], v[11:12], v[21:22]
	v_div_fixup_f64 v[13:14], v[23:24], v[13:14], 1.0
	s_delay_alu instid0(VALU_DEP_1) | instskip(NEXT) | instid1(VALU_DEP_3)
	v_mul_f64_e32 v[11:12], v[25:26], v[13:14]
	v_mul_f64_e32 v[13:14], v[19:20], v[13:14]
.LBB223_120:                            ;   in Loop: Header=BB223_114 Depth=2
	s_lshl_b32 s37, s36, 4
	s_lshl_b32 s36, s21, 4
	s_wait_alu 0xfffe
	s_addk_co_i32 s37, 0x140
	s_wait_alu 0xfffe
	s_add_co_i32 s38, s37, s36
	s_wait_alu 0xfffe
	v_mov_b32_e32 v19, s38
	ds_load_b128 v[23:26], v19
	ds_load_b128 v[19:22], v19 offset:16
	ds_store_b128 v30, v[11:14]
	s_wait_dscnt 0x2
	v_mul_f64_e32 v[40:41], v[13:14], v[25:26]
	v_mul_f64_e32 v[25:26], v[11:12], v[25:26]
	s_wait_dscnt 0x1
	v_cmp_ngt_f64_e64 s38, |v[19:20]|, |v[21:22]|
	s_delay_alu instid0(VALU_DEP_3) | instskip(NEXT) | instid1(VALU_DEP_3)
	v_fma_f64 v[40:41], v[11:12], v[23:24], -v[40:41]
	v_fma_f64 v[25:26], v[13:14], v[23:24], v[25:26]
	s_and_b32 vcc_lo, exec_lo, s38
	s_mov_b32 s38, -1
	s_delay_alu instid0(VALU_DEP_2) | instskip(NEXT) | instid1(VALU_DEP_2)
	v_add_f64_e64 v[23:24], v[15:16], -v[40:41]
	v_add_f64_e64 v[25:26], v[17:18], -v[25:26]
                                        ; implicit-def: $vgpr17_vgpr18
	s_wait_alu 0xfffe
	s_cbranch_vccz .LBB223_122
; %bb.121:                              ;   in Loop: Header=BB223_114 Depth=2
	v_div_scale_f64 v[15:16], null, v[21:22], v[21:22], v[19:20]
	v_div_scale_f64 v[42:43], vcc_lo, v[19:20], v[21:22], v[19:20]
	s_mov_b32 s38, 0
	v_rcp_f64_e32 v[17:18], v[15:16]
	s_delay_alu instid0(TRANS32_DEP_1) | instskip(NEXT) | instid1(VALU_DEP_1)
	v_fma_f64 v[40:41], -v[15:16], v[17:18], 1.0
	v_fma_f64 v[17:18], v[17:18], v[40:41], v[17:18]
	s_delay_alu instid0(VALU_DEP_1) | instskip(NEXT) | instid1(VALU_DEP_1)
	v_fma_f64 v[40:41], -v[15:16], v[17:18], 1.0
	v_fma_f64 v[17:18], v[17:18], v[40:41], v[17:18]
	s_delay_alu instid0(VALU_DEP_1) | instskip(NEXT) | instid1(VALU_DEP_1)
	v_mul_f64_e32 v[40:41], v[42:43], v[17:18]
	v_fma_f64 v[15:16], -v[15:16], v[40:41], v[42:43]
	s_wait_alu 0xfffd
	s_delay_alu instid0(VALU_DEP_1) | instskip(NEXT) | instid1(VALU_DEP_1)
	v_div_fmas_f64 v[15:16], v[15:16], v[17:18], v[40:41]
	v_div_fixup_f64 v[15:16], v[15:16], v[21:22], v[19:20]
	s_delay_alu instid0(VALU_DEP_1) | instskip(NEXT) | instid1(VALU_DEP_1)
	v_fma_f64 v[17:18], v[19:20], v[15:16], v[21:22]
	v_div_scale_f64 v[40:41], null, v[17:18], v[17:18], 1.0
	v_div_scale_f64 v[46:47], vcc_lo, 1.0, v[17:18], 1.0
	s_delay_alu instid0(VALU_DEP_2) | instskip(NEXT) | instid1(TRANS32_DEP_1)
	v_rcp_f64_e32 v[42:43], v[40:41]
	v_fma_f64 v[44:45], -v[40:41], v[42:43], 1.0
	s_delay_alu instid0(VALU_DEP_1) | instskip(NEXT) | instid1(VALU_DEP_1)
	v_fma_f64 v[42:43], v[42:43], v[44:45], v[42:43]
	v_fma_f64 v[44:45], -v[40:41], v[42:43], 1.0
	s_delay_alu instid0(VALU_DEP_1) | instskip(NEXT) | instid1(VALU_DEP_1)
	v_fma_f64 v[42:43], v[42:43], v[44:45], v[42:43]
	v_mul_f64_e32 v[44:45], v[46:47], v[42:43]
	s_delay_alu instid0(VALU_DEP_1) | instskip(SKIP_1) | instid1(VALU_DEP_1)
	v_fma_f64 v[40:41], -v[40:41], v[44:45], v[46:47]
	s_wait_alu 0xfffd
	v_div_fmas_f64 v[40:41], v[40:41], v[42:43], v[44:45]
	v_fma_f64 v[42:43], v[15:16], v[23:24], v[25:26]
	s_delay_alu instid0(VALU_DEP_2) | instskip(SKIP_1) | instid1(VALU_DEP_2)
	v_div_fixup_f64 v[17:18], v[40:41], v[17:18], 1.0
	v_fma_f64 v[40:41], v[15:16], v[25:26], -v[23:24]
	v_mul_f64_e32 v[15:16], v[42:43], v[17:18]
	s_delay_alu instid0(VALU_DEP_2)
	v_mul_f64_e32 v[17:18], v[40:41], v[17:18]
.LBB223_122:                            ;   in Loop: Header=BB223_114 Depth=2
	s_wait_alu 0xfffe
	s_and_not1_b32 vcc_lo, exec_lo, s38
	s_wait_alu 0xfffe
	s_cbranch_vccnz .LBB223_124
; %bb.123:                              ;   in Loop: Header=BB223_114 Depth=2
	v_div_scale_f64 v[15:16], null, v[19:20], v[19:20], v[21:22]
	v_div_scale_f64 v[42:43], vcc_lo, v[21:22], v[19:20], v[21:22]
	s_delay_alu instid0(VALU_DEP_2) | instskip(NEXT) | instid1(TRANS32_DEP_1)
	v_rcp_f64_e32 v[17:18], v[15:16]
	v_fma_f64 v[40:41], -v[15:16], v[17:18], 1.0
	s_delay_alu instid0(VALU_DEP_1) | instskip(NEXT) | instid1(VALU_DEP_1)
	v_fma_f64 v[17:18], v[17:18], v[40:41], v[17:18]
	v_fma_f64 v[40:41], -v[15:16], v[17:18], 1.0
	s_delay_alu instid0(VALU_DEP_1) | instskip(NEXT) | instid1(VALU_DEP_1)
	v_fma_f64 v[17:18], v[17:18], v[40:41], v[17:18]
	v_mul_f64_e32 v[40:41], v[42:43], v[17:18]
	s_delay_alu instid0(VALU_DEP_1) | instskip(SKIP_1) | instid1(VALU_DEP_1)
	v_fma_f64 v[15:16], -v[15:16], v[40:41], v[42:43]
	s_wait_alu 0xfffd
	v_div_fmas_f64 v[15:16], v[15:16], v[17:18], v[40:41]
	s_delay_alu instid0(VALU_DEP_1) | instskip(NEXT) | instid1(VALU_DEP_1)
	v_div_fixup_f64 v[15:16], v[15:16], v[19:20], v[21:22]
	v_fma_f64 v[17:18], v[21:22], v[15:16], v[19:20]
	s_delay_alu instid0(VALU_DEP_1) | instskip(SKIP_1) | instid1(VALU_DEP_2)
	v_div_scale_f64 v[19:20], null, v[17:18], v[17:18], 1.0
	v_div_scale_f64 v[42:43], vcc_lo, 1.0, v[17:18], 1.0
	v_rcp_f64_e32 v[21:22], v[19:20]
	s_delay_alu instid0(TRANS32_DEP_1) | instskip(NEXT) | instid1(VALU_DEP_1)
	v_fma_f64 v[40:41], -v[19:20], v[21:22], 1.0
	v_fma_f64 v[21:22], v[21:22], v[40:41], v[21:22]
	s_delay_alu instid0(VALU_DEP_1) | instskip(NEXT) | instid1(VALU_DEP_1)
	v_fma_f64 v[40:41], -v[19:20], v[21:22], 1.0
	v_fma_f64 v[21:22], v[21:22], v[40:41], v[21:22]
	s_delay_alu instid0(VALU_DEP_1) | instskip(NEXT) | instid1(VALU_DEP_1)
	v_mul_f64_e32 v[40:41], v[42:43], v[21:22]
	v_fma_f64 v[19:20], -v[19:20], v[40:41], v[42:43]
	s_wait_alu 0xfffd
	s_delay_alu instid0(VALU_DEP_1) | instskip(SKIP_1) | instid1(VALU_DEP_2)
	v_div_fmas_f64 v[19:20], v[19:20], v[21:22], v[40:41]
	v_fma_f64 v[21:22], v[15:16], v[25:26], v[23:24]
	v_div_fixup_f64 v[17:18], v[19:20], v[17:18], 1.0
	v_fma_f64 v[19:20], -v[15:16], v[23:24], v[25:26]
	s_delay_alu instid0(VALU_DEP_2) | instskip(NEXT) | instid1(VALU_DEP_2)
	v_mul_f64_e32 v[15:16], v[21:22], v[17:18]
	v_mul_f64_e32 v[17:18], v[19:20], v[17:18]
.LBB223_124:                            ;   in Loop: Header=BB223_114 Depth=2
	s_addk_co_i32 s37, 0x140
	s_wait_alu 0xfffe
	s_add_co_i32 s36, s37, s36
	s_wait_alu 0xfffe
	v_mov_b32_e32 v31, s36
	ds_load_b128 v[19:22], v31
	ds_load_b128 v[23:26], v31 offset:16
	ds_store_b128 v30, v[15:18] offset:320
	s_wait_dscnt 0x2
	v_mul_f64_e32 v[40:41], v[13:14], v[21:22]
	v_mul_f64_e32 v[21:22], v[11:12], v[21:22]
	s_wait_dscnt 0x1
	v_mul_f64_e32 v[42:43], v[17:18], v[25:26]
	v_mul_f64_e32 v[25:26], v[15:16], v[25:26]
	s_delay_alu instid0(VALU_DEP_4) | instskip(NEXT) | instid1(VALU_DEP_4)
	v_fma_f64 v[40:41], v[11:12], v[19:20], -v[40:41]
	v_fma_f64 v[19:20], v[13:14], v[19:20], v[21:22]
	s_delay_alu instid0(VALU_DEP_4) | instskip(NEXT) | instid1(VALU_DEP_4)
	v_fma_f64 v[21:22], v[15:16], v[23:24], -v[42:43]
	v_fma_f64 v[25:26], v[17:18], v[23:24], v[25:26]
	s_delay_alu instid0(VALU_DEP_4) | instskip(NEXT) | instid1(VALU_DEP_4)
	v_add_f64_e64 v[23:24], v[7:8], -v[40:41]
	v_add_f64_e64 v[19:20], v[9:10], -v[19:20]
	ds_load_b128 v[7:10], v31 offset:32
	s_wait_dscnt 0x0
	v_cmp_ngt_f64_e64 s37, |v[7:8]|, |v[9:10]|
	v_add_f64_e64 v[23:24], v[23:24], -v[21:22]
	v_add_f64_e64 v[25:26], v[19:20], -v[25:26]
                                        ; implicit-def: $vgpr21_vgpr22
	s_and_b32 vcc_lo, exec_lo, s37
	s_mov_b32 s37, -1
	s_wait_alu 0xfffe
	s_cbranch_vccz .LBB223_126
; %bb.125:                              ;   in Loop: Header=BB223_114 Depth=2
	v_div_scale_f64 v[19:20], null, v[9:10], v[9:10], v[7:8]
	v_div_scale_f64 v[42:43], vcc_lo, v[7:8], v[9:10], v[7:8]
	s_mov_b32 s37, 0
	v_rcp_f64_e32 v[21:22], v[19:20]
	s_delay_alu instid0(TRANS32_DEP_1) | instskip(NEXT) | instid1(VALU_DEP_1)
	v_fma_f64 v[40:41], -v[19:20], v[21:22], 1.0
	v_fma_f64 v[21:22], v[21:22], v[40:41], v[21:22]
	s_delay_alu instid0(VALU_DEP_1) | instskip(NEXT) | instid1(VALU_DEP_1)
	v_fma_f64 v[40:41], -v[19:20], v[21:22], 1.0
	v_fma_f64 v[21:22], v[21:22], v[40:41], v[21:22]
	s_delay_alu instid0(VALU_DEP_1) | instskip(NEXT) | instid1(VALU_DEP_1)
	v_mul_f64_e32 v[40:41], v[42:43], v[21:22]
	v_fma_f64 v[19:20], -v[19:20], v[40:41], v[42:43]
	s_wait_alu 0xfffd
	s_delay_alu instid0(VALU_DEP_1) | instskip(NEXT) | instid1(VALU_DEP_1)
	v_div_fmas_f64 v[19:20], v[19:20], v[21:22], v[40:41]
	v_div_fixup_f64 v[19:20], v[19:20], v[9:10], v[7:8]
	s_delay_alu instid0(VALU_DEP_1) | instskip(NEXT) | instid1(VALU_DEP_1)
	v_fma_f64 v[21:22], v[7:8], v[19:20], v[9:10]
	v_div_scale_f64 v[40:41], null, v[21:22], v[21:22], 1.0
	v_div_scale_f64 v[46:47], vcc_lo, 1.0, v[21:22], 1.0
	s_delay_alu instid0(VALU_DEP_2) | instskip(NEXT) | instid1(TRANS32_DEP_1)
	v_rcp_f64_e32 v[42:43], v[40:41]
	v_fma_f64 v[44:45], -v[40:41], v[42:43], 1.0
	s_delay_alu instid0(VALU_DEP_1) | instskip(NEXT) | instid1(VALU_DEP_1)
	v_fma_f64 v[42:43], v[42:43], v[44:45], v[42:43]
	v_fma_f64 v[44:45], -v[40:41], v[42:43], 1.0
	s_delay_alu instid0(VALU_DEP_1) | instskip(NEXT) | instid1(VALU_DEP_1)
	v_fma_f64 v[42:43], v[42:43], v[44:45], v[42:43]
	v_mul_f64_e32 v[44:45], v[46:47], v[42:43]
	s_delay_alu instid0(VALU_DEP_1) | instskip(SKIP_1) | instid1(VALU_DEP_1)
	v_fma_f64 v[40:41], -v[40:41], v[44:45], v[46:47]
	s_wait_alu 0xfffd
	v_div_fmas_f64 v[40:41], v[40:41], v[42:43], v[44:45]
	v_fma_f64 v[42:43], v[19:20], v[23:24], v[25:26]
	s_delay_alu instid0(VALU_DEP_2) | instskip(SKIP_1) | instid1(VALU_DEP_2)
	v_div_fixup_f64 v[21:22], v[40:41], v[21:22], 1.0
	v_fma_f64 v[40:41], v[19:20], v[25:26], -v[23:24]
	v_mul_f64_e32 v[19:20], v[42:43], v[21:22]
	s_delay_alu instid0(VALU_DEP_2)
	v_mul_f64_e32 v[21:22], v[40:41], v[21:22]
.LBB223_126:                            ;   in Loop: Header=BB223_114 Depth=2
	s_wait_alu 0xfffe
	s_and_not1_b32 vcc_lo, exec_lo, s37
	s_wait_alu 0xfffe
	s_cbranch_vccnz .LBB223_128
; %bb.127:                              ;   in Loop: Header=BB223_114 Depth=2
	v_div_scale_f64 v[19:20], null, v[7:8], v[7:8], v[9:10]
	v_div_scale_f64 v[42:43], vcc_lo, v[9:10], v[7:8], v[9:10]
	s_delay_alu instid0(VALU_DEP_2) | instskip(NEXT) | instid1(TRANS32_DEP_1)
	v_rcp_f64_e32 v[21:22], v[19:20]
	v_fma_f64 v[40:41], -v[19:20], v[21:22], 1.0
	s_delay_alu instid0(VALU_DEP_1) | instskip(NEXT) | instid1(VALU_DEP_1)
	v_fma_f64 v[21:22], v[21:22], v[40:41], v[21:22]
	v_fma_f64 v[40:41], -v[19:20], v[21:22], 1.0
	s_delay_alu instid0(VALU_DEP_1) | instskip(NEXT) | instid1(VALU_DEP_1)
	v_fma_f64 v[21:22], v[21:22], v[40:41], v[21:22]
	v_mul_f64_e32 v[40:41], v[42:43], v[21:22]
	s_delay_alu instid0(VALU_DEP_1) | instskip(SKIP_1) | instid1(VALU_DEP_1)
	v_fma_f64 v[19:20], -v[19:20], v[40:41], v[42:43]
	s_wait_alu 0xfffd
	v_div_fmas_f64 v[19:20], v[19:20], v[21:22], v[40:41]
	s_delay_alu instid0(VALU_DEP_1) | instskip(NEXT) | instid1(VALU_DEP_1)
	v_div_fixup_f64 v[19:20], v[19:20], v[7:8], v[9:10]
	v_fma_f64 v[7:8], v[9:10], v[19:20], v[7:8]
	s_delay_alu instid0(VALU_DEP_1) | instskip(SKIP_1) | instid1(VALU_DEP_2)
	v_div_scale_f64 v[9:10], null, v[7:8], v[7:8], 1.0
	v_div_scale_f64 v[42:43], vcc_lo, 1.0, v[7:8], 1.0
	v_rcp_f64_e32 v[21:22], v[9:10]
	s_delay_alu instid0(TRANS32_DEP_1) | instskip(NEXT) | instid1(VALU_DEP_1)
	v_fma_f64 v[40:41], -v[9:10], v[21:22], 1.0
	v_fma_f64 v[21:22], v[21:22], v[40:41], v[21:22]
	s_delay_alu instid0(VALU_DEP_1) | instskip(NEXT) | instid1(VALU_DEP_1)
	v_fma_f64 v[40:41], -v[9:10], v[21:22], 1.0
	v_fma_f64 v[21:22], v[21:22], v[40:41], v[21:22]
	s_delay_alu instid0(VALU_DEP_1) | instskip(NEXT) | instid1(VALU_DEP_1)
	v_mul_f64_e32 v[40:41], v[42:43], v[21:22]
	v_fma_f64 v[9:10], -v[9:10], v[40:41], v[42:43]
	s_wait_alu 0xfffd
	s_delay_alu instid0(VALU_DEP_1) | instskip(SKIP_1) | instid1(VALU_DEP_2)
	v_div_fmas_f64 v[9:10], v[9:10], v[21:22], v[40:41]
	v_fma_f64 v[21:22], v[19:20], v[25:26], v[23:24]
	v_div_fixup_f64 v[7:8], v[9:10], v[7:8], 1.0
	v_fma_f64 v[9:10], -v[19:20], v[23:24], v[25:26]
	s_delay_alu instid0(VALU_DEP_2) | instskip(NEXT) | instid1(VALU_DEP_2)
	v_mul_f64_e32 v[19:20], v[21:22], v[7:8]
	v_mul_f64_e32 v[21:22], v[9:10], v[7:8]
.LBB223_128:                            ;   in Loop: Header=BB223_114 Depth=2
	v_mov_b32_e32 v31, s36
	ds_load_b128 v[7:10], v31 offset:320
	ds_load_b128 v[23:26], v31 offset:336
	s_wait_dscnt 0x1
	v_mul_f64_e32 v[40:41], v[13:14], v[9:10]
	v_mul_f64_e32 v[9:10], v[11:12], v[9:10]
	s_wait_dscnt 0x0
	v_mul_f64_e32 v[42:43], v[17:18], v[25:26]
	v_mul_f64_e32 v[25:26], v[15:16], v[25:26]
	s_delay_alu instid0(VALU_DEP_4) | instskip(NEXT) | instid1(VALU_DEP_4)
	v_fma_f64 v[40:41], v[11:12], v[7:8], -v[40:41]
	v_fma_f64 v[44:45], v[13:14], v[7:8], v[9:10]
	ds_load_b128 v[11:14], v31 offset:352
	ds_load_b128 v[7:10], v31 offset:368
	v_fma_f64 v[15:16], v[15:16], v[23:24], -v[42:43]
	v_fma_f64 v[17:18], v[17:18], v[23:24], v[25:26]
	ds_store_b128 v30, v[19:22] offset:640
	s_wait_dscnt 0x2
	v_mul_f64_e32 v[46:47], v[21:22], v[13:14]
	v_mul_f64_e32 v[13:14], v[19:20], v[13:14]
	s_wait_dscnt 0x1
	v_cmp_ngt_f64_e64 s36, |v[7:8]|, |v[9:10]|
	v_add_f64_e64 v[3:4], v[3:4], -v[40:41]
	v_add_f64_e64 v[5:6], v[5:6], -v[44:45]
	v_fma_f64 v[23:24], v[19:20], v[11:12], -v[46:47]
	v_fma_f64 v[13:14], v[21:22], v[11:12], v[13:14]
	s_and_b32 vcc_lo, exec_lo, s36
	s_mov_b32 s36, -1
	s_delay_alu instid0(VALU_DEP_4) | instskip(NEXT) | instid1(VALU_DEP_4)
	v_add_f64_e64 v[3:4], v[3:4], -v[15:16]
	v_add_f64_e64 v[5:6], v[5:6], -v[17:18]
	s_delay_alu instid0(VALU_DEP_2) | instskip(NEXT) | instid1(VALU_DEP_2)
	v_add_f64_e64 v[11:12], v[3:4], -v[23:24]
	v_add_f64_e64 v[13:14], v[5:6], -v[13:14]
                                        ; implicit-def: $vgpr5_vgpr6
	s_wait_alu 0xfffe
	s_cbranch_vccz .LBB223_130
; %bb.129:                              ;   in Loop: Header=BB223_114 Depth=2
	v_div_scale_f64 v[3:4], null, v[9:10], v[9:10], v[7:8]
	v_div_scale_f64 v[17:18], vcc_lo, v[7:8], v[9:10], v[7:8]
	s_mov_b32 s36, 0
	v_rcp_f64_e32 v[5:6], v[3:4]
	s_delay_alu instid0(TRANS32_DEP_1) | instskip(NEXT) | instid1(VALU_DEP_1)
	v_fma_f64 v[15:16], -v[3:4], v[5:6], 1.0
	v_fma_f64 v[5:6], v[5:6], v[15:16], v[5:6]
	s_delay_alu instid0(VALU_DEP_1) | instskip(NEXT) | instid1(VALU_DEP_1)
	v_fma_f64 v[15:16], -v[3:4], v[5:6], 1.0
	v_fma_f64 v[5:6], v[5:6], v[15:16], v[5:6]
	s_delay_alu instid0(VALU_DEP_1) | instskip(NEXT) | instid1(VALU_DEP_1)
	v_mul_f64_e32 v[15:16], v[17:18], v[5:6]
	v_fma_f64 v[3:4], -v[3:4], v[15:16], v[17:18]
	s_wait_alu 0xfffd
	s_delay_alu instid0(VALU_DEP_1) | instskip(NEXT) | instid1(VALU_DEP_1)
	v_div_fmas_f64 v[3:4], v[3:4], v[5:6], v[15:16]
	v_div_fixup_f64 v[3:4], v[3:4], v[9:10], v[7:8]
	s_delay_alu instid0(VALU_DEP_1) | instskip(NEXT) | instid1(VALU_DEP_1)
	v_fma_f64 v[5:6], v[7:8], v[3:4], v[9:10]
	v_div_scale_f64 v[15:16], null, v[5:6], v[5:6], 1.0
	v_div_scale_f64 v[21:22], vcc_lo, 1.0, v[5:6], 1.0
	s_delay_alu instid0(VALU_DEP_2) | instskip(NEXT) | instid1(TRANS32_DEP_1)
	v_rcp_f64_e32 v[17:18], v[15:16]
	v_fma_f64 v[19:20], -v[15:16], v[17:18], 1.0
	s_delay_alu instid0(VALU_DEP_1) | instskip(NEXT) | instid1(VALU_DEP_1)
	v_fma_f64 v[17:18], v[17:18], v[19:20], v[17:18]
	v_fma_f64 v[19:20], -v[15:16], v[17:18], 1.0
	s_delay_alu instid0(VALU_DEP_1) | instskip(NEXT) | instid1(VALU_DEP_1)
	v_fma_f64 v[17:18], v[17:18], v[19:20], v[17:18]
	v_mul_f64_e32 v[19:20], v[21:22], v[17:18]
	s_delay_alu instid0(VALU_DEP_1) | instskip(SKIP_1) | instid1(VALU_DEP_1)
	v_fma_f64 v[15:16], -v[15:16], v[19:20], v[21:22]
	s_wait_alu 0xfffd
	v_div_fmas_f64 v[15:16], v[15:16], v[17:18], v[19:20]
	v_fma_f64 v[17:18], v[3:4], v[11:12], v[13:14]
	s_delay_alu instid0(VALU_DEP_2) | instskip(SKIP_1) | instid1(VALU_DEP_2)
	v_div_fixup_f64 v[5:6], v[15:16], v[5:6], 1.0
	v_fma_f64 v[15:16], v[3:4], v[13:14], -v[11:12]
	v_mul_f64_e32 v[3:4], v[17:18], v[5:6]
	s_delay_alu instid0(VALU_DEP_2)
	v_mul_f64_e32 v[5:6], v[15:16], v[5:6]
.LBB223_130:                            ;   in Loop: Header=BB223_114 Depth=2
	s_wait_alu 0xfffe
	s_and_not1_b32 vcc_lo, exec_lo, s36
	s_wait_alu 0xfffe
	s_cbranch_vccnz .LBB223_132
; %bb.131:                              ;   in Loop: Header=BB223_114 Depth=2
	v_div_scale_f64 v[3:4], null, v[7:8], v[7:8], v[9:10]
	v_div_scale_f64 v[17:18], vcc_lo, v[9:10], v[7:8], v[9:10]
	s_delay_alu instid0(VALU_DEP_2) | instskip(NEXT) | instid1(TRANS32_DEP_1)
	v_rcp_f64_e32 v[5:6], v[3:4]
	v_fma_f64 v[15:16], -v[3:4], v[5:6], 1.0
	s_delay_alu instid0(VALU_DEP_1) | instskip(NEXT) | instid1(VALU_DEP_1)
	v_fma_f64 v[5:6], v[5:6], v[15:16], v[5:6]
	v_fma_f64 v[15:16], -v[3:4], v[5:6], 1.0
	s_delay_alu instid0(VALU_DEP_1) | instskip(NEXT) | instid1(VALU_DEP_1)
	v_fma_f64 v[5:6], v[5:6], v[15:16], v[5:6]
	v_mul_f64_e32 v[15:16], v[17:18], v[5:6]
	s_delay_alu instid0(VALU_DEP_1) | instskip(SKIP_1) | instid1(VALU_DEP_1)
	v_fma_f64 v[3:4], -v[3:4], v[15:16], v[17:18]
	s_wait_alu 0xfffd
	v_div_fmas_f64 v[3:4], v[3:4], v[5:6], v[15:16]
	s_delay_alu instid0(VALU_DEP_1) | instskip(NEXT) | instid1(VALU_DEP_1)
	v_div_fixup_f64 v[3:4], v[3:4], v[7:8], v[9:10]
	v_fma_f64 v[5:6], v[9:10], v[3:4], v[7:8]
	s_delay_alu instid0(VALU_DEP_1) | instskip(SKIP_1) | instid1(VALU_DEP_2)
	v_div_scale_f64 v[7:8], null, v[5:6], v[5:6], 1.0
	v_div_scale_f64 v[17:18], vcc_lo, 1.0, v[5:6], 1.0
	v_rcp_f64_e32 v[9:10], v[7:8]
	s_delay_alu instid0(TRANS32_DEP_1) | instskip(NEXT) | instid1(VALU_DEP_1)
	v_fma_f64 v[15:16], -v[7:8], v[9:10], 1.0
	v_fma_f64 v[9:10], v[9:10], v[15:16], v[9:10]
	s_delay_alu instid0(VALU_DEP_1) | instskip(NEXT) | instid1(VALU_DEP_1)
	v_fma_f64 v[15:16], -v[7:8], v[9:10], 1.0
	v_fma_f64 v[9:10], v[9:10], v[15:16], v[9:10]
	s_delay_alu instid0(VALU_DEP_1) | instskip(NEXT) | instid1(VALU_DEP_1)
	v_mul_f64_e32 v[15:16], v[17:18], v[9:10]
	v_fma_f64 v[7:8], -v[7:8], v[15:16], v[17:18]
	s_wait_alu 0xfffd
	s_delay_alu instid0(VALU_DEP_1) | instskip(SKIP_1) | instid1(VALU_DEP_2)
	v_div_fmas_f64 v[7:8], v[7:8], v[9:10], v[15:16]
	v_fma_f64 v[9:10], v[3:4], v[13:14], v[11:12]
	v_div_fixup_f64 v[5:6], v[7:8], v[5:6], 1.0
	v_fma_f64 v[7:8], -v[3:4], v[11:12], v[13:14]
	s_delay_alu instid0(VALU_DEP_2) | instskip(NEXT) | instid1(VALU_DEP_2)
	v_mul_f64_e32 v[3:4], v[9:10], v[5:6]
	v_mul_f64_e32 v[5:6], v[7:8], v[5:6]
.LBB223_132:                            ;   in Loop: Header=BB223_114 Depth=2
	s_add_co_i32 s36, s21, 4
	s_add_co_i32 s21, s21, 7
	s_addk_co_i32 s20, 0x500
	s_wait_alu 0xfffe
	s_cmp_ge_i32 s21, s26
	ds_store_b128 v30, v[3:6] offset:960
	s_cbranch_scc1 .LBB223_134
; %bb.133:                              ;   in Loop: Header=BB223_114 Depth=2
	s_mov_b32 s21, s36
	s_branch .LBB223_114
.LBB223_134:                            ;   in Loop: Header=BB223_3 Depth=1
	s_cmp_ge_i32 s36, s26
	s_cbranch_scc1 .LBB223_143
; %bb.135:                              ;   in Loop: Header=BB223_3 Depth=1
	s_mul_i32 s20, s36, 0x140
	s_branch .LBB223_137
.LBB223_136:                            ;   in Loop: Header=BB223_137 Depth=2
	s_add_co_i32 s36, s36, 1
	s_addk_co_i32 s20, 0x140
	s_wait_alu 0xfffe
	s_cmp_ge_i32 s36, s26
	ds_store_b128 v15, v[11:14]
	s_cbranch_scc1 .LBB223_143
.LBB223_137:                            ;   Parent Loop BB223_3 Depth=1
                                        ; =>  This Loop Header: Depth=2
                                        ;       Child Loop BB223_138 Depth 3
	v_mad_co_u64_u32 v[15:16], null, 0x140, s36, v[27:28]
	v_mov_b32_e32 v7, v27
	s_cmp_eq_u32 s36, 0
	s_wait_alu 0xfffe
	s_mov_b32 s21, s20
	s_mov_b32 s37, s36
	ds_load_b128 v[3:6], v15
	s_cbranch_scc1 .LBB223_139
.LBB223_138:                            ;   Parent Loop BB223_3 Depth=1
                                        ;     Parent Loop BB223_137 Depth=2
                                        ; =>    This Inner Loop Header: Depth=3
	s_wait_alu 0xfffe
	v_mov_b32_e32 v12, s21
	s_add_co_i32 s37, s37, -1
	s_add_co_i32 s21, s21, 16
	s_wait_alu 0xfffe
	s_cmp_eq_u32 s37, 0
	ds_load_b128 v[8:11], v7
	ds_load_b128 v[16:19], v12
	v_add_nc_u32_e32 v7, 0x140, v7
	s_wait_dscnt 0x0
	v_mul_f64_e32 v[12:13], v[18:19], v[10:11]
	v_mul_f64_e32 v[10:11], v[16:17], v[10:11]
	s_delay_alu instid0(VALU_DEP_2) | instskip(NEXT) | instid1(VALU_DEP_2)
	v_fma_f64 v[12:13], v[16:17], v[8:9], -v[12:13]
	v_fma_f64 v[8:9], v[18:19], v[8:9], v[10:11]
	s_delay_alu instid0(VALU_DEP_2) | instskip(NEXT) | instid1(VALU_DEP_2)
	v_add_f64_e64 v[3:4], v[3:4], -v[12:13]
	v_add_f64_e64 v[5:6], v[5:6], -v[8:9]
	s_cbranch_scc0 .LBB223_138
.LBB223_139:                            ;   in Loop: Header=BB223_137 Depth=2
	s_mul_i32 s21, s36, 0x150
                                        ; implicit-def: $vgpr11_vgpr12
	s_wait_alu 0xfffe
	v_mov_b32_e32 v7, s21
	ds_load_b128 v[7:10], v7
	s_wait_dscnt 0x0
	v_cmp_ngt_f64_e64 s21, |v[7:8]|, |v[9:10]|
	s_and_b32 vcc_lo, exec_lo, s21
	s_mov_b32 s21, -1
	s_wait_alu 0xfffe
	s_cbranch_vccz .LBB223_141
; %bb.140:                              ;   in Loop: Header=BB223_137 Depth=2
	v_div_scale_f64 v[11:12], null, v[9:10], v[9:10], v[7:8]
	v_div_scale_f64 v[18:19], vcc_lo, v[7:8], v[9:10], v[7:8]
	s_mov_b32 s21, 0
	v_rcp_f64_e32 v[13:14], v[11:12]
	s_delay_alu instid0(TRANS32_DEP_1) | instskip(NEXT) | instid1(VALU_DEP_1)
	v_fma_f64 v[16:17], -v[11:12], v[13:14], 1.0
	v_fma_f64 v[13:14], v[13:14], v[16:17], v[13:14]
	s_delay_alu instid0(VALU_DEP_1) | instskip(NEXT) | instid1(VALU_DEP_1)
	v_fma_f64 v[16:17], -v[11:12], v[13:14], 1.0
	v_fma_f64 v[13:14], v[13:14], v[16:17], v[13:14]
	s_delay_alu instid0(VALU_DEP_1) | instskip(NEXT) | instid1(VALU_DEP_1)
	v_mul_f64_e32 v[16:17], v[18:19], v[13:14]
	v_fma_f64 v[11:12], -v[11:12], v[16:17], v[18:19]
	s_wait_alu 0xfffd
	s_delay_alu instid0(VALU_DEP_1) | instskip(NEXT) | instid1(VALU_DEP_1)
	v_div_fmas_f64 v[11:12], v[11:12], v[13:14], v[16:17]
	v_div_fixup_f64 v[11:12], v[11:12], v[9:10], v[7:8]
	s_delay_alu instid0(VALU_DEP_1) | instskip(NEXT) | instid1(VALU_DEP_1)
	v_fma_f64 v[13:14], v[7:8], v[11:12], v[9:10]
	v_div_scale_f64 v[16:17], null, v[13:14], v[13:14], 1.0
	v_div_scale_f64 v[22:23], vcc_lo, 1.0, v[13:14], 1.0
	s_delay_alu instid0(VALU_DEP_2) | instskip(NEXT) | instid1(TRANS32_DEP_1)
	v_rcp_f64_e32 v[18:19], v[16:17]
	v_fma_f64 v[20:21], -v[16:17], v[18:19], 1.0
	s_delay_alu instid0(VALU_DEP_1) | instskip(NEXT) | instid1(VALU_DEP_1)
	v_fma_f64 v[18:19], v[18:19], v[20:21], v[18:19]
	v_fma_f64 v[20:21], -v[16:17], v[18:19], 1.0
	s_delay_alu instid0(VALU_DEP_1) | instskip(NEXT) | instid1(VALU_DEP_1)
	v_fma_f64 v[18:19], v[18:19], v[20:21], v[18:19]
	v_mul_f64_e32 v[20:21], v[22:23], v[18:19]
	s_delay_alu instid0(VALU_DEP_1) | instskip(SKIP_1) | instid1(VALU_DEP_1)
	v_fma_f64 v[16:17], -v[16:17], v[20:21], v[22:23]
	s_wait_alu 0xfffd
	v_div_fmas_f64 v[16:17], v[16:17], v[18:19], v[20:21]
	v_fma_f64 v[18:19], v[3:4], v[11:12], v[5:6]
	s_delay_alu instid0(VALU_DEP_2) | instskip(SKIP_1) | instid1(VALU_DEP_2)
	v_div_fixup_f64 v[13:14], v[16:17], v[13:14], 1.0
	v_fma_f64 v[16:17], v[5:6], v[11:12], -v[3:4]
	v_mul_f64_e32 v[11:12], v[18:19], v[13:14]
	s_delay_alu instid0(VALU_DEP_2)
	v_mul_f64_e32 v[13:14], v[16:17], v[13:14]
.LBB223_141:                            ;   in Loop: Header=BB223_137 Depth=2
	s_wait_alu 0xfffe
	s_and_not1_b32 vcc_lo, exec_lo, s21
	s_wait_alu 0xfffe
	s_cbranch_vccnz .LBB223_136
; %bb.142:                              ;   in Loop: Header=BB223_137 Depth=2
	v_div_scale_f64 v[11:12], null, v[7:8], v[7:8], v[9:10]
	v_div_scale_f64 v[18:19], vcc_lo, v[9:10], v[7:8], v[9:10]
	s_delay_alu instid0(VALU_DEP_2) | instskip(NEXT) | instid1(TRANS32_DEP_1)
	v_rcp_f64_e32 v[13:14], v[11:12]
	v_fma_f64 v[16:17], -v[11:12], v[13:14], 1.0
	s_delay_alu instid0(VALU_DEP_1) | instskip(NEXT) | instid1(VALU_DEP_1)
	v_fma_f64 v[13:14], v[13:14], v[16:17], v[13:14]
	v_fma_f64 v[16:17], -v[11:12], v[13:14], 1.0
	s_delay_alu instid0(VALU_DEP_1) | instskip(NEXT) | instid1(VALU_DEP_1)
	v_fma_f64 v[13:14], v[13:14], v[16:17], v[13:14]
	v_mul_f64_e32 v[16:17], v[18:19], v[13:14]
	s_delay_alu instid0(VALU_DEP_1) | instskip(SKIP_1) | instid1(VALU_DEP_1)
	v_fma_f64 v[11:12], -v[11:12], v[16:17], v[18:19]
	s_wait_alu 0xfffd
	v_div_fmas_f64 v[11:12], v[11:12], v[13:14], v[16:17]
	s_delay_alu instid0(VALU_DEP_1) | instskip(NEXT) | instid1(VALU_DEP_1)
	v_div_fixup_f64 v[11:12], v[11:12], v[7:8], v[9:10]
	v_fma_f64 v[7:8], v[9:10], v[11:12], v[7:8]
	s_delay_alu instid0(VALU_DEP_1) | instskip(SKIP_1) | instid1(VALU_DEP_2)
	v_div_scale_f64 v[9:10], null, v[7:8], v[7:8], 1.0
	v_div_scale_f64 v[18:19], vcc_lo, 1.0, v[7:8], 1.0
	v_rcp_f64_e32 v[13:14], v[9:10]
	s_delay_alu instid0(TRANS32_DEP_1) | instskip(NEXT) | instid1(VALU_DEP_1)
	v_fma_f64 v[16:17], -v[9:10], v[13:14], 1.0
	v_fma_f64 v[13:14], v[13:14], v[16:17], v[13:14]
	s_delay_alu instid0(VALU_DEP_1) | instskip(NEXT) | instid1(VALU_DEP_1)
	v_fma_f64 v[16:17], -v[9:10], v[13:14], 1.0
	v_fma_f64 v[13:14], v[13:14], v[16:17], v[13:14]
	s_delay_alu instid0(VALU_DEP_1) | instskip(NEXT) | instid1(VALU_DEP_1)
	v_mul_f64_e32 v[16:17], v[18:19], v[13:14]
	v_fma_f64 v[9:10], -v[9:10], v[16:17], v[18:19]
	s_wait_alu 0xfffd
	s_delay_alu instid0(VALU_DEP_1) | instskip(SKIP_2) | instid1(VALU_DEP_3)
	v_div_fmas_f64 v[9:10], v[9:10], v[13:14], v[16:17]
	v_fma_f64 v[13:14], v[5:6], v[11:12], v[3:4]
	v_fma_f64 v[3:4], -v[3:4], v[11:12], v[5:6]
	v_div_fixup_f64 v[7:8], v[9:10], v[7:8], 1.0
	s_delay_alu instid0(VALU_DEP_1) | instskip(NEXT) | instid1(VALU_DEP_3)
	v_mul_f64_e32 v[11:12], v[13:14], v[7:8]
	v_mul_f64_e32 v[13:14], v[3:4], v[7:8]
	s_branch .LBB223_136
.LBB223_143:                            ;   in Loop: Header=BB223_3 Depth=1
	s_and_saveexec_b32 s20, s23
	s_cbranch_execz .LBB223_2
; %bb.144:                              ;   in Loop: Header=BB223_3 Depth=1
	v_add_co_u32 v3, vcc_lo, v28, s10
	s_wait_alu 0xfffd
	v_add_co_ci_u32_e64 v4, null, s11, v29, vcc_lo
	v_mov_b32_e32 v5, v27
	s_delay_alu instid0(VALU_DEP_3) | instskip(SKIP_1) | instid1(VALU_DEP_3)
	v_add_co_u32 v3, vcc_lo, v3, s16
	s_wait_alu 0xfffd
	v_add_co_ci_u32_e64 v4, null, s17, v4, vcc_lo
	s_mov_b32 s21, s25
	v_add_co_u32 v3, vcc_lo, v3, v0
	s_wait_alu 0xfffd
	v_add_co_ci_u32_e64 v4, null, 0, v4, vcc_lo
.LBB223_145:                            ;   Parent Loop BB223_3 Depth=1
                                        ; =>  This Inner Loop Header: Depth=2
	ds_load_2addr_b64 v[6:9], v5 offset1:1
	v_add_nc_u32_e32 v5, 0x140, v5
	s_wait_alu 0xfffe
	s_add_co_i32 s21, s21, -1
	s_wait_alu 0xfffe
	s_cmp_lg_u32 s21, 0
	s_wait_dscnt 0x0
	flat_store_b128 v[3:4], v[6:9]
	v_add_co_u32 v3, vcc_lo, v3, s18
	s_wait_alu 0xfffd
	v_add_co_ci_u32_e64 v4, null, s19, v4, vcc_lo
	s_cbranch_scc1 .LBB223_145
	s_branch .LBB223_2
.LBB223_146:
	s_endpgm
	.section	.rodata,"a",@progbits
	.p2align	6, 0x0
	.amdhsa_kernel _ZL31rocblas_trsm_small_right_deviceI19rocblas_complex_numIdES1_PKPKS1_PKPS1_Li20EEv13rocblas_fill_18rocblas_operation_17rocblas_diagonal_iiT0_T1_lilT2_lili
		.amdhsa_group_segment_fixed_size 12800
		.amdhsa_private_segment_fixed_size 0
		.amdhsa_kernarg_size 368
		.amdhsa_user_sgpr_count 2
		.amdhsa_user_sgpr_dispatch_ptr 0
		.amdhsa_user_sgpr_queue_ptr 0
		.amdhsa_user_sgpr_kernarg_segment_ptr 1
		.amdhsa_user_sgpr_dispatch_id 0
		.amdhsa_user_sgpr_private_segment_size 0
		.amdhsa_wavefront_size32 1
		.amdhsa_uses_dynamic_stack 0
		.amdhsa_enable_private_segment 0
		.amdhsa_system_sgpr_workgroup_id_x 1
		.amdhsa_system_sgpr_workgroup_id_y 0
		.amdhsa_system_sgpr_workgroup_id_z 1
		.amdhsa_system_sgpr_workgroup_info 0
		.amdhsa_system_vgpr_workitem_id 0
		.amdhsa_next_free_vgpr 241
		.amdhsa_next_free_sgpr 42
		.amdhsa_reserve_vcc 1
		.amdhsa_float_round_mode_32 0
		.amdhsa_float_round_mode_16_64 0
		.amdhsa_float_denorm_mode_32 3
		.amdhsa_float_denorm_mode_16_64 3
		.amdhsa_fp16_overflow 0
		.amdhsa_workgroup_processor_mode 1
		.amdhsa_memory_ordered 1
		.amdhsa_forward_progress 1
		.amdhsa_inst_pref_size 129
		.amdhsa_round_robin_scheduling 0
		.amdhsa_exception_fp_ieee_invalid_op 0
		.amdhsa_exception_fp_denorm_src 0
		.amdhsa_exception_fp_ieee_div_zero 0
		.amdhsa_exception_fp_ieee_overflow 0
		.amdhsa_exception_fp_ieee_underflow 0
		.amdhsa_exception_fp_ieee_inexact 0
		.amdhsa_exception_int_div_zero 0
	.end_amdhsa_kernel
	.section	.text._ZL31rocblas_trsm_small_right_deviceI19rocblas_complex_numIdES1_PKPKS1_PKPS1_Li20EEv13rocblas_fill_18rocblas_operation_17rocblas_diagonal_iiT0_T1_lilT2_lili,"axG",@progbits,_ZL31rocblas_trsm_small_right_deviceI19rocblas_complex_numIdES1_PKPKS1_PKPS1_Li20EEv13rocblas_fill_18rocblas_operation_17rocblas_diagonal_iiT0_T1_lilT2_lili,comdat
.Lfunc_end223:
	.size	_ZL31rocblas_trsm_small_right_deviceI19rocblas_complex_numIdES1_PKPKS1_PKPS1_Li20EEv13rocblas_fill_18rocblas_operation_17rocblas_diagonal_iiT0_T1_lilT2_lili, .Lfunc_end223-_ZL31rocblas_trsm_small_right_deviceI19rocblas_complex_numIdES1_PKPKS1_PKPS1_Li20EEv13rocblas_fill_18rocblas_operation_17rocblas_diagonal_iiT0_T1_lilT2_lili
                                        ; -- End function
	.set _ZL31rocblas_trsm_small_right_deviceI19rocblas_complex_numIdES1_PKPKS1_PKPS1_Li20EEv13rocblas_fill_18rocblas_operation_17rocblas_diagonal_iiT0_T1_lilT2_lili.num_vgpr, 64
	.set _ZL31rocblas_trsm_small_right_deviceI19rocblas_complex_numIdES1_PKPKS1_PKPS1_Li20EEv13rocblas_fill_18rocblas_operation_17rocblas_diagonal_iiT0_T1_lilT2_lili.num_agpr, 0
	.set _ZL31rocblas_trsm_small_right_deviceI19rocblas_complex_numIdES1_PKPKS1_PKPS1_Li20EEv13rocblas_fill_18rocblas_operation_17rocblas_diagonal_iiT0_T1_lilT2_lili.numbered_sgpr, 42
	.set _ZL31rocblas_trsm_small_right_deviceI19rocblas_complex_numIdES1_PKPKS1_PKPS1_Li20EEv13rocblas_fill_18rocblas_operation_17rocblas_diagonal_iiT0_T1_lilT2_lili.num_named_barrier, 0
	.set _ZL31rocblas_trsm_small_right_deviceI19rocblas_complex_numIdES1_PKPKS1_PKPS1_Li20EEv13rocblas_fill_18rocblas_operation_17rocblas_diagonal_iiT0_T1_lilT2_lili.private_seg_size, 0
	.set _ZL31rocblas_trsm_small_right_deviceI19rocblas_complex_numIdES1_PKPKS1_PKPS1_Li20EEv13rocblas_fill_18rocblas_operation_17rocblas_diagonal_iiT0_T1_lilT2_lili.uses_vcc, 1
	.set _ZL31rocblas_trsm_small_right_deviceI19rocblas_complex_numIdES1_PKPKS1_PKPS1_Li20EEv13rocblas_fill_18rocblas_operation_17rocblas_diagonal_iiT0_T1_lilT2_lili.uses_flat_scratch, 0
	.set _ZL31rocblas_trsm_small_right_deviceI19rocblas_complex_numIdES1_PKPKS1_PKPS1_Li20EEv13rocblas_fill_18rocblas_operation_17rocblas_diagonal_iiT0_T1_lilT2_lili.has_dyn_sized_stack, 0
	.set _ZL31rocblas_trsm_small_right_deviceI19rocblas_complex_numIdES1_PKPKS1_PKPS1_Li20EEv13rocblas_fill_18rocblas_operation_17rocblas_diagonal_iiT0_T1_lilT2_lili.has_recursion, 0
	.set _ZL31rocblas_trsm_small_right_deviceI19rocblas_complex_numIdES1_PKPKS1_PKPS1_Li20EEv13rocblas_fill_18rocblas_operation_17rocblas_diagonal_iiT0_T1_lilT2_lili.has_indirect_call, 0
	.section	.AMDGPU.csdata,"",@progbits
; Kernel info:
; codeLenInByte = 16472
; TotalNumSgprs: 44
; NumVgprs: 64
; ScratchSize: 0
; MemoryBound: 0
; FloatMode: 240
; IeeeMode: 1
; LDSByteSize: 12800 bytes/workgroup (compile time only)
; SGPRBlocks: 0
; VGPRBlocks: 30
; NumSGPRsForWavesPerEU: 44
; NumVGPRsForWavesPerEU: 241
; Occupancy: 3
; WaveLimiterHint : 0
; COMPUTE_PGM_RSRC2:SCRATCH_EN: 0
; COMPUTE_PGM_RSRC2:USER_SGPR: 2
; COMPUTE_PGM_RSRC2:TRAP_HANDLER: 0
; COMPUTE_PGM_RSRC2:TGID_X_EN: 1
; COMPUTE_PGM_RSRC2:TGID_Y_EN: 0
; COMPUTE_PGM_RSRC2:TGID_Z_EN: 1
; COMPUTE_PGM_RSRC2:TIDIG_COMP_CNT: 0
	.section	.text._ZL38rocblas_trsm_small_left_device_sharedBILi24ELi24ELb0E19rocblas_complex_numIdES1_PKPKS1_PKPS1_Ev13rocblas_fill_18rocblas_operation_17rocblas_diagonal_iiT3_T4_lilT5_lili,"axG",@progbits,_ZL38rocblas_trsm_small_left_device_sharedBILi24ELi24ELb0E19rocblas_complex_numIdES1_PKPKS1_PKPS1_Ev13rocblas_fill_18rocblas_operation_17rocblas_diagonal_iiT3_T4_lilT5_lili,comdat
	.globl	_ZL38rocblas_trsm_small_left_device_sharedBILi24ELi24ELb0E19rocblas_complex_numIdES1_PKPKS1_PKPS1_Ev13rocblas_fill_18rocblas_operation_17rocblas_diagonal_iiT3_T4_lilT5_lili ; -- Begin function _ZL38rocblas_trsm_small_left_device_sharedBILi24ELi24ELb0E19rocblas_complex_numIdES1_PKPKS1_PKPS1_Ev13rocblas_fill_18rocblas_operation_17rocblas_diagonal_iiT3_T4_lilT5_lili
	.p2align	8
	.type	_ZL38rocblas_trsm_small_left_device_sharedBILi24ELi24ELb0E19rocblas_complex_numIdES1_PKPKS1_PKPS1_Ev13rocblas_fill_18rocblas_operation_17rocblas_diagonal_iiT3_T4_lilT5_lili,@function
_ZL38rocblas_trsm_small_left_device_sharedBILi24ELi24ELb0E19rocblas_complex_numIdES1_PKPKS1_PKPS1_Ev13rocblas_fill_18rocblas_operation_17rocblas_diagonal_iiT3_T4_lilT5_lili: ; @_ZL38rocblas_trsm_small_left_device_sharedBILi24ELi24ELb0E19rocblas_complex_numIdES1_PKPKS1_PKPS1_Ev13rocblas_fill_18rocblas_operation_17rocblas_diagonal_iiT3_T4_lilT5_lili
; %bb.0:
	s_load_b32 s24, s[0:1], 0x68
	s_lshr_b32 s2, ttmp7, 16
	s_wait_kmcnt 0x0
	s_cmp_ge_u32 s2, s24
	s_cbranch_scc1 .LBB224_62
; %bb.1:
	s_clause 0x5
	s_load_b32 s22, s[0:1], 0x38
	s_load_b32 s30, s[0:1], 0x58
	s_load_b128 s[16:19], s[0:1], 0x4
	s_load_b32 s3, s[0:1], 0x70
	s_load_b128 s[12:15], s[0:1], 0x48
	s_load_b256 s[4:11], s[0:1], 0x18
	s_mul_i32 s1, ttmp9, 0xffffffe8
	s_mul_i32 s34, ttmp9, 24
	v_dual_mov_b32 v14, 0 :: v_dual_lshlrev_b32 v13, 4, v0
	v_mul_u32_u24_e32 v5, 0x180, v0
	s_mov_b32 s21, 0
	s_delay_alu instid0(VALU_DEP_2) | instskip(NEXT) | instid1(VALU_DEP_2)
	v_or_b32_e32 v8, 0x2400, v13
	v_add_nc_u32_e32 v19, v13, v5
	s_wait_kmcnt 0x0
	s_ashr_i32 s23, s22, 31
	s_ashr_i32 s31, s30, 31
	s_cmp_eq_u32 s16, 0x71
	v_mad_co_i64_i32 v[1:2], null, s30, v0, 0
	s_cselect_b32 s0, -1, 0
	s_min_i32 s25, s18, 24
	s_add_co_i32 s3, s3, -1
	s_add_co_i32 s1, s19, s1
	s_add_co_i32 s26, s25, -1
	s_cmp_ge_u32 ttmp9, s3
	v_lshlrev_b64_e32 v[9:10], 4, v[1:2]
	s_cselect_b32 s3, s1, 24
	s_ashr_i32 s35, s34, 31
	s_cmp_lg_u32 s17, 0x84
	v_cmp_gt_i32_e64 s1, s25, v0
	s_cselect_b32 s27, -1, 0
	s_cmp_gt_i32 s18, 0
	v_cmp_gt_i32_e32 vcc_lo, s3, v0
	s_cselect_b32 s20, -1, 0
	s_cmp_lg_u32 s16, 0x6f
	s_mul_u64 s[18:19], s[30:31], s[34:35]
	s_cselect_b32 s28, -1, 0
	s_lshl_b64 s[16:17], s[34:35], 4
	s_and_b32 s29, vcc_lo, s20
	v_add_co_u32 v0, s3, s16, v13
	s_wait_alu 0xf1ff
	v_add_co_ci_u32_e64 v3, null, s17, 0, s3
	s_lshl_b64 s[16:17], s[10:11], 4
	s_lshl_b64 s[10:11], s[14:15], 4
	v_mul_lo_u32 v6, v0, s31
	v_mul_lo_u32 v7, v3, s30
	v_mad_co_u64_u32 v[3:4], null, v0, s30, s[10:11]
	s_wait_alu 0xfffe
	v_add_co_u32 v0, s3, s16, v13
	s_wait_alu 0xf1ff
	v_add_co_ci_u32_e64 v15, null, s17, 0, s3
	s_mul_i32 s3, s25, 0x180
	v_or_b32_e32 v16, 8, v0
	v_add3_u32 v17, v7, v4, v6
	v_or_b32_e32 v18, 8, v3
	s_or_b32 s30, 0, 8
	s_lshl_b64 s[14:15], s[22:23], 4
	s_wait_alu 0xfffe
	s_add_co_i32 s22, s3, 0xfffffe80
	s_lshl_b64 s[16:17], s[18:19], 4
	s_branch .LBB224_3
.LBB224_2:                              ;   in Loop: Header=BB224_3 Depth=1
	s_wait_alu 0xfffe
	s_or_b32 exec_lo, exec_lo, s3
	s_add_co_i32 s2, s2, 0x10000
	s_wait_alu 0xfffe
	s_cmp_lt_u32 s2, s24
	s_cbranch_scc0 .LBB224_62
.LBB224_3:                              ; =>This Loop Header: Depth=1
                                        ;     Child Loop BB224_5 Depth 2
                                        ;     Child Loop BB224_16 Depth 2
	;; [unrolled: 1-line block ×3, first 2 shown]
                                        ;       Child Loop BB224_23 Depth 3
                                        ;         Child Loop BB224_24 Depth 4
                                        ;         Child Loop BB224_27 Depth 4
                                        ;           Child Loop BB224_28 Depth 5
                                        ;         Child Loop BB224_32 Depth 4
                                        ;           Child Loop BB224_34 Depth 5
                                        ;     Child Loop BB224_42 Depth 2
                                        ;       Child Loop BB224_45 Depth 3
                                        ;         Child Loop BB224_46 Depth 4
                                        ;         Child Loop BB224_48 Depth 4
                                        ;           Child Loop BB224_49 Depth 5
                                        ;         Child Loop BB224_53 Depth 4
                                        ;           Child Loop BB224_55 Depth 5
                                        ;     Child Loop BB224_61 Depth 2
	s_mov_b32 s3, s21
	s_wait_alu 0xfffe
	s_lshl_b64 s[18:19], s[2:3], 3
	s_delay_alu instid0(SALU_CYCLE_1)
	s_add_nc_u64 s[34:35], s[12:13], s[18:19]
	global_load_b64 v[11:12], v14, s[34:35]
	s_and_saveexec_b32 s3, s1
	s_cbranch_execz .LBB224_14
; %bb.4:                                ;   in Loop: Header=BB224_3 Depth=1
	s_add_nc_u64 s[18:19], s[8:9], s[18:19]
	v_mov_b32_e32 v2, v13
	global_load_b64 v[0:1], v14, s[18:19]
	s_mov_b32 s18, s25
	s_wait_loadcnt 0x0
	v_add_co_u32 v0, vcc_lo, v0, v16
	s_wait_alu 0xfffd
	v_add_co_ci_u32_e64 v1, null, v1, v15, vcc_lo
.LBB224_5:                              ;   Parent Loop BB224_3 Depth=1
                                        ; =>  This Inner Loop Header: Depth=2
	flat_load_b128 v[3:6], v[0:1] offset:-8
	v_add_co_u32 v0, vcc_lo, v0, s14
	s_wait_alu 0xfffd
	v_add_co_ci_u32_e64 v1, null, s15, v1, vcc_lo
	s_add_co_i32 s18, s18, -1
	s_delay_alu instid0(SALU_CYCLE_1) | instskip(SKIP_2) | instid1(VALU_DEP_1)
	s_cmp_eq_u32 s18, 0
	s_wait_loadcnt_dscnt 0x0
	v_xor_b32_e32 v7, 0x80000000, v6
	v_cndmask_b32_e64 v6, v6, v7, s0
	ds_store_b128 v2, v[3:6]
	v_add_nc_u32_e32 v2, 0x180, v2
	s_cbranch_scc0 .LBB224_5
; %bb.6:                                ;   in Loop: Header=BB224_3 Depth=1
	s_and_b32 vcc_lo, exec_lo, s27
	s_wait_alu 0xfffe
	s_cbranch_vccz .LBB224_12
; %bb.7:                                ;   in Loop: Header=BB224_3 Depth=1
	ds_load_b128 v[0:3], v19
                                        ; implicit-def: $vgpr6_vgpr7
	s_wait_dscnt 0x0
	v_cmp_ngt_f64_e64 s18, |v[0:1]|, |v[2:3]|
	s_and_saveexec_b32 s19, s18
	s_delay_alu instid0(SALU_CYCLE_1)
	s_xor_b32 s18, exec_lo, s19
	s_cbranch_execz .LBB224_9
; %bb.8:                                ;   in Loop: Header=BB224_3 Depth=1
	v_div_scale_f64 v[4:5], null, v[2:3], v[2:3], v[0:1]
	v_div_scale_f64 v[22:23], vcc_lo, v[0:1], v[2:3], v[0:1]
	s_delay_alu instid0(VALU_DEP_2) | instskip(NEXT) | instid1(TRANS32_DEP_1)
	v_rcp_f64_e32 v[6:7], v[4:5]
	v_fma_f64 v[20:21], -v[4:5], v[6:7], 1.0
	s_delay_alu instid0(VALU_DEP_1) | instskip(NEXT) | instid1(VALU_DEP_1)
	v_fma_f64 v[6:7], v[6:7], v[20:21], v[6:7]
	v_fma_f64 v[20:21], -v[4:5], v[6:7], 1.0
	s_delay_alu instid0(VALU_DEP_1) | instskip(NEXT) | instid1(VALU_DEP_1)
	v_fma_f64 v[6:7], v[6:7], v[20:21], v[6:7]
	v_mul_f64_e32 v[20:21], v[22:23], v[6:7]
	s_delay_alu instid0(VALU_DEP_1) | instskip(SKIP_1) | instid1(VALU_DEP_1)
	v_fma_f64 v[4:5], -v[4:5], v[20:21], v[22:23]
	s_wait_alu 0xfffd
	v_div_fmas_f64 v[4:5], v[4:5], v[6:7], v[20:21]
	s_delay_alu instid0(VALU_DEP_1) | instskip(NEXT) | instid1(VALU_DEP_1)
	v_div_fixup_f64 v[4:5], v[4:5], v[2:3], v[0:1]
	v_fma_f64 v[0:1], v[0:1], v[4:5], v[2:3]
	s_delay_alu instid0(VALU_DEP_1) | instskip(SKIP_1) | instid1(VALU_DEP_2)
	v_div_scale_f64 v[2:3], null, v[0:1], v[0:1], 1.0
	v_div_scale_f64 v[22:23], vcc_lo, 1.0, v[0:1], 1.0
	v_rcp_f64_e32 v[6:7], v[2:3]
	s_delay_alu instid0(TRANS32_DEP_1) | instskip(NEXT) | instid1(VALU_DEP_1)
	v_fma_f64 v[20:21], -v[2:3], v[6:7], 1.0
	v_fma_f64 v[6:7], v[6:7], v[20:21], v[6:7]
	s_delay_alu instid0(VALU_DEP_1) | instskip(NEXT) | instid1(VALU_DEP_1)
	v_fma_f64 v[20:21], -v[2:3], v[6:7], 1.0
	v_fma_f64 v[6:7], v[6:7], v[20:21], v[6:7]
	s_delay_alu instid0(VALU_DEP_1) | instskip(NEXT) | instid1(VALU_DEP_1)
	v_mul_f64_e32 v[20:21], v[22:23], v[6:7]
	v_fma_f64 v[2:3], -v[2:3], v[20:21], v[22:23]
	s_wait_alu 0xfffd
	s_delay_alu instid0(VALU_DEP_1) | instskip(SKIP_1) | instid1(VALU_DEP_2)
	v_div_fmas_f64 v[2:3], v[2:3], v[6:7], v[20:21]
	v_add_f64_e32 v[6:7], 0, v[4:5]
	v_div_fixup_f64 v[0:1], v[2:3], v[0:1], 1.0
	v_fma_f64 v[2:3], v[4:5], 0, -1.0
	s_delay_alu instid0(VALU_DEP_2) | instskip(NEXT) | instid1(VALU_DEP_2)
	v_mul_f64_e32 v[4:5], v[6:7], v[0:1]
	v_mul_f64_e32 v[6:7], v[2:3], v[0:1]
                                        ; implicit-def: $vgpr0_vgpr1
.LBB224_9:                              ;   in Loop: Header=BB224_3 Depth=1
	s_and_not1_saveexec_b32 s18, s18
	s_cbranch_execz .LBB224_11
; %bb.10:                               ;   in Loop: Header=BB224_3 Depth=1
	v_div_scale_f64 v[4:5], null, v[0:1], v[0:1], v[2:3]
	v_div_scale_f64 v[22:23], vcc_lo, v[2:3], v[0:1], v[2:3]
	s_delay_alu instid0(VALU_DEP_2) | instskip(NEXT) | instid1(TRANS32_DEP_1)
	v_rcp_f64_e32 v[6:7], v[4:5]
	v_fma_f64 v[20:21], -v[4:5], v[6:7], 1.0
	s_delay_alu instid0(VALU_DEP_1) | instskip(NEXT) | instid1(VALU_DEP_1)
	v_fma_f64 v[6:7], v[6:7], v[20:21], v[6:7]
	v_fma_f64 v[20:21], -v[4:5], v[6:7], 1.0
	s_delay_alu instid0(VALU_DEP_1) | instskip(NEXT) | instid1(VALU_DEP_1)
	v_fma_f64 v[6:7], v[6:7], v[20:21], v[6:7]
	v_mul_f64_e32 v[20:21], v[22:23], v[6:7]
	s_delay_alu instid0(VALU_DEP_1) | instskip(SKIP_1) | instid1(VALU_DEP_1)
	v_fma_f64 v[4:5], -v[4:5], v[20:21], v[22:23]
	s_wait_alu 0xfffd
	v_div_fmas_f64 v[4:5], v[4:5], v[6:7], v[20:21]
	s_delay_alu instid0(VALU_DEP_1) | instskip(NEXT) | instid1(VALU_DEP_1)
	v_div_fixup_f64 v[4:5], v[4:5], v[0:1], v[2:3]
	v_fma_f64 v[0:1], v[2:3], v[4:5], v[0:1]
	s_delay_alu instid0(VALU_DEP_1) | instskip(SKIP_1) | instid1(VALU_DEP_2)
	v_div_scale_f64 v[2:3], null, v[0:1], v[0:1], 1.0
	v_div_scale_f64 v[22:23], vcc_lo, 1.0, v[0:1], 1.0
	v_rcp_f64_e32 v[6:7], v[2:3]
	s_delay_alu instid0(TRANS32_DEP_1) | instskip(NEXT) | instid1(VALU_DEP_1)
	v_fma_f64 v[20:21], -v[2:3], v[6:7], 1.0
	v_fma_f64 v[6:7], v[6:7], v[20:21], v[6:7]
	s_delay_alu instid0(VALU_DEP_1) | instskip(NEXT) | instid1(VALU_DEP_1)
	v_fma_f64 v[20:21], -v[2:3], v[6:7], 1.0
	v_fma_f64 v[6:7], v[6:7], v[20:21], v[6:7]
	s_delay_alu instid0(VALU_DEP_1) | instskip(NEXT) | instid1(VALU_DEP_1)
	v_mul_f64_e32 v[20:21], v[22:23], v[6:7]
	v_fma_f64 v[2:3], -v[2:3], v[20:21], v[22:23]
	s_wait_alu 0xfffd
	s_delay_alu instid0(VALU_DEP_1) | instskip(SKIP_1) | instid1(VALU_DEP_2)
	v_div_fmas_f64 v[2:3], v[2:3], v[6:7], v[20:21]
	v_fma_f64 v[6:7], v[4:5], 0, 1.0
	v_div_fixup_f64 v[0:1], v[2:3], v[0:1], 1.0
	v_add_f64_e64 v[2:3], -v[4:5], 0
	s_delay_alu instid0(VALU_DEP_2) | instskip(NEXT) | instid1(VALU_DEP_2)
	v_mul_f64_e32 v[4:5], v[6:7], v[0:1]
	v_mul_f64_e32 v[6:7], v[2:3], v[0:1]
.LBB224_11:                             ;   in Loop: Header=BB224_3 Depth=1
	s_or_b32 exec_lo, exec_lo, s18
	s_branch .LBB224_13
.LBB224_12:                             ;   in Loop: Header=BB224_3 Depth=1
	v_mov_b32_e32 v6, 0
	v_dual_mov_b32 v7, 0 :: v_dual_mov_b32 v4, 0
	v_mov_b32_e32 v5, 0x3ff00000
.LBB224_13:                             ;   in Loop: Header=BB224_3 Depth=1
	ds_store_b128 v19, v[4:7]
.LBB224_14:                             ;   in Loop: Header=BB224_3 Depth=1
	s_wait_alu 0xfffe
	s_or_b32 exec_lo, exec_lo, s3
	s_and_saveexec_b32 s3, s29
	s_cbranch_execz .LBB224_17
; %bb.15:                               ;   in Loop: Header=BB224_3 Depth=1
	s_wait_loadcnt 0x0
	v_add_co_u32 v0, vcc_lo, v11, v18
	s_wait_alu 0xfffd
	v_add_co_ci_u32_e64 v1, null, v12, v17, vcc_lo
	v_mov_b32_e32 v2, v8
	s_mov_b32 s18, s25
.LBB224_16:                             ;   Parent Loop BB224_3 Depth=1
                                        ; =>  This Inner Loop Header: Depth=2
	flat_load_b128 v[3:6], v[0:1] offset:-8
	v_add_co_u32 v0, vcc_lo, v0, 16
	s_wait_alu 0xfffd
	v_add_co_ci_u32_e64 v1, null, 0, v1, vcc_lo
	s_add_co_i32 s18, s18, -1
	s_delay_alu instid0(SALU_CYCLE_1) | instskip(SKIP_3) | instid1(VALU_DEP_2)
	s_cmp_lg_u32 s18, 0
	s_wait_loadcnt_dscnt 0x0
	v_mul_f64_e32 v[20:21], s[6:7], v[5:6]
	v_mul_f64_e32 v[5:6], s[4:5], v[5:6]
	v_fma_f64 v[20:21], s[4:5], v[3:4], -v[20:21]
	s_delay_alu instid0(VALU_DEP_2)
	v_fma_f64 v[22:23], s[6:7], v[3:4], v[5:6]
	ds_store_b128 v2, v[20:23]
	v_add_nc_u32_e32 v2, 0x180, v2
	s_cbranch_scc1 .LBB224_16
.LBB224_17:                             ;   in Loop: Header=BB224_3 Depth=1
	s_wait_alu 0xfffe
	s_or_b32 exec_lo, exec_lo, s3
	s_delay_alu instid0(SALU_CYCLE_1)
	s_and_not1_b32 vcc_lo, exec_lo, s28
	s_mov_b32 s3, -1
	; wave barrier
	s_wait_loadcnt_dscnt 0x0
	global_inv scope:SCOPE_SE
	s_wait_alu 0xfffe
	s_cbranch_vccnz .LBB224_39
; %bb.18:                               ;   in Loop: Header=BB224_3 Depth=1
	s_mov_b32 s20, 0
	s_delay_alu instid0(SALU_CYCLE_1)
	s_mov_b32 s3, s20
	s_branch .LBB224_20
.LBB224_19:                             ;   in Loop: Header=BB224_20 Depth=2
	s_cmp_lt_i32 s3, s25
	s_cselect_b32 s18, -1, 0
	s_add_co_i32 s19, s20, 1
	s_cmp_lt_u32 s20, 2
	s_cselect_b32 s20, -1, 0
	s_delay_alu instid0(SALU_CYCLE_1)
	s_and_b32 s18, s18, s20
	s_mov_b32 s20, s19
	s_and_b32 vcc_lo, exec_lo, s18
	s_wait_alu 0xfffe
	s_cbranch_vccz .LBB224_38
.LBB224_20:                             ;   Parent Loop BB224_3 Depth=1
                                        ; =>  This Loop Header: Depth=2
                                        ;       Child Loop BB224_23 Depth 3
                                        ;         Child Loop BB224_24 Depth 4
                                        ;         Child Loop BB224_27 Depth 4
                                        ;           Child Loop BB224_28 Depth 5
                                        ;         Child Loop BB224_32 Depth 4
                                        ;           Child Loop BB224_34 Depth 5
	s_getpc_b64 s[18:19]
	s_sext_i32_i16 s19, s19
	s_add_co_u32 s18, s18, __const._ZL38rocblas_trsm_small_left_device_sharedBILi24ELi24ELb0E19rocblas_complex_numIdES1_PKPKS1_PKPS1_Ev13rocblas_fill_18rocblas_operation_17rocblas_diagonal_iiT3_T4_lilT5_lili.step_sizes@rel32@lo+8
	s_add_co_ci_u32 s19, s19, __const._ZL38rocblas_trsm_small_left_device_sharedBILi24ELi24ELb0E19rocblas_complex_numIdES1_PKPKS1_PKPS1_Ev13rocblas_fill_18rocblas_operation_17rocblas_diagonal_iiT3_T4_lilT5_lili.step_sizes@rel32@hi+16
	s_lshl_b64 s[34:35], s[20:21], 2
	s_delay_alu instid0(SALU_CYCLE_1) | instskip(SKIP_3) | instid1(SALU_CYCLE_1)
	s_add_nc_u64 s[18:19], s[18:19], s[34:35]
	s_load_b32 s18, s[18:19], 0x0
	s_wait_kmcnt 0x0
	s_add_co_i32 s19, s18, -1
	s_add_co_i32 s23, s19, s3
	s_wait_alu 0xfffe
	s_cmp_ge_i32 s23, s25
	s_cbranch_scc1 .LBB224_19
; %bb.21:                               ;   in Loop: Header=BB224_20 Depth=2
	s_mul_i32 s23, s3, 0x180
	s_max_i32 s31, s18, 1
	s_wait_alu 0xfffe
	v_add_nc_u32_e32 v4, s23, v8
	s_mul_i32 s33, s18, 0x180
	s_mul_i32 s34, s3, 0x190
	s_mul_i32 s35, s18, 0x190
	s_branch .LBB224_23
.LBB224_22:                             ;   in Loop: Header=BB224_23 Depth=3
	s_add_co_i32 s3, s3, s18
	v_add_nc_u32_e32 v4, s33, v4
	s_wait_alu 0xfffe
	s_add_co_i32 s36, s19, s3
	s_add_co_i32 s23, s23, s33
	;; [unrolled: 1-line block ×3, first 2 shown]
	s_wait_alu 0xfffe
	s_cmp_ge_i32 s36, s25
	s_cbranch_scc1 .LBB224_19
.LBB224_23:                             ;   Parent Loop BB224_3 Depth=1
                                        ;     Parent Loop BB224_20 Depth=2
                                        ; =>    This Loop Header: Depth=3
                                        ;         Child Loop BB224_24 Depth 4
                                        ;         Child Loop BB224_27 Depth 4
                                        ;           Child Loop BB224_28 Depth 5
                                        ;         Child Loop BB224_32 Depth 4
                                        ;           Child Loop BB224_34 Depth 5
	v_mov_b32_e32 v0, v4
	s_mov_b32 s36, 0
	s_wait_alu 0xfffe
	s_mov_b32 s37, s31
.LBB224_24:                             ;   Parent Loop BB224_3 Depth=1
                                        ;     Parent Loop BB224_20 Depth=2
                                        ;       Parent Loop BB224_23 Depth=3
                                        ; =>      This Inner Loop Header: Depth=4
	ds_load_b128 v[20:23], v0
	v_add_nc_u32_e32 v0, 0x180, v0
	s_wait_alu 0xfffe
	s_add_co_i32 s37, s37, -1
	s_wait_dscnt 0x0
	scratch_store_b128 off, v[20:23], s36
	s_add_co_i32 s36, s36, 16
	s_wait_alu 0xfffe
	s_cmp_eq_u32 s37, 0
	s_cbranch_scc0 .LBB224_24
; %bb.25:                               ;   in Loop: Header=BB224_23 Depth=3
	s_cmp_lt_i32 s3, 1
	s_cbranch_scc1 .LBB224_30
; %bb.26:                               ;   in Loop: Header=BB224_23 Depth=3
	s_mov_b32 s36, 0
	s_mov_b32 s37, s23
.LBB224_27:                             ;   Parent Loop BB224_3 Depth=1
                                        ;     Parent Loop BB224_20 Depth=2
                                        ;       Parent Loop BB224_23 Depth=3
                                        ; =>      This Loop Header: Depth=4
                                        ;           Child Loop BB224_28 Depth 5
	s_wait_alu 0xfffe
	v_mad_co_u64_u32 v[0:1], null, 0x180, s36, v[8:9]
	s_mov_b32 s38, s30
	s_mov_b32 s39, s37
	;; [unrolled: 1-line block ×3, first 2 shown]
	ds_load_b128 v[0:3], v0
.LBB224_28:                             ;   Parent Loop BB224_3 Depth=1
                                        ;     Parent Loop BB224_20 Depth=2
                                        ;       Parent Loop BB224_23 Depth=3
                                        ;         Parent Loop BB224_27 Depth=4
                                        ; =>        This Inner Loop Header: Depth=5
	scratch_load_b128 v[20:23], off, s38 offset:-8
	s_wait_alu 0xfffe
	v_mov_b32_e32 v5, s39
	s_add_co_i32 s40, s40, -1
	s_addk_co_i32 s39, 0x180
	ds_load_b128 v[24:27], v5
	s_wait_dscnt 0x0
	v_mul_f64_e32 v[5:6], v[2:3], v[26:27]
	v_mul_f64_e32 v[26:27], v[0:1], v[26:27]
	s_delay_alu instid0(VALU_DEP_2) | instskip(NEXT) | instid1(VALU_DEP_2)
	v_fma_f64 v[5:6], v[0:1], v[24:25], -v[5:6]
	v_fma_f64 v[24:25], v[2:3], v[24:25], v[26:27]
	s_wait_loadcnt 0x0
	s_delay_alu instid0(VALU_DEP_2) | instskip(NEXT) | instid1(VALU_DEP_2)
	v_add_f64_e64 v[20:21], v[20:21], -v[5:6]
	v_add_f64_e64 v[22:23], v[22:23], -v[24:25]
	scratch_store_b128 off, v[20:23], s38 offset:-8
	s_add_co_i32 s38, s38, 16
	s_wait_alu 0xfffe
	s_cmp_eq_u32 s40, 0
	s_cbranch_scc0 .LBB224_28
; %bb.29:                               ;   in Loop: Header=BB224_27 Depth=4
	s_add_co_i32 s36, s36, 1
	s_add_co_i32 s37, s37, 16
	s_wait_alu 0xfffe
	s_cmp_eq_u32 s36, s3
	s_cbranch_scc0 .LBB224_27
.LBB224_30:                             ;   in Loop: Header=BB224_23 Depth=3
	s_mul_i32 s36, s3, 0x180
	s_mov_b32 s37, 0
	s_mov_b32 s38, s34
	s_branch .LBB224_32
.LBB224_31:                             ;   in Loop: Header=BB224_32 Depth=4
	s_wait_alu 0xfffe
	s_mulk_i32 s40, 0x190
	s_addk_co_i32 s38, 0x180
	s_wait_alu 0xfffe
	v_mov_b32_e32 v5, s40
	s_lshl_b32 s40, s37, 4
	s_add_co_i32 s37, s37, 1
	s_wait_alu 0xfffe
	s_cmp_eq_u32 s37, s31
	ds_load_b128 v[20:23], v5
	s_wait_loadcnt_dscnt 0x0
	v_mul_f64_e32 v[5:6], v[22:23], v[2:3]
	v_mul_f64_e32 v[2:3], v[20:21], v[2:3]
	s_delay_alu instid0(VALU_DEP_2) | instskip(NEXT) | instid1(VALU_DEP_2)
	v_fma_f64 v[20:21], v[20:21], v[0:1], -v[5:6]
	v_fma_f64 v[22:23], v[22:23], v[0:1], v[2:3]
	v_add_nc_u32_e32 v0, s39, v8
	scratch_store_b128 off, v[20:23], s40
	ds_store_b128 v0, v[20:23]
	s_cbranch_scc1 .LBB224_22
.LBB224_32:                             ;   Parent Loop BB224_3 Depth=1
                                        ;     Parent Loop BB224_20 Depth=2
                                        ;       Parent Loop BB224_23 Depth=3
                                        ; =>      This Loop Header: Depth=4
                                        ;           Child Loop BB224_34 Depth 5
	s_wait_alu 0xfffe
	s_cmp_lg_u32 s37, 0
	s_cbranch_scc0 .LBB224_36
; %bb.33:                               ;   in Loop: Header=BB224_32 Depth=4
	s_lshl_b32 s41, s37, 4
	s_add_co_i32 s40, s37, s3
	scratch_load_b128 v[0:3], off, s41
	s_wait_alu 0xfffe
	s_mul_i32 s39, s40, 0x180
	s_mov_b32 s42, s38
	s_mov_b32 s43, s30
	;; [unrolled: 1-line block ×3, first 2 shown]
.LBB224_34:                             ;   Parent Loop BB224_3 Depth=1
                                        ;     Parent Loop BB224_20 Depth=2
                                        ;       Parent Loop BB224_23 Depth=3
                                        ;         Parent Loop BB224_32 Depth=4
                                        ; =>        This Inner Loop Header: Depth=5
	scratch_load_b128 v[20:23], off, s43 offset:-8
	s_wait_alu 0xfffe
	v_mov_b32_e32 v5, s42
	s_add_co_i32 s44, s44, -1
	s_add_co_i32 s43, s43, 16
	s_add_co_i32 s42, s42, 16
	s_cmp_eq_u32 s44, 0
	ds_load_b128 v[24:27], v5
	s_wait_loadcnt_dscnt 0x0
	v_mul_f64_e32 v[5:6], v[26:27], v[22:23]
	v_mul_f64_e32 v[22:23], v[24:25], v[22:23]
	s_delay_alu instid0(VALU_DEP_2) | instskip(NEXT) | instid1(VALU_DEP_2)
	v_fma_f64 v[5:6], v[24:25], v[20:21], -v[5:6]
	v_fma_f64 v[20:21], v[26:27], v[20:21], v[22:23]
	s_delay_alu instid0(VALU_DEP_2) | instskip(NEXT) | instid1(VALU_DEP_2)
	v_add_f64_e64 v[0:1], v[0:1], -v[5:6]
	v_add_f64_e64 v[2:3], v[2:3], -v[20:21]
	scratch_store_b128 off, v[0:3], s41
	s_cbranch_scc0 .LBB224_34
; %bb.35:                               ;   in Loop: Header=BB224_32 Depth=4
	s_branch .LBB224_31
.LBB224_36:                             ;   in Loop: Header=BB224_32 Depth=4
                                        ; implicit-def: $vgpr0_vgpr1
                                        ; implicit-def: $sgpr40
                                        ; implicit-def: $sgpr39
	s_cbranch_execz .LBB224_31
; %bb.37:                               ;   in Loop: Header=BB224_32 Depth=4
	scratch_load_b128 v[0:3], off, off
	s_mov_b32 s39, s36
	s_mov_b32 s40, s3
	s_branch .LBB224_31
.LBB224_38:                             ;   in Loop: Header=BB224_3 Depth=1
	s_mov_b32 s3, 0
.LBB224_39:                             ;   in Loop: Header=BB224_3 Depth=1
	s_wait_alu 0xfffe
	s_and_b32 vcc_lo, exec_lo, s3
	s_wait_alu 0xfffe
	s_cbranch_vccz .LBB224_59
; %bb.40:                               ;   in Loop: Header=BB224_3 Depth=1
	s_mov_b32 s20, 0
	s_mov_b32 s3, s26
	s_branch .LBB224_42
.LBB224_41:                             ;   in Loop: Header=BB224_42 Depth=2
	s_cmp_gt_i32 s3, -1
	s_cselect_b32 s18, -1, 0
	s_add_co_i32 s19, s20, 1
	s_cmp_lt_u32 s20, 2
	s_cselect_b32 s20, -1, 0
	s_delay_alu instid0(SALU_CYCLE_1)
	s_and_b32 s18, s18, s20
	s_mov_b32 s20, s19
	s_and_not1_b32 vcc_lo, exec_lo, s18
	s_wait_alu 0xfffe
	s_cbranch_vccnz .LBB224_59
.LBB224_42:                             ;   Parent Loop BB224_3 Depth=1
                                        ; =>  This Loop Header: Depth=2
                                        ;       Child Loop BB224_45 Depth 3
                                        ;         Child Loop BB224_46 Depth 4
                                        ;         Child Loop BB224_48 Depth 4
                                        ;           Child Loop BB224_49 Depth 5
                                        ;         Child Loop BB224_53 Depth 4
                                        ;           Child Loop BB224_55 Depth 5
	s_getpc_b64 s[18:19]
	s_sext_i32_i16 s19, s19
	s_add_co_u32 s18, s18, __const._ZL38rocblas_trsm_small_left_device_sharedBILi24ELi24ELb0E19rocblas_complex_numIdES1_PKPKS1_PKPS1_Ev13rocblas_fill_18rocblas_operation_17rocblas_diagonal_iiT3_T4_lilT5_lili.step_sizes@rel32@lo+8
	s_add_co_ci_u32 s19, s19, __const._ZL38rocblas_trsm_small_left_device_sharedBILi24ELi24ELb0E19rocblas_complex_numIdES1_PKPKS1_PKPS1_Ev13rocblas_fill_18rocblas_operation_17rocblas_diagonal_iiT3_T4_lilT5_lili.step_sizes@rel32@hi+16
	s_lshl_b64 s[34:35], s[20:21], 2
	s_delay_alu instid0(SALU_CYCLE_1) | instskip(SKIP_3) | instid1(SALU_CYCLE_1)
	s_add_nc_u64 s[18:19], s[18:19], s[34:35]
	s_load_b32 s18, s[18:19], 0x0
	s_wait_kmcnt 0x0
	s_add_co_i32 s19, s18, -1
	s_cmp_lt_i32 s3, s19
	s_cbranch_scc1 .LBB224_41
; %bb.43:                               ;   in Loop: Header=BB224_42 Depth=2
	v_mad_co_u64_u32 v[4:5], null, 0x180, s3, v[8:9]
	s_lshl_b32 s33, s3, 4
	s_lshl_b32 s34, s18, 4
	s_max_i32 s23, s18, 1
	s_mul_i32 s31, s18, 0xfffffe80
	s_wait_alu 0xfffe
	s_add_co_i32 s33, s22, s33
	s_sub_co_i32 s34, 0, s34
	s_mul_i32 s35, s3, 0x190
	s_mul_i32 s36, s18, 0xfffffe70
	s_branch .LBB224_45
.LBB224_44:                             ;   in Loop: Header=BB224_45 Depth=3
	v_add_nc_u32_e32 v4, s31, v4
	s_sub_co_i32 s3, s3, s18
	s_add_co_i32 s33, s33, s34
	s_add_co_i32 s35, s35, s36
	s_wait_alu 0xfffe
	s_cmp_lt_i32 s3, s19
	s_cbranch_scc1 .LBB224_41
.LBB224_45:                             ;   Parent Loop BB224_3 Depth=1
                                        ;     Parent Loop BB224_42 Depth=2
                                        ; =>    This Loop Header: Depth=3
                                        ;         Child Loop BB224_46 Depth 4
                                        ;         Child Loop BB224_48 Depth 4
                                        ;           Child Loop BB224_49 Depth 5
                                        ;         Child Loop BB224_53 Depth 4
                                        ;           Child Loop BB224_55 Depth 5
	v_mov_b32_e32 v0, v4
	s_mov_b32 s37, 0
	s_mov_b32 s38, s23
.LBB224_46:                             ;   Parent Loop BB224_3 Depth=1
                                        ;     Parent Loop BB224_42 Depth=2
                                        ;       Parent Loop BB224_45 Depth=3
                                        ; =>      This Inner Loop Header: Depth=4
	ds_load_b128 v[20:23], v0
	v_add_nc_u32_e32 v0, 0xfffffe80, v0
	s_wait_alu 0xfffe
	s_add_co_i32 s38, s38, -1
	s_wait_dscnt 0x0
	scratch_store_b128 off, v[20:23], s37
	s_add_co_i32 s37, s37, 16
	s_wait_alu 0xfffe
	s_cmp_eq_u32 s38, 0
	s_cbranch_scc0 .LBB224_46
; %bb.47:                               ;   in Loop: Header=BB224_45 Depth=3
	s_cmp_le_i32 s26, s3
	s_mov_b32 s37, s33
	s_mov_b32 s38, s26
	s_cbranch_scc1 .LBB224_51
.LBB224_48:                             ;   Parent Loop BB224_3 Depth=1
                                        ;     Parent Loop BB224_42 Depth=2
                                        ;       Parent Loop BB224_45 Depth=3
                                        ; =>      This Loop Header: Depth=4
                                        ;           Child Loop BB224_49 Depth 5
	s_wait_alu 0xfffe
	v_mad_co_u64_u32 v[0:1], null, 0x180, s38, v[8:9]
	s_mov_b32 s39, s30
	s_mov_b32 s40, s37
	;; [unrolled: 1-line block ×3, first 2 shown]
	ds_load_b128 v[0:3], v0
.LBB224_49:                             ;   Parent Loop BB224_3 Depth=1
                                        ;     Parent Loop BB224_42 Depth=2
                                        ;       Parent Loop BB224_45 Depth=3
                                        ;         Parent Loop BB224_48 Depth=4
                                        ; =>        This Inner Loop Header: Depth=5
	scratch_load_b128 v[20:23], off, s39 offset:-8
	s_wait_alu 0xfffe
	v_mov_b32_e32 v5, s40
	s_add_co_i32 s41, s41, -1
	s_add_co_i32 s40, s40, -16
	ds_load_b128 v[24:27], v5
	s_wait_dscnt 0x0
	v_mul_f64_e32 v[5:6], v[2:3], v[26:27]
	v_mul_f64_e32 v[26:27], v[0:1], v[26:27]
	s_delay_alu instid0(VALU_DEP_2) | instskip(NEXT) | instid1(VALU_DEP_2)
	v_fma_f64 v[5:6], v[0:1], v[24:25], -v[5:6]
	v_fma_f64 v[24:25], v[2:3], v[24:25], v[26:27]
	s_wait_loadcnt 0x0
	s_delay_alu instid0(VALU_DEP_2) | instskip(NEXT) | instid1(VALU_DEP_2)
	v_add_f64_e64 v[20:21], v[20:21], -v[5:6]
	v_add_f64_e64 v[22:23], v[22:23], -v[24:25]
	scratch_store_b128 off, v[20:23], s39 offset:-8
	s_add_co_i32 s39, s39, 16
	s_wait_alu 0xfffe
	s_cmp_eq_u32 s41, 0
	s_cbranch_scc0 .LBB224_49
; %bb.50:                               ;   in Loop: Header=BB224_48 Depth=4
	s_add_co_i32 s38, s38, -1
	s_addk_co_i32 s37, 0xfe80
	s_wait_alu 0xfffe
	s_cmp_le_i32 s38, s3
	s_cbranch_scc0 .LBB224_48
.LBB224_51:                             ;   in Loop: Header=BB224_45 Depth=3
	s_mov_b32 s37, 0
	s_mov_b32 s38, s35
	s_branch .LBB224_53
.LBB224_52:                             ;   in Loop: Header=BB224_53 Depth=4
	s_wait_alu 0xfffe
	s_mul_i32 s40, s39, 0x190
	s_add_co_i32 s38, s38, -16
	s_wait_alu 0xfffe
	v_mov_b32_e32 v5, s40
	ds_load_b128 v[20:23], v5
	s_wait_loadcnt_dscnt 0x0
	v_mul_f64_e32 v[5:6], v[22:23], v[2:3]
	v_mul_f64_e32 v[2:3], v[20:21], v[2:3]
	s_delay_alu instid0(VALU_DEP_2) | instskip(NEXT) | instid1(VALU_DEP_2)
	v_fma_f64 v[20:21], v[20:21], v[0:1], -v[5:6]
	v_fma_f64 v[22:23], v[22:23], v[0:1], v[2:3]
	v_mad_co_u64_u32 v[0:1], null, 0x180, s39, v[8:9]
	s_lshl_b32 s39, s37, 4
	s_add_co_i32 s37, s37, 1
	s_wait_alu 0xfffe
	s_cmp_eq_u32 s37, s23
	scratch_store_b128 off, v[20:23], s39
	ds_store_b128 v0, v[20:23]
	s_cbranch_scc1 .LBB224_44
.LBB224_53:                             ;   Parent Loop BB224_3 Depth=1
                                        ;     Parent Loop BB224_42 Depth=2
                                        ;       Parent Loop BB224_45 Depth=3
                                        ; =>      This Loop Header: Depth=4
                                        ;           Child Loop BB224_55 Depth 5
	s_wait_alu 0xfffe
	s_cmp_lg_u32 s37, 0
	s_cbranch_scc0 .LBB224_57
; %bb.54:                               ;   in Loop: Header=BB224_53 Depth=4
	s_lshl_b32 s40, s37, 4
	s_sub_co_i32 s39, s3, s37
	scratch_load_b128 v[0:3], off, s40
	s_mov_b32 s41, s30
	s_mov_b32 s42, s38
	;; [unrolled: 1-line block ×3, first 2 shown]
.LBB224_55:                             ;   Parent Loop BB224_3 Depth=1
                                        ;     Parent Loop BB224_42 Depth=2
                                        ;       Parent Loop BB224_45 Depth=3
                                        ;         Parent Loop BB224_53 Depth=4
                                        ; =>        This Inner Loop Header: Depth=5
	scratch_load_b128 v[20:23], off, s41 offset:-8
	s_wait_alu 0xfffe
	v_mov_b32_e32 v5, s42
	s_add_co_i32 s43, s43, -1
	s_addk_co_i32 s42, 0xfe80
	s_add_co_i32 s41, s41, 16
	s_wait_alu 0xfffe
	s_cmp_eq_u32 s43, 0
	ds_load_b128 v[24:27], v5
	s_wait_loadcnt_dscnt 0x0
	v_mul_f64_e32 v[5:6], v[26:27], v[22:23]
	v_mul_f64_e32 v[22:23], v[24:25], v[22:23]
	s_delay_alu instid0(VALU_DEP_2) | instskip(NEXT) | instid1(VALU_DEP_2)
	v_fma_f64 v[5:6], v[24:25], v[20:21], -v[5:6]
	v_fma_f64 v[20:21], v[26:27], v[20:21], v[22:23]
	s_delay_alu instid0(VALU_DEP_2) | instskip(NEXT) | instid1(VALU_DEP_2)
	v_add_f64_e64 v[0:1], v[0:1], -v[5:6]
	v_add_f64_e64 v[2:3], v[2:3], -v[20:21]
	scratch_store_b128 off, v[0:3], s40
	s_cbranch_scc0 .LBB224_55
; %bb.56:                               ;   in Loop: Header=BB224_53 Depth=4
	s_branch .LBB224_52
.LBB224_57:                             ;   in Loop: Header=BB224_53 Depth=4
                                        ; implicit-def: $vgpr0_vgpr1
                                        ; implicit-def: $sgpr39
	s_cbranch_execz .LBB224_52
; %bb.58:                               ;   in Loop: Header=BB224_53 Depth=4
	scratch_load_b128 v[0:3], off, off
	s_mov_b32 s39, s3
	s_branch .LBB224_52
.LBB224_59:                             ;   in Loop: Header=BB224_3 Depth=1
	s_wait_storecnt 0x0
	; wave barrier
	s_wait_loadcnt_dscnt 0x0
	global_inv scope:SCOPE_SE
	s_and_saveexec_b32 s3, s29
	s_cbranch_execz .LBB224_2
; %bb.60:                               ;   in Loop: Header=BB224_3 Depth=1
	v_add_co_u32 v0, vcc_lo, v11, s10
	s_wait_alu 0xfffd
	v_add_co_ci_u32_e64 v1, null, s11, v12, vcc_lo
	v_mov_b32_e32 v2, v8
	s_delay_alu instid0(VALU_DEP_3) | instskip(SKIP_1) | instid1(VALU_DEP_3)
	v_add_co_u32 v0, vcc_lo, v0, s16
	s_wait_alu 0xfffd
	v_add_co_ci_u32_e64 v1, null, s17, v1, vcc_lo
	s_mov_b32 s18, s25
	v_add_co_u32 v0, vcc_lo, v0, v9
	s_wait_alu 0xfffd
	v_add_co_ci_u32_e64 v1, null, v1, v10, vcc_lo
.LBB224_61:                             ;   Parent Loop BB224_3 Depth=1
                                        ; =>  This Inner Loop Header: Depth=2
	ds_load_2addr_b64 v[3:6], v2 offset1:1
	v_add_nc_u32_e32 v2, 0x180, v2
	s_add_co_i32 s18, s18, -1
	s_delay_alu instid0(SALU_CYCLE_1)
	s_cmp_lg_u32 s18, 0
	s_wait_dscnt 0x0
	flat_store_b128 v[0:1], v[3:6]
	v_add_co_u32 v0, vcc_lo, v0, 16
	s_wait_alu 0xfffd
	v_add_co_ci_u32_e64 v1, null, 0, v1, vcc_lo
	s_cbranch_scc1 .LBB224_61
	s_branch .LBB224_2
.LBB224_62:
	s_endpgm
	.section	.rodata,"a",@progbits
	.p2align	6, 0x0
	.amdhsa_kernel _ZL38rocblas_trsm_small_left_device_sharedBILi24ELi24ELb0E19rocblas_complex_numIdES1_PKPKS1_PKPS1_Ev13rocblas_fill_18rocblas_operation_17rocblas_diagonal_iiT3_T4_lilT5_lili
		.amdhsa_group_segment_fixed_size 18432
		.amdhsa_private_segment_fixed_size 400
		.amdhsa_kernarg_size 368
		.amdhsa_user_sgpr_count 2
		.amdhsa_user_sgpr_dispatch_ptr 0
		.amdhsa_user_sgpr_queue_ptr 0
		.amdhsa_user_sgpr_kernarg_segment_ptr 1
		.amdhsa_user_sgpr_dispatch_id 0
		.amdhsa_user_sgpr_private_segment_size 0
		.amdhsa_wavefront_size32 1
		.amdhsa_uses_dynamic_stack 0
		.amdhsa_enable_private_segment 1
		.amdhsa_system_sgpr_workgroup_id_x 1
		.amdhsa_system_sgpr_workgroup_id_y 0
		.amdhsa_system_sgpr_workgroup_id_z 1
		.amdhsa_system_sgpr_workgroup_info 0
		.amdhsa_system_vgpr_workitem_id 0
		.amdhsa_next_free_vgpr 241
		.amdhsa_next_free_sgpr 45
		.amdhsa_reserve_vcc 1
		.amdhsa_float_round_mode_32 0
		.amdhsa_float_round_mode_16_64 0
		.amdhsa_float_denorm_mode_32 3
		.amdhsa_float_denorm_mode_16_64 3
		.amdhsa_fp16_overflow 0
		.amdhsa_workgroup_processor_mode 1
		.amdhsa_memory_ordered 1
		.amdhsa_forward_progress 1
		.amdhsa_inst_pref_size 25
		.amdhsa_round_robin_scheduling 0
		.amdhsa_exception_fp_ieee_invalid_op 0
		.amdhsa_exception_fp_denorm_src 0
		.amdhsa_exception_fp_ieee_div_zero 0
		.amdhsa_exception_fp_ieee_overflow 0
		.amdhsa_exception_fp_ieee_underflow 0
		.amdhsa_exception_fp_ieee_inexact 0
		.amdhsa_exception_int_div_zero 0
	.end_amdhsa_kernel
	.section	.text._ZL38rocblas_trsm_small_left_device_sharedBILi24ELi24ELb0E19rocblas_complex_numIdES1_PKPKS1_PKPS1_Ev13rocblas_fill_18rocblas_operation_17rocblas_diagonal_iiT3_T4_lilT5_lili,"axG",@progbits,_ZL38rocblas_trsm_small_left_device_sharedBILi24ELi24ELb0E19rocblas_complex_numIdES1_PKPKS1_PKPS1_Ev13rocblas_fill_18rocblas_operation_17rocblas_diagonal_iiT3_T4_lilT5_lili,comdat
.Lfunc_end224:
	.size	_ZL38rocblas_trsm_small_left_device_sharedBILi24ELi24ELb0E19rocblas_complex_numIdES1_PKPKS1_PKPS1_Ev13rocblas_fill_18rocblas_operation_17rocblas_diagonal_iiT3_T4_lilT5_lili, .Lfunc_end224-_ZL38rocblas_trsm_small_left_device_sharedBILi24ELi24ELb0E19rocblas_complex_numIdES1_PKPKS1_PKPS1_Ev13rocblas_fill_18rocblas_operation_17rocblas_diagonal_iiT3_T4_lilT5_lili
                                        ; -- End function
	.set _ZL38rocblas_trsm_small_left_device_sharedBILi24ELi24ELb0E19rocblas_complex_numIdES1_PKPKS1_PKPS1_Ev13rocblas_fill_18rocblas_operation_17rocblas_diagonal_iiT3_T4_lilT5_lili.num_vgpr, 28
	.set _ZL38rocblas_trsm_small_left_device_sharedBILi24ELi24ELb0E19rocblas_complex_numIdES1_PKPKS1_PKPS1_Ev13rocblas_fill_18rocblas_operation_17rocblas_diagonal_iiT3_T4_lilT5_lili.num_agpr, 0
	.set _ZL38rocblas_trsm_small_left_device_sharedBILi24ELi24ELb0E19rocblas_complex_numIdES1_PKPKS1_PKPS1_Ev13rocblas_fill_18rocblas_operation_17rocblas_diagonal_iiT3_T4_lilT5_lili.numbered_sgpr, 45
	.set _ZL38rocblas_trsm_small_left_device_sharedBILi24ELi24ELb0E19rocblas_complex_numIdES1_PKPKS1_PKPS1_Ev13rocblas_fill_18rocblas_operation_17rocblas_diagonal_iiT3_T4_lilT5_lili.num_named_barrier, 0
	.set _ZL38rocblas_trsm_small_left_device_sharedBILi24ELi24ELb0E19rocblas_complex_numIdES1_PKPKS1_PKPS1_Ev13rocblas_fill_18rocblas_operation_17rocblas_diagonal_iiT3_T4_lilT5_lili.private_seg_size, 400
	.set _ZL38rocblas_trsm_small_left_device_sharedBILi24ELi24ELb0E19rocblas_complex_numIdES1_PKPKS1_PKPS1_Ev13rocblas_fill_18rocblas_operation_17rocblas_diagonal_iiT3_T4_lilT5_lili.uses_vcc, 1
	.set _ZL38rocblas_trsm_small_left_device_sharedBILi24ELi24ELb0E19rocblas_complex_numIdES1_PKPKS1_PKPS1_Ev13rocblas_fill_18rocblas_operation_17rocblas_diagonal_iiT3_T4_lilT5_lili.uses_flat_scratch, 0
	.set _ZL38rocblas_trsm_small_left_device_sharedBILi24ELi24ELb0E19rocblas_complex_numIdES1_PKPKS1_PKPS1_Ev13rocblas_fill_18rocblas_operation_17rocblas_diagonal_iiT3_T4_lilT5_lili.has_dyn_sized_stack, 0
	.set _ZL38rocblas_trsm_small_left_device_sharedBILi24ELi24ELb0E19rocblas_complex_numIdES1_PKPKS1_PKPS1_Ev13rocblas_fill_18rocblas_operation_17rocblas_diagonal_iiT3_T4_lilT5_lili.has_recursion, 0
	.set _ZL38rocblas_trsm_small_left_device_sharedBILi24ELi24ELb0E19rocblas_complex_numIdES1_PKPKS1_PKPS1_Ev13rocblas_fill_18rocblas_operation_17rocblas_diagonal_iiT3_T4_lilT5_lili.has_indirect_call, 0
	.section	.AMDGPU.csdata,"",@progbits
; Kernel info:
; codeLenInByte = 3116
; TotalNumSgprs: 47
; NumVgprs: 28
; ScratchSize: 400
; MemoryBound: 0
; FloatMode: 240
; IeeeMode: 1
; LDSByteSize: 18432 bytes/workgroup (compile time only)
; SGPRBlocks: 0
; VGPRBlocks: 30
; NumSGPRsForWavesPerEU: 47
; NumVGPRsForWavesPerEU: 241
; Occupancy: 2
; WaveLimiterHint : 0
; COMPUTE_PGM_RSRC2:SCRATCH_EN: 1
; COMPUTE_PGM_RSRC2:USER_SGPR: 2
; COMPUTE_PGM_RSRC2:TRAP_HANDLER: 0
; COMPUTE_PGM_RSRC2:TGID_X_EN: 1
; COMPUTE_PGM_RSRC2:TGID_Y_EN: 0
; COMPUTE_PGM_RSRC2:TGID_Z_EN: 1
; COMPUTE_PGM_RSRC2:TIDIG_COMP_CNT: 0
	.section	.text._ZL30rocblas_trsm_small_left_deviceILi24ELi24ELb0E19rocblas_complex_numIdES1_PKPKS1_PKPS1_Ev13rocblas_fill_18rocblas_operation_17rocblas_diagonal_iiT3_T4_lilT5_lili,"axG",@progbits,_ZL30rocblas_trsm_small_left_deviceILi24ELi24ELb0E19rocblas_complex_numIdES1_PKPKS1_PKPS1_Ev13rocblas_fill_18rocblas_operation_17rocblas_diagonal_iiT3_T4_lilT5_lili,comdat
	.globl	_ZL30rocblas_trsm_small_left_deviceILi24ELi24ELb0E19rocblas_complex_numIdES1_PKPKS1_PKPS1_Ev13rocblas_fill_18rocblas_operation_17rocblas_diagonal_iiT3_T4_lilT5_lili ; -- Begin function _ZL30rocblas_trsm_small_left_deviceILi24ELi24ELb0E19rocblas_complex_numIdES1_PKPKS1_PKPS1_Ev13rocblas_fill_18rocblas_operation_17rocblas_diagonal_iiT3_T4_lilT5_lili
	.p2align	8
	.type	_ZL30rocblas_trsm_small_left_deviceILi24ELi24ELb0E19rocblas_complex_numIdES1_PKPKS1_PKPS1_Ev13rocblas_fill_18rocblas_operation_17rocblas_diagonal_iiT3_T4_lilT5_lili,@function
_ZL30rocblas_trsm_small_left_deviceILi24ELi24ELb0E19rocblas_complex_numIdES1_PKPKS1_PKPS1_Ev13rocblas_fill_18rocblas_operation_17rocblas_diagonal_iiT3_T4_lilT5_lili: ; @_ZL30rocblas_trsm_small_left_deviceILi24ELi24ELb0E19rocblas_complex_numIdES1_PKPKS1_PKPS1_Ev13rocblas_fill_18rocblas_operation_17rocblas_diagonal_iiT3_T4_lilT5_lili
; %bb.0:
	s_load_b32 s3, s[0:1], 0x68
	s_lshr_b32 s20, ttmp7, 16
	s_wait_kmcnt 0x0
	s_cmp_ge_u32 s20, s3
	s_cbranch_scc1 .LBB225_59
; %bb.1:
	s_clause 0x5
	s_load_b32 s22, s[0:1], 0x38
	s_load_b128 s[16:19], s[0:1], 0x4
	s_load_b32 s2, s[0:1], 0x58
	s_load_b32 s21, s[0:1], 0x70
	s_load_b128 s[12:15], s[0:1], 0x48
	s_load_b256 s[4:11], s[0:1], 0x18
	v_mad_co_u64_u32 v[1:2], null, ttmp9, 24, v[0:1]
	s_mul_i32 s1, ttmp9, 0xffffffe8
	v_dual_mov_b32 v13, 0 :: v_dual_lshlrev_b32 v12, 4, v0
	v_mul_u32_u24_e32 v3, 0x180, v0
	s_mov_b32 s37, 0
                                        ; implicit-def: $sgpr38
                                        ; implicit-def: $sgpr39
	s_delay_alu instid0(VALU_DEP_1)
	v_add_nc_u32_e32 v18, v12, v3
	s_wait_kmcnt 0x0
	s_ashr_i32 s23, s22, 31
	s_cmp_eq_u32 s16, 0x71
	v_mad_co_i64_i32 v[1:2], null, s2, v1, 0
	s_cselect_b32 s0, -1, 0
	s_min_i32 s30, s18, 24
	s_add_co_i32 s21, s21, -1
	s_wait_alu 0xfffe
	s_add_co_i32 s2, s19, s1
	s_add_co_i32 s31, s30, -1
	s_cmp_ge_u32 ttmp9, s21
	v_lshlrev_b64_e32 v[8:9], 4, v[1:2]
	s_wait_alu 0xfffe
	s_cselect_b32 s2, s2, 24
	s_cmp_lg_u32 s17, 0x84
	v_cmp_gt_i32_e64 s1, s30, v0
	s_cselect_b32 s33, -1, 0
	s_cmp_lg_u32 s16, 0x6f
	s_wait_alu 0xfffe
	v_cmp_gt_i32_e64 s2, s2, v0
	s_cselect_b32 s34, -1, 0
	s_lshl_b64 s[16:17], s[10:11], 4
	s_lshl_b64 s[10:11], s[14:15], 4
	v_add_co_u32 v0, s14, s16, v12
	v_add_co_u32 v1, vcc_lo, v8, s10
	v_add_co_ci_u32_e64 v14, null, s17, 0, s14
	s_delay_alu instid0(VALU_DEP_3) | instskip(SKIP_1) | instid1(VALU_DEP_4)
	v_or_b32_e32 v15, 8, v0
	v_add_co_ci_u32_e64 v16, null, s11, v9, vcc_lo
	v_or_b32_e32 v17, 8, v1
	s_mul_i32 s36, s30, 0x180
	s_or_b32 s35, 0, 8
	s_lshl_b64 s[14:15], s[22:23], 4
	s_addk_co_i32 s36, 0xfe80
	s_mov_b32 s17, 0
	s_branch .LBB225_4
.LBB225_2:                              ;   in Loop: Header=BB225_4 Depth=1
	s_add_co_i32 s20, s20, 0x10000
	s_delay_alu instid0(SALU_CYCLE_1)
	s_cmp_ge_u32 s20, s3
	s_cselect_b32 s16, -1, 0
	s_and_not1_b32 s39, s39, exec_lo
	s_wait_alu 0xfffe
	s_or_not1_b32 s16, s16, exec_lo
.LBB225_3:                              ;   in Loop: Header=BB225_4 Depth=1
	s_or_b32 exec_lo, exec_lo, s21
	s_wait_alu 0xfffe
	s_and_b32 s16, exec_lo, s16
	s_wait_alu 0xfffe
	s_or_b32 s37, s16, s37
	s_and_not1_b32 s16, s38, exec_lo
	s_and_b32 s18, s39, exec_lo
	s_wait_alu 0xfffe
	s_or_b32 s38, s16, s18
	s_and_not1_b32 exec_lo, exec_lo, s37
	s_cbranch_execz .LBB225_58
.LBB225_4:                              ; =>This Loop Header: Depth=1
                                        ;     Child Loop BB225_6 Depth 2
                                        ;     Child Loop BB225_19 Depth 2
                                        ;       Child Loop BB225_22 Depth 3
                                        ;         Child Loop BB225_23 Depth 4
                                        ;         Child Loop BB225_26 Depth 4
                                        ;           Child Loop BB225_27 Depth 5
                                        ;         Child Loop BB225_31 Depth 4
                                        ;           Child Loop BB225_33 Depth 5
                                        ;     Child Loop BB225_41 Depth 2
                                        ;       Child Loop BB225_44 Depth 3
                                        ;         Child Loop BB225_45 Depth 4
                                        ;         Child Loop BB225_47 Depth 4
                                        ;           Child Loop BB225_48 Depth 5
                                        ;         Child Loop BB225_52 Depth 4
                                        ;           Child Loop BB225_54 Depth 5
	s_wait_alu 0xfffe
	s_mov_b32 s21, s17
	s_delay_alu instid0(SALU_CYCLE_1) | instskip(NEXT) | instid1(SALU_CYCLE_1)
	s_lshl_b64 s[18:19], s[20:21], 3
	s_add_nc_u64 s[22:23], s[12:13], s[18:19]
	global_load_b64 v[10:11], v13, s[22:23]
	s_and_saveexec_b32 s16, s1
	s_cbranch_execz .LBB225_15
; %bb.5:                                ;   in Loop: Header=BB225_4 Depth=1
	s_add_nc_u64 s[18:19], s[8:9], s[18:19]
	v_mov_b32_e32 v2, v12
	global_load_b64 v[0:1], v13, s[18:19]
	s_mov_b32 s18, s30
	s_wait_loadcnt 0x0
	v_add_co_u32 v0, vcc_lo, v0, v15
	s_wait_alu 0xfffd
	v_add_co_ci_u32_e64 v1, null, v1, v14, vcc_lo
.LBB225_6:                              ;   Parent Loop BB225_4 Depth=1
                                        ; =>  This Inner Loop Header: Depth=2
	flat_load_b128 v[3:6], v[0:1] offset:-8
	v_add_co_u32 v0, vcc_lo, v0, s14
	s_wait_alu 0xfffd
	v_add_co_ci_u32_e64 v1, null, s15, v1, vcc_lo
	s_add_co_i32 s18, s18, -1
	s_delay_alu instid0(SALU_CYCLE_1) | instskip(SKIP_2) | instid1(VALU_DEP_1)
	s_cmp_eq_u32 s18, 0
	s_wait_loadcnt_dscnt 0x0
	v_xor_b32_e32 v7, 0x80000000, v6
	v_cndmask_b32_e64 v6, v6, v7, s0
	ds_store_b128 v2, v[3:6]
	v_add_nc_u32_e32 v2, 0x180, v2
	s_cbranch_scc0 .LBB225_6
; %bb.7:                                ;   in Loop: Header=BB225_4 Depth=1
	s_and_b32 vcc_lo, exec_lo, s33
	s_wait_alu 0xfffe
	s_cbranch_vccz .LBB225_13
; %bb.8:                                ;   in Loop: Header=BB225_4 Depth=1
	ds_load_b128 v[0:3], v18
                                        ; implicit-def: $vgpr6_vgpr7
	s_wait_dscnt 0x0
	v_cmp_ngt_f64_e64 s18, |v[0:1]|, |v[2:3]|
	s_and_saveexec_b32 s19, s18
	s_delay_alu instid0(SALU_CYCLE_1)
	s_xor_b32 s18, exec_lo, s19
	s_cbranch_execz .LBB225_10
; %bb.9:                                ;   in Loop: Header=BB225_4 Depth=1
	v_div_scale_f64 v[4:5], null, v[2:3], v[2:3], v[0:1]
	v_div_scale_f64 v[21:22], vcc_lo, v[0:1], v[2:3], v[0:1]
	s_delay_alu instid0(VALU_DEP_2) | instskip(NEXT) | instid1(TRANS32_DEP_1)
	v_rcp_f64_e32 v[6:7], v[4:5]
	v_fma_f64 v[19:20], -v[4:5], v[6:7], 1.0
	s_delay_alu instid0(VALU_DEP_1) | instskip(NEXT) | instid1(VALU_DEP_1)
	v_fma_f64 v[6:7], v[6:7], v[19:20], v[6:7]
	v_fma_f64 v[19:20], -v[4:5], v[6:7], 1.0
	s_delay_alu instid0(VALU_DEP_1) | instskip(NEXT) | instid1(VALU_DEP_1)
	v_fma_f64 v[6:7], v[6:7], v[19:20], v[6:7]
	v_mul_f64_e32 v[19:20], v[21:22], v[6:7]
	s_delay_alu instid0(VALU_DEP_1) | instskip(SKIP_1) | instid1(VALU_DEP_1)
	v_fma_f64 v[4:5], -v[4:5], v[19:20], v[21:22]
	s_wait_alu 0xfffd
	v_div_fmas_f64 v[4:5], v[4:5], v[6:7], v[19:20]
	s_delay_alu instid0(VALU_DEP_1) | instskip(NEXT) | instid1(VALU_DEP_1)
	v_div_fixup_f64 v[4:5], v[4:5], v[2:3], v[0:1]
	v_fma_f64 v[0:1], v[0:1], v[4:5], v[2:3]
	s_delay_alu instid0(VALU_DEP_1) | instskip(SKIP_1) | instid1(VALU_DEP_2)
	v_div_scale_f64 v[2:3], null, v[0:1], v[0:1], 1.0
	v_div_scale_f64 v[21:22], vcc_lo, 1.0, v[0:1], 1.0
	v_rcp_f64_e32 v[6:7], v[2:3]
	s_delay_alu instid0(TRANS32_DEP_1) | instskip(NEXT) | instid1(VALU_DEP_1)
	v_fma_f64 v[19:20], -v[2:3], v[6:7], 1.0
	v_fma_f64 v[6:7], v[6:7], v[19:20], v[6:7]
	s_delay_alu instid0(VALU_DEP_1) | instskip(NEXT) | instid1(VALU_DEP_1)
	v_fma_f64 v[19:20], -v[2:3], v[6:7], 1.0
	v_fma_f64 v[6:7], v[6:7], v[19:20], v[6:7]
	s_delay_alu instid0(VALU_DEP_1) | instskip(NEXT) | instid1(VALU_DEP_1)
	v_mul_f64_e32 v[19:20], v[21:22], v[6:7]
	v_fma_f64 v[2:3], -v[2:3], v[19:20], v[21:22]
	s_wait_alu 0xfffd
	s_delay_alu instid0(VALU_DEP_1) | instskip(SKIP_1) | instid1(VALU_DEP_2)
	v_div_fmas_f64 v[2:3], v[2:3], v[6:7], v[19:20]
	v_add_f64_e32 v[6:7], 0, v[4:5]
	v_div_fixup_f64 v[0:1], v[2:3], v[0:1], 1.0
	v_fma_f64 v[2:3], v[4:5], 0, -1.0
	s_delay_alu instid0(VALU_DEP_2) | instskip(NEXT) | instid1(VALU_DEP_2)
	v_mul_f64_e32 v[4:5], v[6:7], v[0:1]
	v_mul_f64_e32 v[6:7], v[2:3], v[0:1]
                                        ; implicit-def: $vgpr0_vgpr1
.LBB225_10:                             ;   in Loop: Header=BB225_4 Depth=1
	s_and_not1_saveexec_b32 s18, s18
	s_cbranch_execz .LBB225_12
; %bb.11:                               ;   in Loop: Header=BB225_4 Depth=1
	v_div_scale_f64 v[4:5], null, v[0:1], v[0:1], v[2:3]
	v_div_scale_f64 v[21:22], vcc_lo, v[2:3], v[0:1], v[2:3]
	s_delay_alu instid0(VALU_DEP_2) | instskip(NEXT) | instid1(TRANS32_DEP_1)
	v_rcp_f64_e32 v[6:7], v[4:5]
	v_fma_f64 v[19:20], -v[4:5], v[6:7], 1.0
	s_delay_alu instid0(VALU_DEP_1) | instskip(NEXT) | instid1(VALU_DEP_1)
	v_fma_f64 v[6:7], v[6:7], v[19:20], v[6:7]
	v_fma_f64 v[19:20], -v[4:5], v[6:7], 1.0
	s_delay_alu instid0(VALU_DEP_1) | instskip(NEXT) | instid1(VALU_DEP_1)
	v_fma_f64 v[6:7], v[6:7], v[19:20], v[6:7]
	v_mul_f64_e32 v[19:20], v[21:22], v[6:7]
	s_delay_alu instid0(VALU_DEP_1) | instskip(SKIP_1) | instid1(VALU_DEP_1)
	v_fma_f64 v[4:5], -v[4:5], v[19:20], v[21:22]
	s_wait_alu 0xfffd
	v_div_fmas_f64 v[4:5], v[4:5], v[6:7], v[19:20]
	s_delay_alu instid0(VALU_DEP_1) | instskip(NEXT) | instid1(VALU_DEP_1)
	v_div_fixup_f64 v[4:5], v[4:5], v[0:1], v[2:3]
	v_fma_f64 v[0:1], v[2:3], v[4:5], v[0:1]
	s_delay_alu instid0(VALU_DEP_1) | instskip(SKIP_1) | instid1(VALU_DEP_2)
	v_div_scale_f64 v[2:3], null, v[0:1], v[0:1], 1.0
	v_div_scale_f64 v[21:22], vcc_lo, 1.0, v[0:1], 1.0
	v_rcp_f64_e32 v[6:7], v[2:3]
	s_delay_alu instid0(TRANS32_DEP_1) | instskip(NEXT) | instid1(VALU_DEP_1)
	v_fma_f64 v[19:20], -v[2:3], v[6:7], 1.0
	v_fma_f64 v[6:7], v[6:7], v[19:20], v[6:7]
	s_delay_alu instid0(VALU_DEP_1) | instskip(NEXT) | instid1(VALU_DEP_1)
	v_fma_f64 v[19:20], -v[2:3], v[6:7], 1.0
	v_fma_f64 v[6:7], v[6:7], v[19:20], v[6:7]
	s_delay_alu instid0(VALU_DEP_1) | instskip(NEXT) | instid1(VALU_DEP_1)
	v_mul_f64_e32 v[19:20], v[21:22], v[6:7]
	v_fma_f64 v[2:3], -v[2:3], v[19:20], v[21:22]
	s_wait_alu 0xfffd
	s_delay_alu instid0(VALU_DEP_1) | instskip(SKIP_1) | instid1(VALU_DEP_2)
	v_div_fmas_f64 v[2:3], v[2:3], v[6:7], v[19:20]
	v_fma_f64 v[6:7], v[4:5], 0, 1.0
	v_div_fixup_f64 v[0:1], v[2:3], v[0:1], 1.0
	v_add_f64_e64 v[2:3], -v[4:5], 0
	s_delay_alu instid0(VALU_DEP_2) | instskip(NEXT) | instid1(VALU_DEP_2)
	v_mul_f64_e32 v[4:5], v[6:7], v[0:1]
	v_mul_f64_e32 v[6:7], v[2:3], v[0:1]
.LBB225_12:                             ;   in Loop: Header=BB225_4 Depth=1
	s_or_b32 exec_lo, exec_lo, s18
	s_branch .LBB225_14
.LBB225_13:                             ;   in Loop: Header=BB225_4 Depth=1
	v_mov_b32_e32 v6, 0
	v_dual_mov_b32 v7, 0 :: v_dual_mov_b32 v4, 0
	v_mov_b32_e32 v5, 0x3ff00000
.LBB225_14:                             ;   in Loop: Header=BB225_4 Depth=1
	ds_store_b128 v18, v[4:7]
.LBB225_15:                             ;   in Loop: Header=BB225_4 Depth=1
	s_wait_alu 0xfffe
	s_or_b32 exec_lo, exec_lo, s16
	s_mov_b32 s16, -1
	s_or_b32 s39, s39, exec_lo
	; wave barrier
	s_wait_loadcnt_dscnt 0x0
	global_inv scope:SCOPE_SE
	s_and_saveexec_b32 s21, s2
	s_cbranch_execz .LBB225_3
; %bb.16:                               ;   in Loop: Header=BB225_4 Depth=1
	v_add_co_u32 v0, vcc_lo, v10, s10
	s_wait_alu 0xfffd
	v_add_co_ci_u32_e64 v1, null, s11, v11, vcc_lo
	s_delay_alu instid0(VALU_DEP_2) | instskip(SKIP_1) | instid1(VALU_DEP_2)
	v_add_co_u32 v6, vcc_lo, v0, v8
	s_wait_alu 0xfffd
	v_add_co_ci_u32_e64 v7, null, v1, v9, vcc_lo
	s_and_not1_b32 vcc_lo, exec_lo, s34
	s_wait_alu 0xfffe
	s_cbranch_vccnz .LBB225_38
; %bb.17:                               ;   in Loop: Header=BB225_4 Depth=1
	v_add_co_u32 v19, vcc_lo, v10, v17
	s_wait_alu 0xfffd
	v_add_co_ci_u32_e64 v20, null, v11, v16, vcc_lo
	s_mov_b32 s22, 0
	s_mov_b32 s18, 0
	s_branch .LBB225_19
.LBB225_18:                             ;   in Loop: Header=BB225_19 Depth=2
	s_cmp_lt_i32 s18, s30
	s_cselect_b32 s16, -1, 0
	s_add_co_i32 s19, s22, 1
	s_cmp_lt_u32 s22, 2
	s_cselect_b32 s22, -1, 0
	s_wait_alu 0xfffe
	s_and_b32 s16, s16, s22
	s_mov_b32 s22, s19
	s_wait_alu 0xfffe
	s_and_b32 vcc_lo, exec_lo, s16
	s_wait_alu 0xfffe
	s_cbranch_vccz .LBB225_37
.LBB225_19:                             ;   Parent Loop BB225_4 Depth=1
                                        ; =>  This Loop Header: Depth=2
                                        ;       Child Loop BB225_22 Depth 3
                                        ;         Child Loop BB225_23 Depth 4
                                        ;         Child Loop BB225_26 Depth 4
                                        ;           Child Loop BB225_27 Depth 5
                                        ;         Child Loop BB225_31 Depth 4
                                        ;           Child Loop BB225_33 Depth 5
	s_mov_b32 s23, s17
	s_getpc_b64 s[24:25]
	s_wait_alu 0xfffe
	s_sext_i32_i16 s25, s25
	s_add_co_u32 s24, s24, __const._ZL30rocblas_trsm_small_left_deviceILi24ELi24ELb0E19rocblas_complex_numIdES1_PKPKS1_PKPS1_Ev13rocblas_fill_18rocblas_operation_17rocblas_diagonal_iiT3_T4_lilT5_lili.step_sizes@rel32@lo+12
	s_wait_alu 0xfffe
	s_add_co_ci_u32 s25, s25, __const._ZL30rocblas_trsm_small_left_deviceILi24ELi24ELb0E19rocblas_complex_numIdES1_PKPKS1_PKPS1_Ev13rocblas_fill_18rocblas_operation_17rocblas_diagonal_iiT3_T4_lilT5_lili.step_sizes@rel32@hi+24
	s_lshl_b64 s[26:27], s[22:23], 2
	s_wait_alu 0xfffe
	s_add_nc_u64 s[24:25], s[24:25], s[26:27]
	s_load_b32 s24, s[24:25], 0x0
	s_wait_kmcnt 0x0
	s_add_co_i32 s23, s24, -1
	s_wait_alu 0xfffe
	s_add_co_i32 s16, s23, s18
	s_wait_alu 0xfffe
	s_cmp_ge_i32 s16, s30
	s_cbranch_scc1 .LBB225_18
; %bb.20:                               ;   in Loop: Header=BB225_19 Depth=2
	s_ashr_i32 s19, s18, 31
	s_ashr_i32 s25, s24, 31
	s_lshl_b64 s[26:27], s[18:19], 4
	s_max_i32 s40, s24, 1
	s_wait_alu 0xfffe
	v_add_co_u32 v4, vcc_lo, v19, s26
	s_wait_alu 0xfffd
	v_add_co_ci_u32_e64 v5, null, s27, v20, vcc_lo
	s_lshl_b64 s[26:27], s[24:25], 4
	s_mul_i32 s19, s18, 0x180
	s_mul_i32 s25, s24, 0x180
	;; [unrolled: 1-line block ×4, first 2 shown]
	s_branch .LBB225_22
.LBB225_21:                             ;   in Loop: Header=BB225_22 Depth=3
	v_add_co_u32 v4, vcc_lo, v4, s26
	s_add_co_i32 s18, s18, s24
	s_wait_alu 0xfffd
	v_add_co_ci_u32_e64 v5, null, s27, v5, vcc_lo
	s_add_co_i32 s16, s23, s18
	s_add_co_i32 s19, s19, s25
	;; [unrolled: 1-line block ×3, first 2 shown]
	s_wait_alu 0xfffe
	s_cmp_ge_i32 s16, s30
	s_cbranch_scc1 .LBB225_18
.LBB225_22:                             ;   Parent Loop BB225_4 Depth=1
                                        ;     Parent Loop BB225_19 Depth=2
                                        ; =>    This Loop Header: Depth=3
                                        ;         Child Loop BB225_23 Depth 4
                                        ;         Child Loop BB225_26 Depth 4
                                        ;           Child Loop BB225_27 Depth 5
                                        ;         Child Loop BB225_31 Depth 4
                                        ;           Child Loop BB225_33 Depth 5
	v_dual_mov_b32 v0, v4 :: v_dual_mov_b32 v1, v5
	s_mov_b32 s16, 8
	s_mov_b32 s28, s40
.LBB225_23:                             ;   Parent Loop BB225_4 Depth=1
                                        ;     Parent Loop BB225_19 Depth=2
                                        ;       Parent Loop BB225_22 Depth=3
                                        ; =>      This Inner Loop Header: Depth=4
	flat_load_b128 v[21:24], v[0:1] offset:-8
	v_add_co_u32 v0, vcc_lo, v0, 16
	s_wait_alu 0xfffd
	v_add_co_ci_u32_e64 v1, null, 0, v1, vcc_lo
	s_wait_alu 0xfffe
	s_add_co_i32 s28, s28, -1
	s_mov_b32 s29, s16
	s_add_co_i32 s16, s16, 16
	s_wait_alu 0xfffe
	s_cmp_eq_u32 s28, 0
	s_wait_loadcnt_dscnt 0x0
	v_mul_f64_e32 v[2:3], s[6:7], v[23:24]
	v_mul_f64_e32 v[25:26], s[4:5], v[23:24]
	s_delay_alu instid0(VALU_DEP_2) | instskip(NEXT) | instid1(VALU_DEP_2)
	v_fma_f64 v[23:24], s[4:5], v[21:22], -v[2:3]
	v_fma_f64 v[25:26], s[6:7], v[21:22], v[25:26]
	scratch_store_b128 off, v[23:26], s29 offset:-8
	s_cbranch_scc0 .LBB225_23
; %bb.24:                               ;   in Loop: Header=BB225_22 Depth=3
	s_cmp_lt_i32 s18, 1
	s_cbranch_scc1 .LBB225_29
; %bb.25:                               ;   in Loop: Header=BB225_22 Depth=3
	s_mov_b32 s16, 0
	s_mov_b32 s28, s19
.LBB225_26:                             ;   Parent Loop BB225_4 Depth=1
                                        ;     Parent Loop BB225_19 Depth=2
                                        ;       Parent Loop BB225_22 Depth=3
                                        ; =>      This Loop Header: Depth=4
                                        ;           Child Loop BB225_27 Depth 5
	s_wait_alu 0xfffe
	s_lshl_b64 s[44:45], s[16:17], 4
	s_mov_b32 s29, s35
	s_wait_alu 0xfffe
	v_add_co_u32 v0, vcc_lo, v6, s44
	s_wait_alu 0xfffd
	v_add_co_ci_u32_e64 v1, null, s45, v7, vcc_lo
	s_mov_b32 s43, s28
	s_mov_b32 s44, s40
	flat_load_b128 v[0:3], v[0:1]
.LBB225_27:                             ;   Parent Loop BB225_4 Depth=1
                                        ;     Parent Loop BB225_19 Depth=2
                                        ;       Parent Loop BB225_22 Depth=3
                                        ;         Parent Loop BB225_26 Depth=4
                                        ; =>        This Inner Loop Header: Depth=5
	scratch_load_b128 v[21:24], off, s29 offset:-8
	s_wait_alu 0xfffe
	v_mov_b32_e32 v25, s43
	s_add_co_i32 s44, s44, -1
	s_addk_co_i32 s43, 0x180
	ds_load_b128 v[25:28], v25
	s_wait_loadcnt_dscnt 0x100
	v_mul_f64_e32 v[29:30], v[2:3], v[27:28]
	v_mul_f64_e32 v[27:28], v[0:1], v[27:28]
	s_delay_alu instid0(VALU_DEP_2) | instskip(NEXT) | instid1(VALU_DEP_2)
	v_fma_f64 v[29:30], v[0:1], v[25:26], -v[29:30]
	v_fma_f64 v[25:26], v[2:3], v[25:26], v[27:28]
	s_wait_loadcnt 0x0
	s_delay_alu instid0(VALU_DEP_2) | instskip(NEXT) | instid1(VALU_DEP_2)
	v_add_f64_e64 v[21:22], v[21:22], -v[29:30]
	v_add_f64_e64 v[23:24], v[23:24], -v[25:26]
	scratch_store_b128 off, v[21:24], s29 offset:-8
	s_add_co_i32 s29, s29, 16
	s_wait_alu 0xfffe
	s_cmp_eq_u32 s44, 0
	s_cbranch_scc0 .LBB225_27
; %bb.28:                               ;   in Loop: Header=BB225_26 Depth=4
	s_add_co_i32 s16, s16, 1
	s_add_co_i32 s28, s28, 16
	s_wait_alu 0xfffe
	s_cmp_eq_u32 s16, s18
	s_cbranch_scc0 .LBB225_26
.LBB225_29:                             ;   in Loop: Header=BB225_22 Depth=3
	s_mov_b32 s16, 0
	s_mov_b32 s43, s41
	s_branch .LBB225_31
.LBB225_30:                             ;   in Loop: Header=BB225_31 Depth=4
	s_wait_alu 0xfffe
	s_mul_i32 s29, s28, 0x190
	s_lshl_b32 s44, s16, 4
	s_wait_alu 0xfffe
	v_mov_b32_e32 v21, s29
	s_ashr_i32 s29, s28, 31
	s_add_co_i32 s16, s16, 1
	s_wait_alu 0xfffe
	s_lshl_b64 s[28:29], s[28:29], 4
	s_addk_co_i32 s43, 0x180
	ds_load_b128 v[21:24], v21
	s_cmp_eq_u32 s16, s40
	s_wait_loadcnt_dscnt 0x0
	v_mul_f64_e32 v[25:26], v[23:24], v[2:3]
	v_mul_f64_e32 v[2:3], v[21:22], v[2:3]
	s_delay_alu instid0(VALU_DEP_2) | instskip(NEXT) | instid1(VALU_DEP_2)
	v_fma_f64 v[21:22], v[21:22], v[0:1], -v[25:26]
	v_fma_f64 v[23:24], v[23:24], v[0:1], v[2:3]
	s_wait_alu 0xfffe
	v_add_co_u32 v0, vcc_lo, v6, s28
	s_wait_alu 0xfffd
	v_add_co_ci_u32_e64 v1, null, s29, v7, vcc_lo
	scratch_store_b128 off, v[21:24], s44
	flat_store_b128 v[0:1], v[21:24]
	s_cbranch_scc1 .LBB225_21
.LBB225_31:                             ;   Parent Loop BB225_4 Depth=1
                                        ;     Parent Loop BB225_19 Depth=2
                                        ;       Parent Loop BB225_22 Depth=3
                                        ; =>      This Loop Header: Depth=4
                                        ;           Child Loop BB225_33 Depth 5
	s_wait_alu 0xfffe
	s_cmp_lg_u32 s16, 0
	s_cbranch_scc0 .LBB225_35
; %bb.32:                               ;   in Loop: Header=BB225_31 Depth=4
	s_lshl_b32 s29, s16, 4
	s_add_co_i32 s28, s16, s18
	scratch_load_b128 v[0:3], off, s29
	s_mov_b32 s44, s43
	s_mov_b32 s45, s35
	;; [unrolled: 1-line block ×3, first 2 shown]
.LBB225_33:                             ;   Parent Loop BB225_4 Depth=1
                                        ;     Parent Loop BB225_19 Depth=2
                                        ;       Parent Loop BB225_22 Depth=3
                                        ;         Parent Loop BB225_31 Depth=4
                                        ; =>        This Inner Loop Header: Depth=5
	scratch_load_b128 v[21:24], off, s45 offset:-8
	s_wait_alu 0xfffe
	v_mov_b32_e32 v25, s44
	s_add_co_i32 s46, s46, -1
	s_add_co_i32 s45, s45, 16
	s_add_co_i32 s44, s44, 16
	s_cmp_eq_u32 s46, 0
	ds_load_b128 v[25:28], v25
	s_wait_loadcnt_dscnt 0x0
	v_mul_f64_e32 v[29:30], v[27:28], v[23:24]
	v_mul_f64_e32 v[23:24], v[25:26], v[23:24]
	s_delay_alu instid0(VALU_DEP_2) | instskip(NEXT) | instid1(VALU_DEP_2)
	v_fma_f64 v[25:26], v[25:26], v[21:22], -v[29:30]
	v_fma_f64 v[21:22], v[27:28], v[21:22], v[23:24]
	s_delay_alu instid0(VALU_DEP_2) | instskip(NEXT) | instid1(VALU_DEP_2)
	v_add_f64_e64 v[0:1], v[0:1], -v[25:26]
	v_add_f64_e64 v[2:3], v[2:3], -v[21:22]
	scratch_store_b128 off, v[0:3], s29
	s_cbranch_scc0 .LBB225_33
; %bb.34:                               ;   in Loop: Header=BB225_31 Depth=4
	s_branch .LBB225_30
.LBB225_35:                             ;   in Loop: Header=BB225_31 Depth=4
                                        ; implicit-def: $vgpr0_vgpr1
                                        ; implicit-def: $sgpr28
	s_cbranch_execz .LBB225_30
; %bb.36:                               ;   in Loop: Header=BB225_31 Depth=4
	scratch_load_b128 v[0:3], off, off
	s_mov_b32 s28, s18
	s_branch .LBB225_30
.LBB225_37:                             ;   in Loop: Header=BB225_4 Depth=1
	s_mov_b32 s16, 0
.LBB225_38:                             ;   in Loop: Header=BB225_4 Depth=1
	s_wait_alu 0xfffe
	s_and_b32 vcc_lo, exec_lo, s16
	s_wait_alu 0xfffe
	s_cbranch_vccz .LBB225_2
; %bb.39:                               ;   in Loop: Header=BB225_4 Depth=1
	v_add_co_u32 v4, vcc_lo, v10, v17
	s_wait_alu 0xfffd
	v_add_co_ci_u32_e64 v5, null, v11, v16, vcc_lo
	s_mov_b32 s16, 0
	s_mov_b32 s18, s31
	s_branch .LBB225_41
.LBB225_40:                             ;   in Loop: Header=BB225_41 Depth=2
	s_cmp_gt_i32 s18, -1
	s_cselect_b32 s19, -1, 0
	s_add_co_i32 s22, s16, 1
	s_cmp_lt_u32 s16, 2
	s_cselect_b32 s16, -1, 0
	s_wait_alu 0xfffe
	s_and_b32 s16, s19, s16
	s_wait_alu 0xfffe
	s_and_not1_b32 vcc_lo, exec_lo, s16
	s_mov_b32 s16, s22
	s_wait_alu 0xfffe
	s_cbranch_vccnz .LBB225_2
.LBB225_41:                             ;   Parent Loop BB225_4 Depth=1
                                        ; =>  This Loop Header: Depth=2
                                        ;       Child Loop BB225_44 Depth 3
                                        ;         Child Loop BB225_45 Depth 4
                                        ;         Child Loop BB225_47 Depth 4
                                        ;           Child Loop BB225_48 Depth 5
                                        ;         Child Loop BB225_52 Depth 4
                                        ;           Child Loop BB225_54 Depth 5
	s_getpc_b64 s[22:23]
	s_wait_alu 0xfffe
	s_sext_i32_i16 s23, s23
	s_add_co_u32 s22, s22, __const._ZL30rocblas_trsm_small_left_deviceILi24ELi24ELb0E19rocblas_complex_numIdES1_PKPKS1_PKPS1_Ev13rocblas_fill_18rocblas_operation_17rocblas_diagonal_iiT3_T4_lilT5_lili.step_sizes@rel32@lo+12
	s_wait_alu 0xfffe
	s_add_co_ci_u32 s23, s23, __const._ZL30rocblas_trsm_small_left_deviceILi24ELi24ELb0E19rocblas_complex_numIdES1_PKPKS1_PKPS1_Ev13rocblas_fill_18rocblas_operation_17rocblas_diagonal_iiT3_T4_lilT5_lili.step_sizes@rel32@hi+24
	s_lshl_b64 s[24:25], s[16:17], 2
	s_wait_alu 0xfffe
	s_add_nc_u64 s[22:23], s[22:23], s[24:25]
	s_load_b32 s26, s[22:23], 0x0
	s_wait_kmcnt 0x0
	s_add_co_i32 s27, s26, -1
	s_wait_alu 0xfffe
	s_cmp_lt_i32 s18, s27
	s_cbranch_scc1 .LBB225_40
; %bb.42:                               ;   in Loop: Header=BB225_41 Depth=2
	s_lshl_b32 s19, s18, 4
	s_lshl_b32 s22, s26, 4
	s_max_i32 s28, s26, 1
	s_add_co_i32 s29, s36, s19
	s_wait_alu 0xfffe
	s_sub_co_i32 s40, 0, s22
	s_mul_i32 s41, s18, 0x190
	s_mul_i32 s42, s26, 0xfffffe70
	s_branch .LBB225_44
.LBB225_43:                             ;   in Loop: Header=BB225_44 Depth=3
	s_sub_co_i32 s18, s18, s26
	s_add_co_i32 s29, s29, s40
	s_add_co_i32 s41, s41, s42
	s_cmp_lt_i32 s18, s27
	s_cbranch_scc1 .LBB225_40
.LBB225_44:                             ;   Parent Loop BB225_4 Depth=1
                                        ;     Parent Loop BB225_41 Depth=2
                                        ; =>    This Loop Header: Depth=3
                                        ;         Child Loop BB225_45 Depth 4
                                        ;         Child Loop BB225_47 Depth 4
                                        ;           Child Loop BB225_48 Depth 5
                                        ;         Child Loop BB225_52 Depth 4
                                        ;           Child Loop BB225_54 Depth 5
	s_ashr_i32 s19, s18, 31
	s_delay_alu instid0(SALU_CYCLE_1)
	s_lshl_b64 s[22:23], s[18:19], 4
	s_wait_alu 0xfffe
	v_add_co_u32 v0, vcc_lo, v4, s22
	s_wait_alu 0xfffd
	v_add_co_ci_u32_e64 v1, null, s23, v5, vcc_lo
	s_mov_b32 s22, 8
	s_mov_b32 s23, s28
.LBB225_45:                             ;   Parent Loop BB225_4 Depth=1
                                        ;     Parent Loop BB225_41 Depth=2
                                        ;       Parent Loop BB225_44 Depth=3
                                        ; =>      This Inner Loop Header: Depth=4
	flat_load_b128 v[19:22], v[0:1] offset:-8
	v_add_co_u32 v0, vcc_lo, v0, -16
	s_wait_alu 0xfffd
	v_add_co_ci_u32_e64 v1, null, -1, v1, vcc_lo
	s_wait_alu 0xfffe
	s_add_co_i32 s23, s23, -1
	s_mov_b32 s24, s22
	s_add_co_i32 s22, s22, 16
	s_wait_alu 0xfffe
	s_cmp_eq_u32 s23, 0
	s_wait_loadcnt_dscnt 0x0
	v_mul_f64_e32 v[2:3], s[6:7], v[21:22]
	v_mul_f64_e32 v[10:11], s[4:5], v[21:22]
	s_delay_alu instid0(VALU_DEP_2) | instskip(NEXT) | instid1(VALU_DEP_2)
	v_fma_f64 v[21:22], s[4:5], v[19:20], -v[2:3]
	v_fma_f64 v[23:24], s[6:7], v[19:20], v[10:11]
	scratch_store_b128 off, v[21:24], s24 offset:-8
	s_cbranch_scc0 .LBB225_45
; %bb.46:                               ;   in Loop: Header=BB225_44 Depth=3
	s_cmp_le_i32 s31, s18
	s_mov_b32 s24, s29
	s_mov_b32 s22, s31
	s_cbranch_scc1 .LBB225_50
.LBB225_47:                             ;   Parent Loop BB225_4 Depth=1
                                        ;     Parent Loop BB225_41 Depth=2
                                        ;       Parent Loop BB225_44 Depth=3
                                        ; =>      This Loop Header: Depth=4
                                        ;           Child Loop BB225_48 Depth 5
	s_wait_alu 0xfffe
	s_ashr_i32 s23, s22, 31
	s_mov_b32 s25, s24
	s_wait_alu 0xfffe
	s_lshl_b64 s[44:45], s[22:23], 4
	s_mov_b32 s23, s35
	s_wait_alu 0xfffe
	v_add_co_u32 v0, vcc_lo, v6, s44
	s_wait_alu 0xfffd
	v_add_co_ci_u32_e64 v1, null, s45, v7, vcc_lo
	s_mov_b32 s43, s28
	flat_load_b128 v[0:3], v[0:1]
.LBB225_48:                             ;   Parent Loop BB225_4 Depth=1
                                        ;     Parent Loop BB225_41 Depth=2
                                        ;       Parent Loop BB225_44 Depth=3
                                        ;         Parent Loop BB225_47 Depth=4
                                        ; =>        This Inner Loop Header: Depth=5
	scratch_load_b128 v[19:22], off, s23 offset:-8
	v_mov_b32_e32 v10, s25
	s_wait_alu 0xfffe
	s_add_co_i32 s43, s43, -1
	s_add_co_i32 s25, s25, -16
	ds_load_b128 v[23:26], v10
	s_wait_loadcnt_dscnt 0x100
	v_mul_f64_e32 v[10:11], v[2:3], v[25:26]
	v_mul_f64_e32 v[25:26], v[0:1], v[25:26]
	s_delay_alu instid0(VALU_DEP_2) | instskip(NEXT) | instid1(VALU_DEP_2)
	v_fma_f64 v[10:11], v[0:1], v[23:24], -v[10:11]
	v_fma_f64 v[23:24], v[2:3], v[23:24], v[25:26]
	s_wait_loadcnt 0x0
	s_delay_alu instid0(VALU_DEP_2) | instskip(NEXT) | instid1(VALU_DEP_2)
	v_add_f64_e64 v[19:20], v[19:20], -v[10:11]
	v_add_f64_e64 v[21:22], v[21:22], -v[23:24]
	scratch_store_b128 off, v[19:22], s23 offset:-8
	s_add_co_i32 s23, s23, 16
	s_wait_alu 0xfffe
	s_cmp_eq_u32 s43, 0
	s_cbranch_scc0 .LBB225_48
; %bb.49:                               ;   in Loop: Header=BB225_47 Depth=4
	s_add_co_i32 s22, s22, -1
	s_addk_co_i32 s24, 0xfe80
	s_wait_alu 0xfffe
	s_cmp_le_i32 s22, s18
	s_cbranch_scc0 .LBB225_47
.LBB225_50:                             ;   in Loop: Header=BB225_44 Depth=3
	s_mov_b32 s43, 0
	s_mov_b32 s44, s41
	s_branch .LBB225_52
.LBB225_51:                             ;   in Loop: Header=BB225_52 Depth=4
	s_wait_alu 0xfffe
	s_mulk_i32 s24, 0x190
	s_lshl_b64 s[22:23], s[22:23], 4
	s_wait_alu 0xfffe
	v_mov_b32_e32 v10, s24
	s_lshl_b32 s24, s43, 4
	s_add_co_i32 s43, s43, 1
	s_add_co_i32 s44, s44, -16
	s_wait_alu 0xfffe
	s_cmp_eq_u32 s43, s28
	ds_load_b128 v[19:22], v10
	s_wait_loadcnt_dscnt 0x0
	v_mul_f64_e32 v[10:11], v[21:22], v[2:3]
	v_mul_f64_e32 v[2:3], v[19:20], v[2:3]
	s_delay_alu instid0(VALU_DEP_2) | instskip(NEXT) | instid1(VALU_DEP_2)
	v_fma_f64 v[19:20], v[19:20], v[0:1], -v[10:11]
	v_fma_f64 v[21:22], v[21:22], v[0:1], v[2:3]
	v_add_co_u32 v0, vcc_lo, v6, s22
	s_wait_alu 0xfffd
	v_add_co_ci_u32_e64 v1, null, s23, v7, vcc_lo
	scratch_store_b128 off, v[19:22], s24
	flat_store_b128 v[0:1], v[19:22]
	s_cbranch_scc1 .LBB225_43
.LBB225_52:                             ;   Parent Loop BB225_4 Depth=1
                                        ;     Parent Loop BB225_41 Depth=2
                                        ;       Parent Loop BB225_44 Depth=3
                                        ; =>      This Loop Header: Depth=4
                                        ;           Child Loop BB225_54 Depth 5
	s_wait_alu 0xfffe
	s_cmp_lg_u32 s43, 0
	s_cbranch_scc0 .LBB225_56
; %bb.53:                               ;   in Loop: Header=BB225_52 Depth=4
	s_lshl_b32 s22, s43, 4
	s_mov_b32 s23, s35
	scratch_load_b128 v[0:3], off, s22
	s_mov_b32 s24, s44
	s_mov_b32 s25, s43
.LBB225_54:                             ;   Parent Loop BB225_4 Depth=1
                                        ;     Parent Loop BB225_41 Depth=2
                                        ;       Parent Loop BB225_44 Depth=3
                                        ;         Parent Loop BB225_52 Depth=4
                                        ; =>        This Inner Loop Header: Depth=5
	scratch_load_b128 v[19:22], off, s23 offset:-8
	s_wait_alu 0xfffe
	v_mov_b32_e32 v10, s24
	s_add_co_i32 s25, s25, -1
	s_addk_co_i32 s24, 0xfe80
	s_add_co_i32 s23, s23, 16
	s_wait_alu 0xfffe
	s_cmp_eq_u32 s25, 0
	ds_load_b128 v[23:26], v10
	s_wait_loadcnt_dscnt 0x0
	v_mul_f64_e32 v[10:11], v[25:26], v[21:22]
	v_mul_f64_e32 v[21:22], v[23:24], v[21:22]
	s_delay_alu instid0(VALU_DEP_2) | instskip(NEXT) | instid1(VALU_DEP_2)
	v_fma_f64 v[10:11], v[23:24], v[19:20], -v[10:11]
	v_fma_f64 v[19:20], v[25:26], v[19:20], v[21:22]
	s_delay_alu instid0(VALU_DEP_2) | instskip(NEXT) | instid1(VALU_DEP_2)
	v_add_f64_e64 v[0:1], v[0:1], -v[10:11]
	v_add_f64_e64 v[2:3], v[2:3], -v[19:20]
	scratch_store_b128 off, v[0:3], s22
	s_cbranch_scc0 .LBB225_54
; %bb.55:                               ;   in Loop: Header=BB225_52 Depth=4
	s_sub_co_i32 s24, s18, s43
	s_wait_alu 0xfffe
	s_ashr_i32 s25, s24, 31
	s_wait_alu 0xfffe
	s_mov_b64 s[22:23], s[24:25]
	s_branch .LBB225_51
.LBB225_56:                             ;   in Loop: Header=BB225_52 Depth=4
                                        ; implicit-def: $vgpr0_vgpr1
                                        ; implicit-def: $sgpr24
                                        ; implicit-def: $sgpr22_sgpr23
	s_cbranch_execz .LBB225_51
; %bb.57:                               ;   in Loop: Header=BB225_52 Depth=4
	scratch_load_b128 v[0:3], off, off
	s_mov_b64 s[22:23], s[18:19]
	s_mov_b32 s24, s18
	s_branch .LBB225_51
.LBB225_58:
	s_or_b32 exec_lo, exec_lo, s37
	s_and_saveexec_b32 s0, s38
	s_wait_alu 0xfffe
	s_xor_b32 s0, exec_lo, s0
.LBB225_59:
	s_endpgm
	.section	.rodata,"a",@progbits
	.p2align	6, 0x0
	.amdhsa_kernel _ZL30rocblas_trsm_small_left_deviceILi24ELi24ELb0E19rocblas_complex_numIdES1_PKPKS1_PKPS1_Ev13rocblas_fill_18rocblas_operation_17rocblas_diagonal_iiT3_T4_lilT5_lili
		.amdhsa_group_segment_fixed_size 9216
		.amdhsa_private_segment_fixed_size 400
		.amdhsa_kernarg_size 368
		.amdhsa_user_sgpr_count 2
		.amdhsa_user_sgpr_dispatch_ptr 0
		.amdhsa_user_sgpr_queue_ptr 0
		.amdhsa_user_sgpr_kernarg_segment_ptr 1
		.amdhsa_user_sgpr_dispatch_id 0
		.amdhsa_user_sgpr_private_segment_size 0
		.amdhsa_wavefront_size32 1
		.amdhsa_uses_dynamic_stack 0
		.amdhsa_enable_private_segment 1
		.amdhsa_system_sgpr_workgroup_id_x 1
		.amdhsa_system_sgpr_workgroup_id_y 0
		.amdhsa_system_sgpr_workgroup_id_z 1
		.amdhsa_system_sgpr_workgroup_info 0
		.amdhsa_system_vgpr_workitem_id 0
		.amdhsa_next_free_vgpr 241
		.amdhsa_next_free_sgpr 47
		.amdhsa_reserve_vcc 1
		.amdhsa_float_round_mode_32 0
		.amdhsa_float_round_mode_16_64 0
		.amdhsa_float_denorm_mode_32 3
		.amdhsa_float_denorm_mode_16_64 3
		.amdhsa_fp16_overflow 0
		.amdhsa_workgroup_processor_mode 1
		.amdhsa_memory_ordered 1
		.amdhsa_forward_progress 1
		.amdhsa_inst_pref_size 25
		.amdhsa_round_robin_scheduling 0
		.amdhsa_exception_fp_ieee_invalid_op 0
		.amdhsa_exception_fp_denorm_src 0
		.amdhsa_exception_fp_ieee_div_zero 0
		.amdhsa_exception_fp_ieee_overflow 0
		.amdhsa_exception_fp_ieee_underflow 0
		.amdhsa_exception_fp_ieee_inexact 0
		.amdhsa_exception_int_div_zero 0
	.end_amdhsa_kernel
	.section	.text._ZL30rocblas_trsm_small_left_deviceILi24ELi24ELb0E19rocblas_complex_numIdES1_PKPKS1_PKPS1_Ev13rocblas_fill_18rocblas_operation_17rocblas_diagonal_iiT3_T4_lilT5_lili,"axG",@progbits,_ZL30rocblas_trsm_small_left_deviceILi24ELi24ELb0E19rocblas_complex_numIdES1_PKPKS1_PKPS1_Ev13rocblas_fill_18rocblas_operation_17rocblas_diagonal_iiT3_T4_lilT5_lili,comdat
.Lfunc_end225:
	.size	_ZL30rocblas_trsm_small_left_deviceILi24ELi24ELb0E19rocblas_complex_numIdES1_PKPKS1_PKPS1_Ev13rocblas_fill_18rocblas_operation_17rocblas_diagonal_iiT3_T4_lilT5_lili, .Lfunc_end225-_ZL30rocblas_trsm_small_left_deviceILi24ELi24ELb0E19rocblas_complex_numIdES1_PKPKS1_PKPS1_Ev13rocblas_fill_18rocblas_operation_17rocblas_diagonal_iiT3_T4_lilT5_lili
                                        ; -- End function
	.set _ZL30rocblas_trsm_small_left_deviceILi24ELi24ELb0E19rocblas_complex_numIdES1_PKPKS1_PKPS1_Ev13rocblas_fill_18rocblas_operation_17rocblas_diagonal_iiT3_T4_lilT5_lili.num_vgpr, 31
	.set _ZL30rocblas_trsm_small_left_deviceILi24ELi24ELb0E19rocblas_complex_numIdES1_PKPKS1_PKPS1_Ev13rocblas_fill_18rocblas_operation_17rocblas_diagonal_iiT3_T4_lilT5_lili.num_agpr, 0
	.set _ZL30rocblas_trsm_small_left_deviceILi24ELi24ELb0E19rocblas_complex_numIdES1_PKPKS1_PKPS1_Ev13rocblas_fill_18rocblas_operation_17rocblas_diagonal_iiT3_T4_lilT5_lili.numbered_sgpr, 47
	.set _ZL30rocblas_trsm_small_left_deviceILi24ELi24ELb0E19rocblas_complex_numIdES1_PKPKS1_PKPS1_Ev13rocblas_fill_18rocblas_operation_17rocblas_diagonal_iiT3_T4_lilT5_lili.num_named_barrier, 0
	.set _ZL30rocblas_trsm_small_left_deviceILi24ELi24ELb0E19rocblas_complex_numIdES1_PKPKS1_PKPS1_Ev13rocblas_fill_18rocblas_operation_17rocblas_diagonal_iiT3_T4_lilT5_lili.private_seg_size, 400
	.set _ZL30rocblas_trsm_small_left_deviceILi24ELi24ELb0E19rocblas_complex_numIdES1_PKPKS1_PKPS1_Ev13rocblas_fill_18rocblas_operation_17rocblas_diagonal_iiT3_T4_lilT5_lili.uses_vcc, 1
	.set _ZL30rocblas_trsm_small_left_deviceILi24ELi24ELb0E19rocblas_complex_numIdES1_PKPKS1_PKPS1_Ev13rocblas_fill_18rocblas_operation_17rocblas_diagonal_iiT3_T4_lilT5_lili.uses_flat_scratch, 0
	.set _ZL30rocblas_trsm_small_left_deviceILi24ELi24ELb0E19rocblas_complex_numIdES1_PKPKS1_PKPS1_Ev13rocblas_fill_18rocblas_operation_17rocblas_diagonal_iiT3_T4_lilT5_lili.has_dyn_sized_stack, 0
	.set _ZL30rocblas_trsm_small_left_deviceILi24ELi24ELb0E19rocblas_complex_numIdES1_PKPKS1_PKPS1_Ev13rocblas_fill_18rocblas_operation_17rocblas_diagonal_iiT3_T4_lilT5_lili.has_recursion, 0
	.set _ZL30rocblas_trsm_small_left_deviceILi24ELi24ELb0E19rocblas_complex_numIdES1_PKPKS1_PKPS1_Ev13rocblas_fill_18rocblas_operation_17rocblas_diagonal_iiT3_T4_lilT5_lili.has_indirect_call, 0
	.section	.AMDGPU.csdata,"",@progbits
; Kernel info:
; codeLenInByte = 3160
; TotalNumSgprs: 49
; NumVgprs: 31
; ScratchSize: 400
; MemoryBound: 0
; FloatMode: 240
; IeeeMode: 1
; LDSByteSize: 9216 bytes/workgroup (compile time only)
; SGPRBlocks: 0
; VGPRBlocks: 30
; NumSGPRsForWavesPerEU: 49
; NumVGPRsForWavesPerEU: 241
; Occupancy: 4
; WaveLimiterHint : 1
; COMPUTE_PGM_RSRC2:SCRATCH_EN: 1
; COMPUTE_PGM_RSRC2:USER_SGPR: 2
; COMPUTE_PGM_RSRC2:TRAP_HANDLER: 0
; COMPUTE_PGM_RSRC2:TGID_X_EN: 1
; COMPUTE_PGM_RSRC2:TGID_Y_EN: 0
; COMPUTE_PGM_RSRC2:TGID_Z_EN: 1
; COMPUTE_PGM_RSRC2:TIDIG_COMP_CNT: 0
	.section	.text._ZL38rocblas_trsm_small_left_device_sharedBILi24ELi24ELb1E19rocblas_complex_numIdES1_PKPKS1_PKPS1_Ev13rocblas_fill_18rocblas_operation_17rocblas_diagonal_iiT3_T4_lilT5_lili,"axG",@progbits,_ZL38rocblas_trsm_small_left_device_sharedBILi24ELi24ELb1E19rocblas_complex_numIdES1_PKPKS1_PKPS1_Ev13rocblas_fill_18rocblas_operation_17rocblas_diagonal_iiT3_T4_lilT5_lili,comdat
	.globl	_ZL38rocblas_trsm_small_left_device_sharedBILi24ELi24ELb1E19rocblas_complex_numIdES1_PKPKS1_PKPS1_Ev13rocblas_fill_18rocblas_operation_17rocblas_diagonal_iiT3_T4_lilT5_lili ; -- Begin function _ZL38rocblas_trsm_small_left_device_sharedBILi24ELi24ELb1E19rocblas_complex_numIdES1_PKPKS1_PKPS1_Ev13rocblas_fill_18rocblas_operation_17rocblas_diagonal_iiT3_T4_lilT5_lili
	.p2align	8
	.type	_ZL38rocblas_trsm_small_left_device_sharedBILi24ELi24ELb1E19rocblas_complex_numIdES1_PKPKS1_PKPS1_Ev13rocblas_fill_18rocblas_operation_17rocblas_diagonal_iiT3_T4_lilT5_lili,@function
_ZL38rocblas_trsm_small_left_device_sharedBILi24ELi24ELb1E19rocblas_complex_numIdES1_PKPKS1_PKPS1_Ev13rocblas_fill_18rocblas_operation_17rocblas_diagonal_iiT3_T4_lilT5_lili: ; @_ZL38rocblas_trsm_small_left_device_sharedBILi24ELi24ELb1E19rocblas_complex_numIdES1_PKPKS1_PKPS1_Ev13rocblas_fill_18rocblas_operation_17rocblas_diagonal_iiT3_T4_lilT5_lili
; %bb.0:
	s_load_b32 s24, s[0:1], 0x68
	s_lshr_b32 s2, ttmp7, 16
	s_wait_kmcnt 0x0
	s_cmp_ge_u32 s2, s24
	s_cbranch_scc1 .LBB226_62
; %bb.1:
	s_clause 0x5
	s_load_b32 s22, s[0:1], 0x38
	s_load_b32 s30, s[0:1], 0x58
	s_load_b128 s[16:19], s[0:1], 0x4
	s_load_b32 s3, s[0:1], 0x70
	s_load_b128 s[12:15], s[0:1], 0x48
	s_load_b256 s[4:11], s[0:1], 0x18
	s_mul_i32 s1, ttmp9, 0xffffffe8
	s_mul_i32 s34, ttmp9, 24
	v_dual_mov_b32 v14, 0 :: v_dual_lshlrev_b32 v13, 4, v0
	v_mul_u32_u24_e32 v5, 0x180, v0
	s_mov_b32 s21, 0
	s_delay_alu instid0(VALU_DEP_2) | instskip(NEXT) | instid1(VALU_DEP_2)
	v_or_b32_e32 v8, 0x2400, v13
	v_add_nc_u32_e32 v19, v13, v5
	s_wait_kmcnt 0x0
	s_ashr_i32 s23, s22, 31
	s_ashr_i32 s31, s30, 31
	s_cmp_eq_u32 s16, 0x71
	v_mad_co_i64_i32 v[1:2], null, s30, v0, 0
	s_cselect_b32 s0, -1, 0
	s_min_i32 s25, s18, 24
	s_add_co_i32 s3, s3, -1
	s_add_co_i32 s1, s19, s1
	s_add_co_i32 s26, s25, -1
	s_cmp_ge_u32 ttmp9, s3
	v_lshlrev_b64_e32 v[9:10], 4, v[1:2]
	s_cselect_b32 s3, s1, 24
	s_ashr_i32 s35, s34, 31
	s_cmp_lg_u32 s17, 0x84
	v_cmp_gt_i32_e64 s1, s25, v0
	s_cselect_b32 s27, -1, 0
	s_cmp_gt_i32 s18, 0
	v_cmp_gt_i32_e32 vcc_lo, s3, v0
	s_cselect_b32 s20, -1, 0
	s_cmp_lg_u32 s16, 0x6f
	s_mul_u64 s[18:19], s[30:31], s[34:35]
	s_cselect_b32 s28, -1, 0
	s_lshl_b64 s[16:17], s[34:35], 4
	s_and_b32 s29, vcc_lo, s20
	v_add_co_u32 v0, s3, s16, v13
	s_wait_alu 0xf1ff
	v_add_co_ci_u32_e64 v3, null, s17, 0, s3
	s_lshl_b64 s[16:17], s[10:11], 4
	s_lshl_b64 s[10:11], s[14:15], 4
	v_mul_lo_u32 v6, v0, s31
	v_mul_lo_u32 v7, v3, s30
	v_mad_co_u64_u32 v[3:4], null, v0, s30, s[10:11]
	s_wait_alu 0xfffe
	v_add_co_u32 v0, s3, s16, v13
	s_wait_alu 0xf1ff
	v_add_co_ci_u32_e64 v15, null, s17, 0, s3
	s_lshl_b32 s3, s25, 4
	v_or_b32_e32 v16, 8, v0
	v_add3_u32 v17, v7, v4, v6
	v_or_b32_e32 v18, 8, v3
	s_or_b32 s30, 0, 8
	s_lshl_b64 s[14:15], s[22:23], 4
	s_wait_alu 0xfffe
	s_add_co_i32 s22, s3, -16
	s_lshl_b64 s[16:17], s[18:19], 4
	s_branch .LBB226_3
.LBB226_2:                              ;   in Loop: Header=BB226_3 Depth=1
	s_wait_alu 0xfffe
	s_or_b32 exec_lo, exec_lo, s3
	s_add_co_i32 s2, s2, 0x10000
	s_wait_alu 0xfffe
	s_cmp_lt_u32 s2, s24
	s_cbranch_scc0 .LBB226_62
.LBB226_3:                              ; =>This Loop Header: Depth=1
                                        ;     Child Loop BB226_5 Depth 2
                                        ;     Child Loop BB226_16 Depth 2
	;; [unrolled: 1-line block ×3, first 2 shown]
                                        ;       Child Loop BB226_23 Depth 3
                                        ;         Child Loop BB226_24 Depth 4
                                        ;         Child Loop BB226_26 Depth 4
                                        ;           Child Loop BB226_27 Depth 5
                                        ;         Child Loop BB226_31 Depth 4
                                        ;           Child Loop BB226_33 Depth 5
                                        ;     Child Loop BB226_41 Depth 2
                                        ;       Child Loop BB226_44 Depth 3
                                        ;         Child Loop BB226_45 Depth 4
                                        ;         Child Loop BB226_48 Depth 4
                                        ;           Child Loop BB226_49 Depth 5
                                        ;         Child Loop BB226_53 Depth 4
                                        ;           Child Loop BB226_55 Depth 5
                                        ;     Child Loop BB226_61 Depth 2
	s_mov_b32 s3, s21
	s_wait_alu 0xfffe
	s_lshl_b64 s[18:19], s[2:3], 3
	s_delay_alu instid0(SALU_CYCLE_1)
	s_add_nc_u64 s[34:35], s[12:13], s[18:19]
	global_load_b64 v[11:12], v14, s[34:35]
	s_and_saveexec_b32 s3, s1
	s_cbranch_execz .LBB226_14
; %bb.4:                                ;   in Loop: Header=BB226_3 Depth=1
	s_add_nc_u64 s[18:19], s[8:9], s[18:19]
	v_mov_b32_e32 v2, v13
	global_load_b64 v[0:1], v14, s[18:19]
	s_mov_b32 s18, s25
	s_wait_loadcnt 0x0
	v_add_co_u32 v0, vcc_lo, v0, v16
	s_wait_alu 0xfffd
	v_add_co_ci_u32_e64 v1, null, v1, v15, vcc_lo
.LBB226_5:                              ;   Parent Loop BB226_3 Depth=1
                                        ; =>  This Inner Loop Header: Depth=2
	flat_load_b128 v[3:6], v[0:1] offset:-8
	v_add_co_u32 v0, vcc_lo, v0, s14
	s_wait_alu 0xfffd
	v_add_co_ci_u32_e64 v1, null, s15, v1, vcc_lo
	s_add_co_i32 s18, s18, -1
	s_delay_alu instid0(SALU_CYCLE_1) | instskip(SKIP_2) | instid1(VALU_DEP_1)
	s_cmp_eq_u32 s18, 0
	s_wait_loadcnt_dscnt 0x0
	v_xor_b32_e32 v7, 0x80000000, v6
	v_cndmask_b32_e64 v6, v6, v7, s0
	ds_store_b128 v2, v[3:6]
	v_add_nc_u32_e32 v2, 0x180, v2
	s_cbranch_scc0 .LBB226_5
; %bb.6:                                ;   in Loop: Header=BB226_3 Depth=1
	s_and_b32 vcc_lo, exec_lo, s27
	s_wait_alu 0xfffe
	s_cbranch_vccz .LBB226_12
; %bb.7:                                ;   in Loop: Header=BB226_3 Depth=1
	ds_load_b128 v[0:3], v19
                                        ; implicit-def: $vgpr6_vgpr7
	s_wait_dscnt 0x0
	v_cmp_ngt_f64_e64 s18, |v[0:1]|, |v[2:3]|
	s_and_saveexec_b32 s19, s18
	s_delay_alu instid0(SALU_CYCLE_1)
	s_xor_b32 s18, exec_lo, s19
	s_cbranch_execz .LBB226_9
; %bb.8:                                ;   in Loop: Header=BB226_3 Depth=1
	v_div_scale_f64 v[4:5], null, v[2:3], v[2:3], v[0:1]
	v_div_scale_f64 v[22:23], vcc_lo, v[0:1], v[2:3], v[0:1]
	s_delay_alu instid0(VALU_DEP_2) | instskip(NEXT) | instid1(TRANS32_DEP_1)
	v_rcp_f64_e32 v[6:7], v[4:5]
	v_fma_f64 v[20:21], -v[4:5], v[6:7], 1.0
	s_delay_alu instid0(VALU_DEP_1) | instskip(NEXT) | instid1(VALU_DEP_1)
	v_fma_f64 v[6:7], v[6:7], v[20:21], v[6:7]
	v_fma_f64 v[20:21], -v[4:5], v[6:7], 1.0
	s_delay_alu instid0(VALU_DEP_1) | instskip(NEXT) | instid1(VALU_DEP_1)
	v_fma_f64 v[6:7], v[6:7], v[20:21], v[6:7]
	v_mul_f64_e32 v[20:21], v[22:23], v[6:7]
	s_delay_alu instid0(VALU_DEP_1) | instskip(SKIP_1) | instid1(VALU_DEP_1)
	v_fma_f64 v[4:5], -v[4:5], v[20:21], v[22:23]
	s_wait_alu 0xfffd
	v_div_fmas_f64 v[4:5], v[4:5], v[6:7], v[20:21]
	s_delay_alu instid0(VALU_DEP_1) | instskip(NEXT) | instid1(VALU_DEP_1)
	v_div_fixup_f64 v[4:5], v[4:5], v[2:3], v[0:1]
	v_fma_f64 v[0:1], v[0:1], v[4:5], v[2:3]
	s_delay_alu instid0(VALU_DEP_1) | instskip(SKIP_1) | instid1(VALU_DEP_2)
	v_div_scale_f64 v[2:3], null, v[0:1], v[0:1], 1.0
	v_div_scale_f64 v[22:23], vcc_lo, 1.0, v[0:1], 1.0
	v_rcp_f64_e32 v[6:7], v[2:3]
	s_delay_alu instid0(TRANS32_DEP_1) | instskip(NEXT) | instid1(VALU_DEP_1)
	v_fma_f64 v[20:21], -v[2:3], v[6:7], 1.0
	v_fma_f64 v[6:7], v[6:7], v[20:21], v[6:7]
	s_delay_alu instid0(VALU_DEP_1) | instskip(NEXT) | instid1(VALU_DEP_1)
	v_fma_f64 v[20:21], -v[2:3], v[6:7], 1.0
	v_fma_f64 v[6:7], v[6:7], v[20:21], v[6:7]
	s_delay_alu instid0(VALU_DEP_1) | instskip(NEXT) | instid1(VALU_DEP_1)
	v_mul_f64_e32 v[20:21], v[22:23], v[6:7]
	v_fma_f64 v[2:3], -v[2:3], v[20:21], v[22:23]
	s_wait_alu 0xfffd
	s_delay_alu instid0(VALU_DEP_1) | instskip(SKIP_1) | instid1(VALU_DEP_2)
	v_div_fmas_f64 v[2:3], v[2:3], v[6:7], v[20:21]
	v_add_f64_e32 v[6:7], 0, v[4:5]
	v_div_fixup_f64 v[0:1], v[2:3], v[0:1], 1.0
	v_fma_f64 v[2:3], v[4:5], 0, -1.0
	s_delay_alu instid0(VALU_DEP_2) | instskip(NEXT) | instid1(VALU_DEP_2)
	v_mul_f64_e32 v[4:5], v[6:7], v[0:1]
	v_mul_f64_e32 v[6:7], v[2:3], v[0:1]
                                        ; implicit-def: $vgpr0_vgpr1
.LBB226_9:                              ;   in Loop: Header=BB226_3 Depth=1
	s_and_not1_saveexec_b32 s18, s18
	s_cbranch_execz .LBB226_11
; %bb.10:                               ;   in Loop: Header=BB226_3 Depth=1
	v_div_scale_f64 v[4:5], null, v[0:1], v[0:1], v[2:3]
	v_div_scale_f64 v[22:23], vcc_lo, v[2:3], v[0:1], v[2:3]
	s_delay_alu instid0(VALU_DEP_2) | instskip(NEXT) | instid1(TRANS32_DEP_1)
	v_rcp_f64_e32 v[6:7], v[4:5]
	v_fma_f64 v[20:21], -v[4:5], v[6:7], 1.0
	s_delay_alu instid0(VALU_DEP_1) | instskip(NEXT) | instid1(VALU_DEP_1)
	v_fma_f64 v[6:7], v[6:7], v[20:21], v[6:7]
	v_fma_f64 v[20:21], -v[4:5], v[6:7], 1.0
	s_delay_alu instid0(VALU_DEP_1) | instskip(NEXT) | instid1(VALU_DEP_1)
	v_fma_f64 v[6:7], v[6:7], v[20:21], v[6:7]
	v_mul_f64_e32 v[20:21], v[22:23], v[6:7]
	s_delay_alu instid0(VALU_DEP_1) | instskip(SKIP_1) | instid1(VALU_DEP_1)
	v_fma_f64 v[4:5], -v[4:5], v[20:21], v[22:23]
	s_wait_alu 0xfffd
	v_div_fmas_f64 v[4:5], v[4:5], v[6:7], v[20:21]
	s_delay_alu instid0(VALU_DEP_1) | instskip(NEXT) | instid1(VALU_DEP_1)
	v_div_fixup_f64 v[4:5], v[4:5], v[0:1], v[2:3]
	v_fma_f64 v[0:1], v[2:3], v[4:5], v[0:1]
	s_delay_alu instid0(VALU_DEP_1) | instskip(SKIP_1) | instid1(VALU_DEP_2)
	v_div_scale_f64 v[2:3], null, v[0:1], v[0:1], 1.0
	v_div_scale_f64 v[22:23], vcc_lo, 1.0, v[0:1], 1.0
	v_rcp_f64_e32 v[6:7], v[2:3]
	s_delay_alu instid0(TRANS32_DEP_1) | instskip(NEXT) | instid1(VALU_DEP_1)
	v_fma_f64 v[20:21], -v[2:3], v[6:7], 1.0
	v_fma_f64 v[6:7], v[6:7], v[20:21], v[6:7]
	s_delay_alu instid0(VALU_DEP_1) | instskip(NEXT) | instid1(VALU_DEP_1)
	v_fma_f64 v[20:21], -v[2:3], v[6:7], 1.0
	v_fma_f64 v[6:7], v[6:7], v[20:21], v[6:7]
	s_delay_alu instid0(VALU_DEP_1) | instskip(NEXT) | instid1(VALU_DEP_1)
	v_mul_f64_e32 v[20:21], v[22:23], v[6:7]
	v_fma_f64 v[2:3], -v[2:3], v[20:21], v[22:23]
	s_wait_alu 0xfffd
	s_delay_alu instid0(VALU_DEP_1) | instskip(SKIP_1) | instid1(VALU_DEP_2)
	v_div_fmas_f64 v[2:3], v[2:3], v[6:7], v[20:21]
	v_fma_f64 v[6:7], v[4:5], 0, 1.0
	v_div_fixup_f64 v[0:1], v[2:3], v[0:1], 1.0
	v_add_f64_e64 v[2:3], -v[4:5], 0
	s_delay_alu instid0(VALU_DEP_2) | instskip(NEXT) | instid1(VALU_DEP_2)
	v_mul_f64_e32 v[4:5], v[6:7], v[0:1]
	v_mul_f64_e32 v[6:7], v[2:3], v[0:1]
.LBB226_11:                             ;   in Loop: Header=BB226_3 Depth=1
	s_or_b32 exec_lo, exec_lo, s18
	s_branch .LBB226_13
.LBB226_12:                             ;   in Loop: Header=BB226_3 Depth=1
	v_mov_b32_e32 v6, 0
	v_dual_mov_b32 v7, 0 :: v_dual_mov_b32 v4, 0
	v_mov_b32_e32 v5, 0x3ff00000
.LBB226_13:                             ;   in Loop: Header=BB226_3 Depth=1
	ds_store_b128 v19, v[4:7]
.LBB226_14:                             ;   in Loop: Header=BB226_3 Depth=1
	s_wait_alu 0xfffe
	s_or_b32 exec_lo, exec_lo, s3
	s_and_saveexec_b32 s3, s29
	s_cbranch_execz .LBB226_17
; %bb.15:                               ;   in Loop: Header=BB226_3 Depth=1
	s_wait_loadcnt 0x0
	v_add_co_u32 v0, vcc_lo, v11, v18
	s_wait_alu 0xfffd
	v_add_co_ci_u32_e64 v1, null, v12, v17, vcc_lo
	v_mov_b32_e32 v2, v8
	s_mov_b32 s18, s25
.LBB226_16:                             ;   Parent Loop BB226_3 Depth=1
                                        ; =>  This Inner Loop Header: Depth=2
	flat_load_b128 v[3:6], v[0:1] offset:-8
	v_add_co_u32 v0, vcc_lo, v0, 16
	s_wait_alu 0xfffd
	v_add_co_ci_u32_e64 v1, null, 0, v1, vcc_lo
	s_add_co_i32 s18, s18, -1
	s_delay_alu instid0(SALU_CYCLE_1) | instskip(SKIP_3) | instid1(VALU_DEP_2)
	s_cmp_lg_u32 s18, 0
	s_wait_loadcnt_dscnt 0x0
	v_mul_f64_e32 v[20:21], s[6:7], v[5:6]
	v_mul_f64_e32 v[5:6], s[4:5], v[5:6]
	v_fma_f64 v[20:21], s[4:5], v[3:4], -v[20:21]
	s_delay_alu instid0(VALU_DEP_2)
	v_fma_f64 v[22:23], s[6:7], v[3:4], v[5:6]
	ds_store_b128 v2, v[20:23]
	v_add_nc_u32_e32 v2, 0x180, v2
	s_cbranch_scc1 .LBB226_16
.LBB226_17:                             ;   in Loop: Header=BB226_3 Depth=1
	s_wait_alu 0xfffe
	s_or_b32 exec_lo, exec_lo, s3
	s_delay_alu instid0(SALU_CYCLE_1)
	s_and_not1_b32 vcc_lo, exec_lo, s28
	s_mov_b32 s3, -1
	; wave barrier
	s_wait_loadcnt_dscnt 0x0
	global_inv scope:SCOPE_SE
	s_wait_alu 0xfffe
	s_cbranch_vccnz .LBB226_38
; %bb.18:                               ;   in Loop: Header=BB226_3 Depth=1
	s_mov_b32 s20, 0
	s_mov_b32 s3, s26
	s_branch .LBB226_20
.LBB226_19:                             ;   in Loop: Header=BB226_20 Depth=2
	s_cmp_gt_i32 s3, -1
	s_cselect_b32 s18, -1, 0
	s_add_co_i32 s19, s20, 1
	s_cmp_lt_u32 s20, 2
	s_cselect_b32 s20, -1, 0
	s_delay_alu instid0(SALU_CYCLE_1)
	s_and_b32 s18, s18, s20
	s_mov_b32 s20, s19
	s_and_b32 vcc_lo, exec_lo, s18
	s_wait_alu 0xfffe
	s_cbranch_vccz .LBB226_37
.LBB226_20:                             ;   Parent Loop BB226_3 Depth=1
                                        ; =>  This Loop Header: Depth=2
                                        ;       Child Loop BB226_23 Depth 3
                                        ;         Child Loop BB226_24 Depth 4
                                        ;         Child Loop BB226_26 Depth 4
                                        ;           Child Loop BB226_27 Depth 5
                                        ;         Child Loop BB226_31 Depth 4
                                        ;           Child Loop BB226_33 Depth 5
	s_getpc_b64 s[18:19]
	s_sext_i32_i16 s19, s19
	s_add_co_u32 s18, s18, __const._ZL38rocblas_trsm_small_left_device_sharedBILi24ELi24ELb1E19rocblas_complex_numIdES1_PKPKS1_PKPS1_Ev13rocblas_fill_18rocblas_operation_17rocblas_diagonal_iiT3_T4_lilT5_lili.step_sizes@rel32@lo+8
	s_add_co_ci_u32 s19, s19, __const._ZL38rocblas_trsm_small_left_device_sharedBILi24ELi24ELb1E19rocblas_complex_numIdES1_PKPKS1_PKPS1_Ev13rocblas_fill_18rocblas_operation_17rocblas_diagonal_iiT3_T4_lilT5_lili.step_sizes@rel32@hi+16
	s_lshl_b64 s[34:35], s[20:21], 2
	s_delay_alu instid0(SALU_CYCLE_1) | instskip(SKIP_3) | instid1(SALU_CYCLE_1)
	s_add_nc_u64 s[18:19], s[18:19], s[34:35]
	s_load_b32 s18, s[18:19], 0x0
	s_wait_kmcnt 0x0
	s_add_co_i32 s19, s18, -1
	s_cmp_lt_i32 s3, s19
	s_cbranch_scc1 .LBB226_19
; %bb.21:                               ;   in Loop: Header=BB226_20 Depth=2
	s_mul_i32 s33, s3, 0x180
	s_max_i32 s23, s18, 1
	s_wait_alu 0xfffe
	v_add_nc_u32_e32 v4, s33, v8
	s_mul_i32 s31, s18, 0xfffffe80
	s_add_co_i32 s33, s22, s33
	s_mul_i32 s34, s3, 0x190
	s_mul_i32 s35, s18, 0xfffffe70
	s_branch .LBB226_23
.LBB226_22:                             ;   in Loop: Header=BB226_23 Depth=3
	v_add_nc_u32_e32 v4, s31, v4
	s_sub_co_i32 s3, s3, s18
	s_add_co_i32 s33, s33, s31
	s_add_co_i32 s34, s34, s35
	s_wait_alu 0xfffe
	s_cmp_lt_i32 s3, s19
	s_cbranch_scc1 .LBB226_19
.LBB226_23:                             ;   Parent Loop BB226_3 Depth=1
                                        ;     Parent Loop BB226_20 Depth=2
                                        ; =>    This Loop Header: Depth=3
                                        ;         Child Loop BB226_24 Depth 4
                                        ;         Child Loop BB226_26 Depth 4
                                        ;           Child Loop BB226_27 Depth 5
                                        ;         Child Loop BB226_31 Depth 4
                                        ;           Child Loop BB226_33 Depth 5
	v_mov_b32_e32 v0, v4
	s_mov_b32 s36, 0
	s_mov_b32 s37, s23
.LBB226_24:                             ;   Parent Loop BB226_3 Depth=1
                                        ;     Parent Loop BB226_20 Depth=2
                                        ;       Parent Loop BB226_23 Depth=3
                                        ; =>      This Inner Loop Header: Depth=4
	ds_load_b128 v[20:23], v0
	v_add_nc_u32_e32 v0, 0xfffffe80, v0
	s_wait_alu 0xfffe
	s_add_co_i32 s37, s37, -1
	s_wait_dscnt 0x0
	scratch_store_b128 off, v[20:23], s36
	s_add_co_i32 s36, s36, 16
	s_wait_alu 0xfffe
	s_cmp_eq_u32 s37, 0
	s_cbranch_scc0 .LBB226_24
; %bb.25:                               ;   in Loop: Header=BB226_23 Depth=3
	s_cmp_le_i32 s26, s3
	s_mov_b32 s36, s33
	s_mov_b32 s37, s26
	s_cbranch_scc1 .LBB226_29
.LBB226_26:                             ;   Parent Loop BB226_3 Depth=1
                                        ;     Parent Loop BB226_20 Depth=2
                                        ;       Parent Loop BB226_23 Depth=3
                                        ; =>      This Loop Header: Depth=4
                                        ;           Child Loop BB226_27 Depth 5
	s_wait_alu 0xfffe
	v_mad_co_u64_u32 v[0:1], null, 0x180, s37, v[8:9]
	s_mov_b32 s38, s30
	s_mov_b32 s39, s36
	;; [unrolled: 1-line block ×3, first 2 shown]
	ds_load_b128 v[0:3], v0
.LBB226_27:                             ;   Parent Loop BB226_3 Depth=1
                                        ;     Parent Loop BB226_20 Depth=2
                                        ;       Parent Loop BB226_23 Depth=3
                                        ;         Parent Loop BB226_26 Depth=4
                                        ; =>        This Inner Loop Header: Depth=5
	scratch_load_b128 v[20:23], off, s38 offset:-8
	s_wait_alu 0xfffe
	v_mov_b32_e32 v5, s39
	s_add_co_i32 s40, s40, -1
	s_addk_co_i32 s39, 0xfe80
	ds_load_b128 v[24:27], v5
	s_wait_dscnt 0x0
	v_mul_f64_e32 v[5:6], v[2:3], v[26:27]
	v_mul_f64_e32 v[26:27], v[0:1], v[26:27]
	s_delay_alu instid0(VALU_DEP_2) | instskip(NEXT) | instid1(VALU_DEP_2)
	v_fma_f64 v[5:6], v[0:1], v[24:25], -v[5:6]
	v_fma_f64 v[24:25], v[2:3], v[24:25], v[26:27]
	s_wait_loadcnt 0x0
	s_delay_alu instid0(VALU_DEP_2) | instskip(NEXT) | instid1(VALU_DEP_2)
	v_add_f64_e64 v[20:21], v[20:21], -v[5:6]
	v_add_f64_e64 v[22:23], v[22:23], -v[24:25]
	scratch_store_b128 off, v[20:23], s38 offset:-8
	s_add_co_i32 s38, s38, 16
	s_wait_alu 0xfffe
	s_cmp_eq_u32 s40, 0
	s_cbranch_scc0 .LBB226_27
; %bb.28:                               ;   in Loop: Header=BB226_26 Depth=4
	s_add_co_i32 s37, s37, -1
	s_add_co_i32 s36, s36, -16
	s_wait_alu 0xfffe
	s_cmp_le_i32 s37, s3
	s_cbranch_scc0 .LBB226_26
.LBB226_29:                             ;   in Loop: Header=BB226_23 Depth=3
	s_mul_i32 s36, s3, 0x180
	s_mov_b32 s37, 0
	s_mov_b32 s38, s34
	s_branch .LBB226_31
.LBB226_30:                             ;   in Loop: Header=BB226_31 Depth=4
	s_wait_alu 0xfffe
	s_mulk_i32 s40, 0x190
	s_addk_co_i32 s38, 0xfe80
	s_wait_alu 0xfffe
	v_mov_b32_e32 v5, s40
	s_lshl_b32 s40, s37, 4
	s_add_co_i32 s37, s37, 1
	s_wait_alu 0xfffe
	s_cmp_eq_u32 s37, s23
	ds_load_b128 v[20:23], v5
	s_wait_loadcnt_dscnt 0x0
	v_mul_f64_e32 v[5:6], v[22:23], v[2:3]
	v_mul_f64_e32 v[2:3], v[20:21], v[2:3]
	s_delay_alu instid0(VALU_DEP_2) | instskip(NEXT) | instid1(VALU_DEP_2)
	v_fma_f64 v[20:21], v[20:21], v[0:1], -v[5:6]
	v_fma_f64 v[22:23], v[22:23], v[0:1], v[2:3]
	v_add_nc_u32_e32 v0, s39, v8
	scratch_store_b128 off, v[20:23], s40
	ds_store_b128 v0, v[20:23]
	s_cbranch_scc1 .LBB226_22
.LBB226_31:                             ;   Parent Loop BB226_3 Depth=1
                                        ;     Parent Loop BB226_20 Depth=2
                                        ;       Parent Loop BB226_23 Depth=3
                                        ; =>      This Loop Header: Depth=4
                                        ;           Child Loop BB226_33 Depth 5
	s_wait_alu 0xfffe
	s_cmp_lg_u32 s37, 0
	s_cbranch_scc0 .LBB226_35
; %bb.32:                               ;   in Loop: Header=BB226_31 Depth=4
	s_lshl_b32 s41, s37, 4
	s_sub_co_i32 s40, s3, s37
	scratch_load_b128 v[0:3], off, s41
	s_wait_alu 0xfffe
	s_mul_i32 s39, s40, 0x180
	s_mov_b32 s42, s30
	s_mov_b32 s43, s38
	;; [unrolled: 1-line block ×3, first 2 shown]
.LBB226_33:                             ;   Parent Loop BB226_3 Depth=1
                                        ;     Parent Loop BB226_20 Depth=2
                                        ;       Parent Loop BB226_23 Depth=3
                                        ;         Parent Loop BB226_31 Depth=4
                                        ; =>        This Inner Loop Header: Depth=5
	scratch_load_b128 v[20:23], off, s42 offset:-8
	s_wait_alu 0xfffe
	v_mov_b32_e32 v5, s43
	s_add_co_i32 s44, s44, -1
	s_add_co_i32 s43, s43, -16
	s_add_co_i32 s42, s42, 16
	s_cmp_eq_u32 s44, 0
	ds_load_b128 v[24:27], v5
	s_wait_loadcnt_dscnt 0x0
	v_mul_f64_e32 v[5:6], v[26:27], v[22:23]
	v_mul_f64_e32 v[22:23], v[24:25], v[22:23]
	s_delay_alu instid0(VALU_DEP_2) | instskip(NEXT) | instid1(VALU_DEP_2)
	v_fma_f64 v[5:6], v[24:25], v[20:21], -v[5:6]
	v_fma_f64 v[20:21], v[26:27], v[20:21], v[22:23]
	s_delay_alu instid0(VALU_DEP_2) | instskip(NEXT) | instid1(VALU_DEP_2)
	v_add_f64_e64 v[0:1], v[0:1], -v[5:6]
	v_add_f64_e64 v[2:3], v[2:3], -v[20:21]
	scratch_store_b128 off, v[0:3], s41
	s_cbranch_scc0 .LBB226_33
; %bb.34:                               ;   in Loop: Header=BB226_31 Depth=4
	s_branch .LBB226_30
.LBB226_35:                             ;   in Loop: Header=BB226_31 Depth=4
                                        ; implicit-def: $vgpr0_vgpr1
                                        ; implicit-def: $sgpr40
                                        ; implicit-def: $sgpr39
	s_cbranch_execz .LBB226_30
; %bb.36:                               ;   in Loop: Header=BB226_31 Depth=4
	scratch_load_b128 v[0:3], off, off
	s_mov_b32 s39, s36
	s_mov_b32 s40, s3
	s_branch .LBB226_30
.LBB226_37:                             ;   in Loop: Header=BB226_3 Depth=1
	s_mov_b32 s3, 0
.LBB226_38:                             ;   in Loop: Header=BB226_3 Depth=1
	s_wait_alu 0xfffe
	s_and_b32 vcc_lo, exec_lo, s3
	s_wait_alu 0xfffe
	s_cbranch_vccz .LBB226_59
; %bb.39:                               ;   in Loop: Header=BB226_3 Depth=1
	s_mov_b32 s20, 0
	s_delay_alu instid0(SALU_CYCLE_1)
	s_mov_b32 s3, s20
	s_branch .LBB226_41
.LBB226_40:                             ;   in Loop: Header=BB226_41 Depth=2
	s_cmp_lt_i32 s3, s25
	s_cselect_b32 s18, -1, 0
	s_add_co_i32 s19, s20, 1
	s_cmp_lt_u32 s20, 2
	s_cselect_b32 s20, -1, 0
	s_delay_alu instid0(SALU_CYCLE_1)
	s_and_b32 s18, s18, s20
	s_mov_b32 s20, s19
	s_and_not1_b32 vcc_lo, exec_lo, s18
	s_wait_alu 0xfffe
	s_cbranch_vccnz .LBB226_59
.LBB226_41:                             ;   Parent Loop BB226_3 Depth=1
                                        ; =>  This Loop Header: Depth=2
                                        ;       Child Loop BB226_44 Depth 3
                                        ;         Child Loop BB226_45 Depth 4
                                        ;         Child Loop BB226_48 Depth 4
                                        ;           Child Loop BB226_49 Depth 5
                                        ;         Child Loop BB226_53 Depth 4
                                        ;           Child Loop BB226_55 Depth 5
	s_getpc_b64 s[18:19]
	s_sext_i32_i16 s19, s19
	s_add_co_u32 s18, s18, __const._ZL38rocblas_trsm_small_left_device_sharedBILi24ELi24ELb1E19rocblas_complex_numIdES1_PKPKS1_PKPS1_Ev13rocblas_fill_18rocblas_operation_17rocblas_diagonal_iiT3_T4_lilT5_lili.step_sizes@rel32@lo+8
	s_add_co_ci_u32 s19, s19, __const._ZL38rocblas_trsm_small_left_device_sharedBILi24ELi24ELb1E19rocblas_complex_numIdES1_PKPKS1_PKPS1_Ev13rocblas_fill_18rocblas_operation_17rocblas_diagonal_iiT3_T4_lilT5_lili.step_sizes@rel32@hi+16
	s_lshl_b64 s[34:35], s[20:21], 2
	s_delay_alu instid0(SALU_CYCLE_1) | instskip(SKIP_3) | instid1(SALU_CYCLE_1)
	s_add_nc_u64 s[18:19], s[18:19], s[34:35]
	s_load_b32 s18, s[18:19], 0x0
	s_wait_kmcnt 0x0
	s_add_co_i32 s19, s18, -1
	s_add_co_i32 s23, s19, s3
	s_delay_alu instid0(SALU_CYCLE_1)
	s_cmp_ge_i32 s23, s25
	s_cbranch_scc1 .LBB226_40
; %bb.42:                               ;   in Loop: Header=BB226_41 Depth=2
	v_mad_co_u64_u32 v[4:5], null, 0x180, s3, v[8:9]
	s_max_i32 s23, s18, 1
	s_mul_i32 s31, s18, 0x180
	s_lshl_b32 s33, s3, 4
	s_lshl_b32 s34, s18, 4
	s_mul_i32 s35, s3, 0x190
	s_mul_i32 s36, s18, 0x190
	s_branch .LBB226_44
.LBB226_43:                             ;   in Loop: Header=BB226_44 Depth=3
	s_add_co_i32 s3, s3, s18
	v_add_nc_u32_e32 v4, s31, v4
	s_wait_alu 0xfffe
	s_add_co_i32 s37, s19, s3
	s_add_co_i32 s33, s33, s34
	s_add_co_i32 s35, s35, s36
	s_wait_alu 0xfffe
	s_cmp_ge_i32 s37, s25
	s_cbranch_scc1 .LBB226_40
.LBB226_44:                             ;   Parent Loop BB226_3 Depth=1
                                        ;     Parent Loop BB226_41 Depth=2
                                        ; =>    This Loop Header: Depth=3
                                        ;         Child Loop BB226_45 Depth 4
                                        ;         Child Loop BB226_48 Depth 4
                                        ;           Child Loop BB226_49 Depth 5
                                        ;         Child Loop BB226_53 Depth 4
                                        ;           Child Loop BB226_55 Depth 5
	v_mov_b32_e32 v0, v4
	s_mov_b32 s37, 0
	s_mov_b32 s38, s23
.LBB226_45:                             ;   Parent Loop BB226_3 Depth=1
                                        ;     Parent Loop BB226_41 Depth=2
                                        ;       Parent Loop BB226_44 Depth=3
                                        ; =>      This Inner Loop Header: Depth=4
	ds_load_b128 v[20:23], v0
	v_add_nc_u32_e32 v0, 0x180, v0
	s_wait_alu 0xfffe
	s_add_co_i32 s38, s38, -1
	s_wait_dscnt 0x0
	scratch_store_b128 off, v[20:23], s37
	s_add_co_i32 s37, s37, 16
	s_wait_alu 0xfffe
	s_cmp_eq_u32 s38, 0
	s_cbranch_scc0 .LBB226_45
; %bb.46:                               ;   in Loop: Header=BB226_44 Depth=3
	s_cmp_lt_i32 s3, 1
	s_cbranch_scc1 .LBB226_51
; %bb.47:                               ;   in Loop: Header=BB226_44 Depth=3
	s_mov_b32 s37, 0
	s_mov_b32 s38, s33
.LBB226_48:                             ;   Parent Loop BB226_3 Depth=1
                                        ;     Parent Loop BB226_41 Depth=2
                                        ;       Parent Loop BB226_44 Depth=3
                                        ; =>      This Loop Header: Depth=4
                                        ;           Child Loop BB226_49 Depth 5
	s_wait_alu 0xfffe
	v_mad_co_u64_u32 v[0:1], null, 0x180, s37, v[8:9]
	s_mov_b32 s39, s30
	s_mov_b32 s40, s38
	;; [unrolled: 1-line block ×3, first 2 shown]
	ds_load_b128 v[0:3], v0
.LBB226_49:                             ;   Parent Loop BB226_3 Depth=1
                                        ;     Parent Loop BB226_41 Depth=2
                                        ;       Parent Loop BB226_44 Depth=3
                                        ;         Parent Loop BB226_48 Depth=4
                                        ; =>        This Inner Loop Header: Depth=5
	scratch_load_b128 v[20:23], off, s39 offset:-8
	s_wait_alu 0xfffe
	v_mov_b32_e32 v5, s40
	s_add_co_i32 s41, s41, -1
	s_add_co_i32 s40, s40, 16
	ds_load_b128 v[24:27], v5
	s_wait_dscnt 0x0
	v_mul_f64_e32 v[5:6], v[2:3], v[26:27]
	v_mul_f64_e32 v[26:27], v[0:1], v[26:27]
	s_delay_alu instid0(VALU_DEP_2) | instskip(NEXT) | instid1(VALU_DEP_2)
	v_fma_f64 v[5:6], v[0:1], v[24:25], -v[5:6]
	v_fma_f64 v[24:25], v[2:3], v[24:25], v[26:27]
	s_wait_loadcnt 0x0
	s_delay_alu instid0(VALU_DEP_2) | instskip(NEXT) | instid1(VALU_DEP_2)
	v_add_f64_e64 v[20:21], v[20:21], -v[5:6]
	v_add_f64_e64 v[22:23], v[22:23], -v[24:25]
	scratch_store_b128 off, v[20:23], s39 offset:-8
	s_add_co_i32 s39, s39, 16
	s_wait_alu 0xfffe
	s_cmp_eq_u32 s41, 0
	s_cbranch_scc0 .LBB226_49
; %bb.50:                               ;   in Loop: Header=BB226_48 Depth=4
	s_add_co_i32 s37, s37, 1
	s_addk_co_i32 s38, 0x180
	s_wait_alu 0xfffe
	s_cmp_eq_u32 s37, s3
	s_cbranch_scc0 .LBB226_48
.LBB226_51:                             ;   in Loop: Header=BB226_44 Depth=3
	s_mov_b32 s37, 0
	s_mov_b32 s38, s35
	s_branch .LBB226_53
.LBB226_52:                             ;   in Loop: Header=BB226_53 Depth=4
	s_add_co_i32 s39, s37, s3
	s_add_co_i32 s38, s38, 16
	s_wait_alu 0xfffe
	s_mul_i32 s40, s39, 0x190
	s_wait_alu 0xfffe
	v_mov_b32_e32 v5, s40
	ds_load_b128 v[20:23], v5
	s_wait_loadcnt_dscnt 0x0
	v_mul_f64_e32 v[5:6], v[22:23], v[2:3]
	v_mul_f64_e32 v[2:3], v[20:21], v[2:3]
	s_delay_alu instid0(VALU_DEP_2) | instskip(NEXT) | instid1(VALU_DEP_2)
	v_fma_f64 v[20:21], v[20:21], v[0:1], -v[5:6]
	v_fma_f64 v[22:23], v[22:23], v[0:1], v[2:3]
	v_mad_co_u64_u32 v[0:1], null, 0x180, s39, v[8:9]
	s_lshl_b32 s39, s37, 4
	s_add_co_i32 s37, s37, 1
	s_wait_alu 0xfffe
	s_cmp_eq_u32 s37, s23
	scratch_store_b128 off, v[20:23], s39
	ds_store_b128 v0, v[20:23]
	s_cbranch_scc1 .LBB226_43
.LBB226_53:                             ;   Parent Loop BB226_3 Depth=1
                                        ;     Parent Loop BB226_41 Depth=2
                                        ;       Parent Loop BB226_44 Depth=3
                                        ; =>      This Loop Header: Depth=4
                                        ;           Child Loop BB226_55 Depth 5
	s_wait_alu 0xfffe
	s_cmp_lg_u32 s37, 0
	s_cbranch_scc0 .LBB226_57
; %bb.54:                               ;   in Loop: Header=BB226_53 Depth=4
	s_lshl_b32 s39, s37, 4
	s_mov_b32 s40, s30
	scratch_load_b128 v[0:3], off, s39
	s_mov_b32 s41, s38
	s_mov_b32 s42, s37
.LBB226_55:                             ;   Parent Loop BB226_3 Depth=1
                                        ;     Parent Loop BB226_41 Depth=2
                                        ;       Parent Loop BB226_44 Depth=3
                                        ;         Parent Loop BB226_53 Depth=4
                                        ; =>        This Inner Loop Header: Depth=5
	scratch_load_b128 v[20:23], off, s40 offset:-8
	s_wait_alu 0xfffe
	v_mov_b32_e32 v5, s41
	s_add_co_i32 s42, s42, -1
	s_addk_co_i32 s41, 0x180
	s_add_co_i32 s40, s40, 16
	s_wait_alu 0xfffe
	s_cmp_eq_u32 s42, 0
	ds_load_b128 v[24:27], v5
	s_wait_loadcnt_dscnt 0x0
	v_mul_f64_e32 v[5:6], v[26:27], v[22:23]
	v_mul_f64_e32 v[22:23], v[24:25], v[22:23]
	s_delay_alu instid0(VALU_DEP_2) | instskip(NEXT) | instid1(VALU_DEP_2)
	v_fma_f64 v[5:6], v[24:25], v[20:21], -v[5:6]
	v_fma_f64 v[20:21], v[26:27], v[20:21], v[22:23]
	s_delay_alu instid0(VALU_DEP_2) | instskip(NEXT) | instid1(VALU_DEP_2)
	v_add_f64_e64 v[0:1], v[0:1], -v[5:6]
	v_add_f64_e64 v[2:3], v[2:3], -v[20:21]
	scratch_store_b128 off, v[0:3], s39
	s_cbranch_scc0 .LBB226_55
; %bb.56:                               ;   in Loop: Header=BB226_53 Depth=4
	s_branch .LBB226_52
.LBB226_57:                             ;   in Loop: Header=BB226_53 Depth=4
                                        ; implicit-def: $vgpr0_vgpr1
	s_cbranch_execz .LBB226_52
; %bb.58:                               ;   in Loop: Header=BB226_53 Depth=4
	scratch_load_b128 v[0:3], off, off
	s_branch .LBB226_52
.LBB226_59:                             ;   in Loop: Header=BB226_3 Depth=1
	s_wait_storecnt 0x0
	; wave barrier
	s_wait_loadcnt_dscnt 0x0
	global_inv scope:SCOPE_SE
	s_and_saveexec_b32 s3, s29
	s_cbranch_execz .LBB226_2
; %bb.60:                               ;   in Loop: Header=BB226_3 Depth=1
	v_add_co_u32 v0, vcc_lo, v11, s10
	s_wait_alu 0xfffd
	v_add_co_ci_u32_e64 v1, null, s11, v12, vcc_lo
	v_mov_b32_e32 v2, v8
	s_delay_alu instid0(VALU_DEP_3) | instskip(SKIP_1) | instid1(VALU_DEP_3)
	v_add_co_u32 v0, vcc_lo, v0, s16
	s_wait_alu 0xfffd
	v_add_co_ci_u32_e64 v1, null, s17, v1, vcc_lo
	s_mov_b32 s18, s25
	v_add_co_u32 v0, vcc_lo, v0, v9
	s_wait_alu 0xfffd
	v_add_co_ci_u32_e64 v1, null, v1, v10, vcc_lo
.LBB226_61:                             ;   Parent Loop BB226_3 Depth=1
                                        ; =>  This Inner Loop Header: Depth=2
	ds_load_2addr_b64 v[3:6], v2 offset1:1
	v_add_nc_u32_e32 v2, 0x180, v2
	s_add_co_i32 s18, s18, -1
	s_delay_alu instid0(SALU_CYCLE_1)
	s_cmp_lg_u32 s18, 0
	s_wait_dscnt 0x0
	flat_store_b128 v[0:1], v[3:6]
	v_add_co_u32 v0, vcc_lo, v0, 16
	s_wait_alu 0xfffd
	v_add_co_ci_u32_e64 v1, null, 0, v1, vcc_lo
	s_cbranch_scc1 .LBB226_61
	s_branch .LBB226_2
.LBB226_62:
	s_endpgm
	.section	.rodata,"a",@progbits
	.p2align	6, 0x0
	.amdhsa_kernel _ZL38rocblas_trsm_small_left_device_sharedBILi24ELi24ELb1E19rocblas_complex_numIdES1_PKPKS1_PKPS1_Ev13rocblas_fill_18rocblas_operation_17rocblas_diagonal_iiT3_T4_lilT5_lili
		.amdhsa_group_segment_fixed_size 18432
		.amdhsa_private_segment_fixed_size 400
		.amdhsa_kernarg_size 368
		.amdhsa_user_sgpr_count 2
		.amdhsa_user_sgpr_dispatch_ptr 0
		.amdhsa_user_sgpr_queue_ptr 0
		.amdhsa_user_sgpr_kernarg_segment_ptr 1
		.amdhsa_user_sgpr_dispatch_id 0
		.amdhsa_user_sgpr_private_segment_size 0
		.amdhsa_wavefront_size32 1
		.amdhsa_uses_dynamic_stack 0
		.amdhsa_enable_private_segment 1
		.amdhsa_system_sgpr_workgroup_id_x 1
		.amdhsa_system_sgpr_workgroup_id_y 0
		.amdhsa_system_sgpr_workgroup_id_z 1
		.amdhsa_system_sgpr_workgroup_info 0
		.amdhsa_system_vgpr_workitem_id 0
		.amdhsa_next_free_vgpr 241
		.amdhsa_next_free_sgpr 45
		.amdhsa_reserve_vcc 1
		.amdhsa_float_round_mode_32 0
		.amdhsa_float_round_mode_16_64 0
		.amdhsa_float_denorm_mode_32 3
		.amdhsa_float_denorm_mode_16_64 3
		.amdhsa_fp16_overflow 0
		.amdhsa_workgroup_processor_mode 1
		.amdhsa_memory_ordered 1
		.amdhsa_forward_progress 1
		.amdhsa_inst_pref_size 25
		.amdhsa_round_robin_scheduling 0
		.amdhsa_exception_fp_ieee_invalid_op 0
		.amdhsa_exception_fp_denorm_src 0
		.amdhsa_exception_fp_ieee_div_zero 0
		.amdhsa_exception_fp_ieee_overflow 0
		.amdhsa_exception_fp_ieee_underflow 0
		.amdhsa_exception_fp_ieee_inexact 0
		.amdhsa_exception_int_div_zero 0
	.end_amdhsa_kernel
	.section	.text._ZL38rocblas_trsm_small_left_device_sharedBILi24ELi24ELb1E19rocblas_complex_numIdES1_PKPKS1_PKPS1_Ev13rocblas_fill_18rocblas_operation_17rocblas_diagonal_iiT3_T4_lilT5_lili,"axG",@progbits,_ZL38rocblas_trsm_small_left_device_sharedBILi24ELi24ELb1E19rocblas_complex_numIdES1_PKPKS1_PKPS1_Ev13rocblas_fill_18rocblas_operation_17rocblas_diagonal_iiT3_T4_lilT5_lili,comdat
.Lfunc_end226:
	.size	_ZL38rocblas_trsm_small_left_device_sharedBILi24ELi24ELb1E19rocblas_complex_numIdES1_PKPKS1_PKPS1_Ev13rocblas_fill_18rocblas_operation_17rocblas_diagonal_iiT3_T4_lilT5_lili, .Lfunc_end226-_ZL38rocblas_trsm_small_left_device_sharedBILi24ELi24ELb1E19rocblas_complex_numIdES1_PKPKS1_PKPS1_Ev13rocblas_fill_18rocblas_operation_17rocblas_diagonal_iiT3_T4_lilT5_lili
                                        ; -- End function
	.set _ZL38rocblas_trsm_small_left_device_sharedBILi24ELi24ELb1E19rocblas_complex_numIdES1_PKPKS1_PKPS1_Ev13rocblas_fill_18rocblas_operation_17rocblas_diagonal_iiT3_T4_lilT5_lili.num_vgpr, 28
	.set _ZL38rocblas_trsm_small_left_device_sharedBILi24ELi24ELb1E19rocblas_complex_numIdES1_PKPKS1_PKPS1_Ev13rocblas_fill_18rocblas_operation_17rocblas_diagonal_iiT3_T4_lilT5_lili.num_agpr, 0
	.set _ZL38rocblas_trsm_small_left_device_sharedBILi24ELi24ELb1E19rocblas_complex_numIdES1_PKPKS1_PKPS1_Ev13rocblas_fill_18rocblas_operation_17rocblas_diagonal_iiT3_T4_lilT5_lili.numbered_sgpr, 45
	.set _ZL38rocblas_trsm_small_left_device_sharedBILi24ELi24ELb1E19rocblas_complex_numIdES1_PKPKS1_PKPS1_Ev13rocblas_fill_18rocblas_operation_17rocblas_diagonal_iiT3_T4_lilT5_lili.num_named_barrier, 0
	.set _ZL38rocblas_trsm_small_left_device_sharedBILi24ELi24ELb1E19rocblas_complex_numIdES1_PKPKS1_PKPS1_Ev13rocblas_fill_18rocblas_operation_17rocblas_diagonal_iiT3_T4_lilT5_lili.private_seg_size, 400
	.set _ZL38rocblas_trsm_small_left_device_sharedBILi24ELi24ELb1E19rocblas_complex_numIdES1_PKPKS1_PKPS1_Ev13rocblas_fill_18rocblas_operation_17rocblas_diagonal_iiT3_T4_lilT5_lili.uses_vcc, 1
	.set _ZL38rocblas_trsm_small_left_device_sharedBILi24ELi24ELb1E19rocblas_complex_numIdES1_PKPKS1_PKPS1_Ev13rocblas_fill_18rocblas_operation_17rocblas_diagonal_iiT3_T4_lilT5_lili.uses_flat_scratch, 0
	.set _ZL38rocblas_trsm_small_left_device_sharedBILi24ELi24ELb1E19rocblas_complex_numIdES1_PKPKS1_PKPS1_Ev13rocblas_fill_18rocblas_operation_17rocblas_diagonal_iiT3_T4_lilT5_lili.has_dyn_sized_stack, 0
	.set _ZL38rocblas_trsm_small_left_device_sharedBILi24ELi24ELb1E19rocblas_complex_numIdES1_PKPKS1_PKPS1_Ev13rocblas_fill_18rocblas_operation_17rocblas_diagonal_iiT3_T4_lilT5_lili.has_recursion, 0
	.set _ZL38rocblas_trsm_small_left_device_sharedBILi24ELi24ELb1E19rocblas_complex_numIdES1_PKPKS1_PKPS1_Ev13rocblas_fill_18rocblas_operation_17rocblas_diagonal_iiT3_T4_lilT5_lili.has_indirect_call, 0
	.section	.AMDGPU.csdata,"",@progbits
; Kernel info:
; codeLenInByte = 3092
; TotalNumSgprs: 47
; NumVgprs: 28
; ScratchSize: 400
; MemoryBound: 0
; FloatMode: 240
; IeeeMode: 1
; LDSByteSize: 18432 bytes/workgroup (compile time only)
; SGPRBlocks: 0
; VGPRBlocks: 30
; NumSGPRsForWavesPerEU: 47
; NumVGPRsForWavesPerEU: 241
; Occupancy: 2
; WaveLimiterHint : 0
; COMPUTE_PGM_RSRC2:SCRATCH_EN: 1
; COMPUTE_PGM_RSRC2:USER_SGPR: 2
; COMPUTE_PGM_RSRC2:TRAP_HANDLER: 0
; COMPUTE_PGM_RSRC2:TGID_X_EN: 1
; COMPUTE_PGM_RSRC2:TGID_Y_EN: 0
; COMPUTE_PGM_RSRC2:TGID_Z_EN: 1
; COMPUTE_PGM_RSRC2:TIDIG_COMP_CNT: 0
	.section	.text._ZL30rocblas_trsm_small_left_deviceILi24ELi24ELb1E19rocblas_complex_numIdES1_PKPKS1_PKPS1_Ev13rocblas_fill_18rocblas_operation_17rocblas_diagonal_iiT3_T4_lilT5_lili,"axG",@progbits,_ZL30rocblas_trsm_small_left_deviceILi24ELi24ELb1E19rocblas_complex_numIdES1_PKPKS1_PKPS1_Ev13rocblas_fill_18rocblas_operation_17rocblas_diagonal_iiT3_T4_lilT5_lili,comdat
	.globl	_ZL30rocblas_trsm_small_left_deviceILi24ELi24ELb1E19rocblas_complex_numIdES1_PKPKS1_PKPS1_Ev13rocblas_fill_18rocblas_operation_17rocblas_diagonal_iiT3_T4_lilT5_lili ; -- Begin function _ZL30rocblas_trsm_small_left_deviceILi24ELi24ELb1E19rocblas_complex_numIdES1_PKPKS1_PKPS1_Ev13rocblas_fill_18rocblas_operation_17rocblas_diagonal_iiT3_T4_lilT5_lili
	.p2align	8
	.type	_ZL30rocblas_trsm_small_left_deviceILi24ELi24ELb1E19rocblas_complex_numIdES1_PKPKS1_PKPS1_Ev13rocblas_fill_18rocblas_operation_17rocblas_diagonal_iiT3_T4_lilT5_lili,@function
_ZL30rocblas_trsm_small_left_deviceILi24ELi24ELb1E19rocblas_complex_numIdES1_PKPKS1_PKPS1_Ev13rocblas_fill_18rocblas_operation_17rocblas_diagonal_iiT3_T4_lilT5_lili: ; @_ZL30rocblas_trsm_small_left_deviceILi24ELi24ELb1E19rocblas_complex_numIdES1_PKPKS1_PKPS1_Ev13rocblas_fill_18rocblas_operation_17rocblas_diagonal_iiT3_T4_lilT5_lili
; %bb.0:
	s_load_b32 s3, s[0:1], 0x68
	s_lshr_b32 s20, ttmp7, 16
	s_wait_kmcnt 0x0
	s_cmp_ge_u32 s20, s3
	s_cbranch_scc1 .LBB227_59
; %bb.1:
	s_clause 0x5
	s_load_b32 s22, s[0:1], 0x38
	s_load_b128 s[16:19], s[0:1], 0x4
	s_load_b32 s2, s[0:1], 0x58
	s_load_b32 s21, s[0:1], 0x70
	s_load_b128 s[12:15], s[0:1], 0x48
	s_load_b256 s[4:11], s[0:1], 0x18
	v_mad_co_u64_u32 v[1:2], null, ttmp9, 24, v[0:1]
	s_mul_i32 s1, ttmp9, 0xffffffe8
	v_dual_mov_b32 v13, 0 :: v_dual_lshlrev_b32 v12, 4, v0
	v_mul_u32_u24_e32 v3, 0x180, v0
	s_mov_b32 s35, 0
                                        ; implicit-def: $sgpr36
                                        ; implicit-def: $sgpr37
	s_delay_alu instid0(VALU_DEP_1)
	v_add_nc_u32_e32 v18, v12, v3
	s_wait_kmcnt 0x0
	s_ashr_i32 s23, s22, 31
	s_cmp_eq_u32 s16, 0x71
	v_mad_co_i64_i32 v[1:2], null, s2, v1, 0
	s_cselect_b32 s0, -1, 0
	s_min_i32 s28, s18, 24
	s_add_co_i32 s21, s21, -1
	s_wait_alu 0xfffe
	s_add_co_i32 s2, s19, s1
	s_add_co_i32 s29, s28, -1
	s_cmp_ge_u32 ttmp9, s21
	v_lshlrev_b64_e32 v[8:9], 4, v[1:2]
	s_wait_alu 0xfffe
	s_cselect_b32 s2, s2, 24
	s_cmp_lg_u32 s17, 0x84
	v_cmp_gt_i32_e64 s1, s28, v0
	s_cselect_b32 s30, -1, 0
	s_cmp_lg_u32 s16, 0x6f
	s_wait_alu 0xfffe
	v_cmp_gt_i32_e64 s2, s2, v0
	s_cselect_b32 s31, -1, 0
	s_lshl_b64 s[16:17], s[10:11], 4
	s_lshl_b64 s[10:11], s[14:15], 4
	v_add_co_u32 v0, s14, s16, v12
	v_add_co_u32 v1, vcc_lo, v8, s10
	v_add_co_ci_u32_e64 v14, null, s17, 0, s14
	s_delay_alu instid0(VALU_DEP_3) | instskip(SKIP_1) | instid1(VALU_DEP_4)
	v_or_b32_e32 v15, 8, v0
	v_add_co_ci_u32_e64 v16, null, s11, v9, vcc_lo
	v_or_b32_e32 v17, 8, v1
	s_lshl_b32 s34, s28, 4
	s_or_b32 s33, 0, 8
	s_lshl_b64 s[14:15], s[22:23], 4
	s_add_co_i32 s34, s34, -16
	s_mov_b32 s17, 0
	s_branch .LBB227_4
.LBB227_2:                              ;   in Loop: Header=BB227_4 Depth=1
	s_add_co_i32 s20, s20, 0x10000
	s_delay_alu instid0(SALU_CYCLE_1)
	s_cmp_ge_u32 s20, s3
	s_cselect_b32 s16, -1, 0
	s_and_not1_b32 s37, s37, exec_lo
	s_wait_alu 0xfffe
	s_or_not1_b32 s16, s16, exec_lo
.LBB227_3:                              ;   in Loop: Header=BB227_4 Depth=1
	s_or_b32 exec_lo, exec_lo, s21
	s_wait_alu 0xfffe
	s_and_b32 s16, exec_lo, s16
	s_wait_alu 0xfffe
	s_or_b32 s35, s16, s35
	s_and_not1_b32 s16, s36, exec_lo
	s_and_b32 s18, s37, exec_lo
	s_wait_alu 0xfffe
	s_or_b32 s36, s16, s18
	s_and_not1_b32 exec_lo, exec_lo, s35
	s_cbranch_execz .LBB227_58
.LBB227_4:                              ; =>This Loop Header: Depth=1
                                        ;     Child Loop BB227_6 Depth 2
                                        ;     Child Loop BB227_19 Depth 2
                                        ;       Child Loop BB227_22 Depth 3
                                        ;         Child Loop BB227_23 Depth 4
                                        ;         Child Loop BB227_25 Depth 4
                                        ;           Child Loop BB227_26 Depth 5
                                        ;         Child Loop BB227_30 Depth 4
                                        ;           Child Loop BB227_32 Depth 5
                                        ;     Child Loop BB227_40 Depth 2
                                        ;       Child Loop BB227_43 Depth 3
                                        ;         Child Loop BB227_44 Depth 4
                                        ;         Child Loop BB227_47 Depth 4
                                        ;           Child Loop BB227_48 Depth 5
                                        ;         Child Loop BB227_52 Depth 4
                                        ;           Child Loop BB227_54 Depth 5
	s_wait_alu 0xfffe
	s_mov_b32 s21, s17
	s_delay_alu instid0(SALU_CYCLE_1) | instskip(NEXT) | instid1(SALU_CYCLE_1)
	s_lshl_b64 s[18:19], s[20:21], 3
	s_add_nc_u64 s[22:23], s[12:13], s[18:19]
	global_load_b64 v[10:11], v13, s[22:23]
	s_and_saveexec_b32 s16, s1
	s_cbranch_execz .LBB227_15
; %bb.5:                                ;   in Loop: Header=BB227_4 Depth=1
	s_add_nc_u64 s[18:19], s[8:9], s[18:19]
	v_mov_b32_e32 v2, v12
	global_load_b64 v[0:1], v13, s[18:19]
	s_mov_b32 s18, s28
	s_wait_loadcnt 0x0
	v_add_co_u32 v0, vcc_lo, v0, v15
	s_wait_alu 0xfffd
	v_add_co_ci_u32_e64 v1, null, v1, v14, vcc_lo
.LBB227_6:                              ;   Parent Loop BB227_4 Depth=1
                                        ; =>  This Inner Loop Header: Depth=2
	flat_load_b128 v[3:6], v[0:1] offset:-8
	v_add_co_u32 v0, vcc_lo, v0, s14
	s_wait_alu 0xfffd
	v_add_co_ci_u32_e64 v1, null, s15, v1, vcc_lo
	s_add_co_i32 s18, s18, -1
	s_delay_alu instid0(SALU_CYCLE_1) | instskip(SKIP_2) | instid1(VALU_DEP_1)
	s_cmp_eq_u32 s18, 0
	s_wait_loadcnt_dscnt 0x0
	v_xor_b32_e32 v7, 0x80000000, v6
	v_cndmask_b32_e64 v6, v6, v7, s0
	ds_store_b128 v2, v[3:6]
	v_add_nc_u32_e32 v2, 0x180, v2
	s_cbranch_scc0 .LBB227_6
; %bb.7:                                ;   in Loop: Header=BB227_4 Depth=1
	s_and_b32 vcc_lo, exec_lo, s30
	s_wait_alu 0xfffe
	s_cbranch_vccz .LBB227_13
; %bb.8:                                ;   in Loop: Header=BB227_4 Depth=1
	ds_load_b128 v[0:3], v18
                                        ; implicit-def: $vgpr6_vgpr7
	s_wait_dscnt 0x0
	v_cmp_ngt_f64_e64 s18, |v[0:1]|, |v[2:3]|
	s_and_saveexec_b32 s19, s18
	s_delay_alu instid0(SALU_CYCLE_1)
	s_xor_b32 s18, exec_lo, s19
	s_cbranch_execz .LBB227_10
; %bb.9:                                ;   in Loop: Header=BB227_4 Depth=1
	v_div_scale_f64 v[4:5], null, v[2:3], v[2:3], v[0:1]
	v_div_scale_f64 v[21:22], vcc_lo, v[0:1], v[2:3], v[0:1]
	s_delay_alu instid0(VALU_DEP_2) | instskip(NEXT) | instid1(TRANS32_DEP_1)
	v_rcp_f64_e32 v[6:7], v[4:5]
	v_fma_f64 v[19:20], -v[4:5], v[6:7], 1.0
	s_delay_alu instid0(VALU_DEP_1) | instskip(NEXT) | instid1(VALU_DEP_1)
	v_fma_f64 v[6:7], v[6:7], v[19:20], v[6:7]
	v_fma_f64 v[19:20], -v[4:5], v[6:7], 1.0
	s_delay_alu instid0(VALU_DEP_1) | instskip(NEXT) | instid1(VALU_DEP_1)
	v_fma_f64 v[6:7], v[6:7], v[19:20], v[6:7]
	v_mul_f64_e32 v[19:20], v[21:22], v[6:7]
	s_delay_alu instid0(VALU_DEP_1) | instskip(SKIP_1) | instid1(VALU_DEP_1)
	v_fma_f64 v[4:5], -v[4:5], v[19:20], v[21:22]
	s_wait_alu 0xfffd
	v_div_fmas_f64 v[4:5], v[4:5], v[6:7], v[19:20]
	s_delay_alu instid0(VALU_DEP_1) | instskip(NEXT) | instid1(VALU_DEP_1)
	v_div_fixup_f64 v[4:5], v[4:5], v[2:3], v[0:1]
	v_fma_f64 v[0:1], v[0:1], v[4:5], v[2:3]
	s_delay_alu instid0(VALU_DEP_1) | instskip(SKIP_1) | instid1(VALU_DEP_2)
	v_div_scale_f64 v[2:3], null, v[0:1], v[0:1], 1.0
	v_div_scale_f64 v[21:22], vcc_lo, 1.0, v[0:1], 1.0
	v_rcp_f64_e32 v[6:7], v[2:3]
	s_delay_alu instid0(TRANS32_DEP_1) | instskip(NEXT) | instid1(VALU_DEP_1)
	v_fma_f64 v[19:20], -v[2:3], v[6:7], 1.0
	v_fma_f64 v[6:7], v[6:7], v[19:20], v[6:7]
	s_delay_alu instid0(VALU_DEP_1) | instskip(NEXT) | instid1(VALU_DEP_1)
	v_fma_f64 v[19:20], -v[2:3], v[6:7], 1.0
	v_fma_f64 v[6:7], v[6:7], v[19:20], v[6:7]
	s_delay_alu instid0(VALU_DEP_1) | instskip(NEXT) | instid1(VALU_DEP_1)
	v_mul_f64_e32 v[19:20], v[21:22], v[6:7]
	v_fma_f64 v[2:3], -v[2:3], v[19:20], v[21:22]
	s_wait_alu 0xfffd
	s_delay_alu instid0(VALU_DEP_1) | instskip(SKIP_1) | instid1(VALU_DEP_2)
	v_div_fmas_f64 v[2:3], v[2:3], v[6:7], v[19:20]
	v_add_f64_e32 v[6:7], 0, v[4:5]
	v_div_fixup_f64 v[0:1], v[2:3], v[0:1], 1.0
	v_fma_f64 v[2:3], v[4:5], 0, -1.0
	s_delay_alu instid0(VALU_DEP_2) | instskip(NEXT) | instid1(VALU_DEP_2)
	v_mul_f64_e32 v[4:5], v[6:7], v[0:1]
	v_mul_f64_e32 v[6:7], v[2:3], v[0:1]
                                        ; implicit-def: $vgpr0_vgpr1
.LBB227_10:                             ;   in Loop: Header=BB227_4 Depth=1
	s_and_not1_saveexec_b32 s18, s18
	s_cbranch_execz .LBB227_12
; %bb.11:                               ;   in Loop: Header=BB227_4 Depth=1
	v_div_scale_f64 v[4:5], null, v[0:1], v[0:1], v[2:3]
	v_div_scale_f64 v[21:22], vcc_lo, v[2:3], v[0:1], v[2:3]
	s_delay_alu instid0(VALU_DEP_2) | instskip(NEXT) | instid1(TRANS32_DEP_1)
	v_rcp_f64_e32 v[6:7], v[4:5]
	v_fma_f64 v[19:20], -v[4:5], v[6:7], 1.0
	s_delay_alu instid0(VALU_DEP_1) | instskip(NEXT) | instid1(VALU_DEP_1)
	v_fma_f64 v[6:7], v[6:7], v[19:20], v[6:7]
	v_fma_f64 v[19:20], -v[4:5], v[6:7], 1.0
	s_delay_alu instid0(VALU_DEP_1) | instskip(NEXT) | instid1(VALU_DEP_1)
	v_fma_f64 v[6:7], v[6:7], v[19:20], v[6:7]
	v_mul_f64_e32 v[19:20], v[21:22], v[6:7]
	s_delay_alu instid0(VALU_DEP_1) | instskip(SKIP_1) | instid1(VALU_DEP_1)
	v_fma_f64 v[4:5], -v[4:5], v[19:20], v[21:22]
	s_wait_alu 0xfffd
	v_div_fmas_f64 v[4:5], v[4:5], v[6:7], v[19:20]
	s_delay_alu instid0(VALU_DEP_1) | instskip(NEXT) | instid1(VALU_DEP_1)
	v_div_fixup_f64 v[4:5], v[4:5], v[0:1], v[2:3]
	v_fma_f64 v[0:1], v[2:3], v[4:5], v[0:1]
	s_delay_alu instid0(VALU_DEP_1) | instskip(SKIP_1) | instid1(VALU_DEP_2)
	v_div_scale_f64 v[2:3], null, v[0:1], v[0:1], 1.0
	v_div_scale_f64 v[21:22], vcc_lo, 1.0, v[0:1], 1.0
	v_rcp_f64_e32 v[6:7], v[2:3]
	s_delay_alu instid0(TRANS32_DEP_1) | instskip(NEXT) | instid1(VALU_DEP_1)
	v_fma_f64 v[19:20], -v[2:3], v[6:7], 1.0
	v_fma_f64 v[6:7], v[6:7], v[19:20], v[6:7]
	s_delay_alu instid0(VALU_DEP_1) | instskip(NEXT) | instid1(VALU_DEP_1)
	v_fma_f64 v[19:20], -v[2:3], v[6:7], 1.0
	v_fma_f64 v[6:7], v[6:7], v[19:20], v[6:7]
	s_delay_alu instid0(VALU_DEP_1) | instskip(NEXT) | instid1(VALU_DEP_1)
	v_mul_f64_e32 v[19:20], v[21:22], v[6:7]
	v_fma_f64 v[2:3], -v[2:3], v[19:20], v[21:22]
	s_wait_alu 0xfffd
	s_delay_alu instid0(VALU_DEP_1) | instskip(SKIP_1) | instid1(VALU_DEP_2)
	v_div_fmas_f64 v[2:3], v[2:3], v[6:7], v[19:20]
	v_fma_f64 v[6:7], v[4:5], 0, 1.0
	v_div_fixup_f64 v[0:1], v[2:3], v[0:1], 1.0
	v_add_f64_e64 v[2:3], -v[4:5], 0
	s_delay_alu instid0(VALU_DEP_2) | instskip(NEXT) | instid1(VALU_DEP_2)
	v_mul_f64_e32 v[4:5], v[6:7], v[0:1]
	v_mul_f64_e32 v[6:7], v[2:3], v[0:1]
.LBB227_12:                             ;   in Loop: Header=BB227_4 Depth=1
	s_or_b32 exec_lo, exec_lo, s18
	s_branch .LBB227_14
.LBB227_13:                             ;   in Loop: Header=BB227_4 Depth=1
	v_mov_b32_e32 v6, 0
	v_dual_mov_b32 v7, 0 :: v_dual_mov_b32 v4, 0
	v_mov_b32_e32 v5, 0x3ff00000
.LBB227_14:                             ;   in Loop: Header=BB227_4 Depth=1
	ds_store_b128 v18, v[4:7]
.LBB227_15:                             ;   in Loop: Header=BB227_4 Depth=1
	s_wait_alu 0xfffe
	s_or_b32 exec_lo, exec_lo, s16
	s_mov_b32 s16, -1
	s_or_b32 s37, s37, exec_lo
	; wave barrier
	s_wait_loadcnt_dscnt 0x0
	global_inv scope:SCOPE_SE
	s_and_saveexec_b32 s21, s2
	s_cbranch_execz .LBB227_3
; %bb.16:                               ;   in Loop: Header=BB227_4 Depth=1
	v_add_co_u32 v0, vcc_lo, v10, s10
	s_wait_alu 0xfffd
	v_add_co_ci_u32_e64 v1, null, s11, v11, vcc_lo
	s_delay_alu instid0(VALU_DEP_2) | instskip(SKIP_1) | instid1(VALU_DEP_2)
	v_add_co_u32 v6, vcc_lo, v0, v8
	s_wait_alu 0xfffd
	v_add_co_ci_u32_e64 v7, null, v1, v9, vcc_lo
	s_and_not1_b32 vcc_lo, exec_lo, s31
	s_wait_alu 0xfffe
	s_cbranch_vccnz .LBB227_37
; %bb.17:                               ;   in Loop: Header=BB227_4 Depth=1
	v_add_co_u32 v4, vcc_lo, v10, v17
	s_wait_alu 0xfffd
	v_add_co_ci_u32_e64 v5, null, v11, v16, vcc_lo
	s_mov_b32 s16, 0
	s_mov_b32 s18, s29
	s_branch .LBB227_19
.LBB227_18:                             ;   in Loop: Header=BB227_19 Depth=2
	s_cmp_gt_i32 s18, -1
	s_cselect_b32 s19, -1, 0
	s_add_co_i32 s22, s16, 1
	s_cmp_lt_u32 s16, 2
	s_cselect_b32 s16, -1, 0
	s_wait_alu 0xfffe
	s_and_b32 s16, s19, s16
	s_wait_alu 0xfffe
	s_and_b32 vcc_lo, exec_lo, s16
	s_mov_b32 s16, s22
	s_wait_alu 0xfffe
	s_cbranch_vccz .LBB227_36
.LBB227_19:                             ;   Parent Loop BB227_4 Depth=1
                                        ; =>  This Loop Header: Depth=2
                                        ;       Child Loop BB227_22 Depth 3
                                        ;         Child Loop BB227_23 Depth 4
                                        ;         Child Loop BB227_25 Depth 4
                                        ;           Child Loop BB227_26 Depth 5
                                        ;         Child Loop BB227_30 Depth 4
                                        ;           Child Loop BB227_32 Depth 5
	s_getpc_b64 s[22:23]
	s_wait_alu 0xfffe
	s_sext_i32_i16 s23, s23
	s_add_co_u32 s22, s22, __const._ZL30rocblas_trsm_small_left_deviceILi24ELi24ELb1E19rocblas_complex_numIdES1_PKPKS1_PKPS1_Ev13rocblas_fill_18rocblas_operation_17rocblas_diagonal_iiT3_T4_lilT5_lili.step_sizes@rel32@lo+12
	s_wait_alu 0xfffe
	s_add_co_ci_u32 s23, s23, __const._ZL30rocblas_trsm_small_left_deviceILi24ELi24ELb1E19rocblas_complex_numIdES1_PKPKS1_PKPS1_Ev13rocblas_fill_18rocblas_operation_17rocblas_diagonal_iiT3_T4_lilT5_lili.step_sizes@rel32@hi+24
	s_lshl_b64 s[24:25], s[16:17], 2
	s_wait_alu 0xfffe
	s_add_nc_u64 s[22:23], s[22:23], s[24:25]
	s_load_b32 s26, s[22:23], 0x0
	s_wait_kmcnt 0x0
	s_add_co_i32 s27, s26, -1
	s_wait_alu 0xfffe
	s_cmp_lt_i32 s18, s27
	s_cbranch_scc1 .LBB227_18
; %bb.20:                               ;   in Loop: Header=BB227_19 Depth=2
	s_mul_i32 s19, s18, 0x180
	s_max_i32 s38, s26, 1
	s_add_co_i32 s39, s34, s19
	s_mul_i32 s40, s26, 0xfffffe80
	s_mul_i32 s41, s18, 0x190
	s_mul_i32 s42, s26, 0xfffffe70
	s_branch .LBB227_22
.LBB227_21:                             ;   in Loop: Header=BB227_22 Depth=3
	s_sub_co_i32 s18, s18, s26
	s_add_co_i32 s39, s39, s40
	s_add_co_i32 s41, s41, s42
	s_cmp_lt_i32 s18, s27
	s_cbranch_scc1 .LBB227_18
.LBB227_22:                             ;   Parent Loop BB227_4 Depth=1
                                        ;     Parent Loop BB227_19 Depth=2
                                        ; =>    This Loop Header: Depth=3
                                        ;         Child Loop BB227_23 Depth 4
                                        ;         Child Loop BB227_25 Depth 4
                                        ;           Child Loop BB227_26 Depth 5
                                        ;         Child Loop BB227_30 Depth 4
                                        ;           Child Loop BB227_32 Depth 5
	s_ashr_i32 s19, s18, 31
	s_delay_alu instid0(SALU_CYCLE_1)
	s_lshl_b64 s[22:23], s[18:19], 4
	s_wait_alu 0xfffe
	v_add_co_u32 v0, vcc_lo, v4, s22
	s_wait_alu 0xfffd
	v_add_co_ci_u32_e64 v1, null, s23, v5, vcc_lo
	s_mov_b32 s22, 8
	s_mov_b32 s23, s38
.LBB227_23:                             ;   Parent Loop BB227_4 Depth=1
                                        ;     Parent Loop BB227_19 Depth=2
                                        ;       Parent Loop BB227_22 Depth=3
                                        ; =>      This Inner Loop Header: Depth=4
	flat_load_b128 v[19:22], v[0:1] offset:-8
	v_add_co_u32 v0, vcc_lo, v0, -16
	s_wait_alu 0xfffd
	v_add_co_ci_u32_e64 v1, null, -1, v1, vcc_lo
	s_wait_alu 0xfffe
	s_add_co_i32 s23, s23, -1
	s_mov_b32 s24, s22
	s_add_co_i32 s22, s22, 16
	s_wait_alu 0xfffe
	s_cmp_eq_u32 s23, 0
	s_wait_loadcnt_dscnt 0x0
	v_mul_f64_e32 v[2:3], s[6:7], v[21:22]
	v_mul_f64_e32 v[23:24], s[4:5], v[21:22]
	s_delay_alu instid0(VALU_DEP_2) | instskip(NEXT) | instid1(VALU_DEP_2)
	v_fma_f64 v[21:22], s[4:5], v[19:20], -v[2:3]
	v_fma_f64 v[23:24], s[6:7], v[19:20], v[23:24]
	scratch_store_b128 off, v[21:24], s24 offset:-8
	s_cbranch_scc0 .LBB227_23
; %bb.24:                               ;   in Loop: Header=BB227_22 Depth=3
	s_cmp_le_i32 s29, s18
	s_mov_b32 s24, s39
	s_mov_b32 s22, s29
	s_cbranch_scc1 .LBB227_28
.LBB227_25:                             ;   Parent Loop BB227_4 Depth=1
                                        ;     Parent Loop BB227_19 Depth=2
                                        ;       Parent Loop BB227_22 Depth=3
                                        ; =>      This Loop Header: Depth=4
                                        ;           Child Loop BB227_26 Depth 5
	s_wait_alu 0xfffe
	s_ashr_i32 s23, s22, 31
	s_mov_b32 s25, s24
	s_wait_alu 0xfffe
	s_lshl_b64 s[44:45], s[22:23], 4
	s_mov_b32 s23, s33
	s_wait_alu 0xfffe
	v_add_co_u32 v0, vcc_lo, v6, s44
	s_wait_alu 0xfffd
	v_add_co_ci_u32_e64 v1, null, s45, v7, vcc_lo
	s_mov_b32 s43, s38
	flat_load_b128 v[0:3], v[0:1]
.LBB227_26:                             ;   Parent Loop BB227_4 Depth=1
                                        ;     Parent Loop BB227_19 Depth=2
                                        ;       Parent Loop BB227_22 Depth=3
                                        ;         Parent Loop BB227_25 Depth=4
                                        ; =>        This Inner Loop Header: Depth=5
	scratch_load_b128 v[19:22], off, s23 offset:-8
	v_mov_b32_e32 v23, s25
	s_wait_alu 0xfffe
	s_add_co_i32 s43, s43, -1
	s_addk_co_i32 s25, 0xfe80
	ds_load_b128 v[23:26], v23
	s_wait_loadcnt_dscnt 0x100
	v_mul_f64_e32 v[27:28], v[2:3], v[25:26]
	v_mul_f64_e32 v[25:26], v[0:1], v[25:26]
	s_delay_alu instid0(VALU_DEP_2) | instskip(NEXT) | instid1(VALU_DEP_2)
	v_fma_f64 v[27:28], v[0:1], v[23:24], -v[27:28]
	v_fma_f64 v[23:24], v[2:3], v[23:24], v[25:26]
	s_wait_loadcnt 0x0
	s_delay_alu instid0(VALU_DEP_2) | instskip(NEXT) | instid1(VALU_DEP_2)
	v_add_f64_e64 v[19:20], v[19:20], -v[27:28]
	v_add_f64_e64 v[21:22], v[21:22], -v[23:24]
	scratch_store_b128 off, v[19:22], s23 offset:-8
	s_add_co_i32 s23, s23, 16
	s_wait_alu 0xfffe
	s_cmp_eq_u32 s43, 0
	s_cbranch_scc0 .LBB227_26
; %bb.27:                               ;   in Loop: Header=BB227_25 Depth=4
	s_add_co_i32 s22, s22, -1
	s_add_co_i32 s24, s24, -16
	s_wait_alu 0xfffe
	s_cmp_le_i32 s22, s18
	s_cbranch_scc0 .LBB227_25
.LBB227_28:                             ;   in Loop: Header=BB227_22 Depth=3
	s_mov_b32 s43, 0
	s_mov_b32 s44, s41
	s_branch .LBB227_30
.LBB227_29:                             ;   in Loop: Header=BB227_30 Depth=4
	s_wait_alu 0xfffe
	s_mulk_i32 s24, 0x190
	s_lshl_b64 s[22:23], s[22:23], 4
	s_wait_alu 0xfffe
	v_mov_b32_e32 v19, s24
	s_lshl_b32 s24, s43, 4
	s_add_co_i32 s43, s43, 1
	s_addk_co_i32 s44, 0xfe80
	s_wait_alu 0xfffe
	s_cmp_eq_u32 s43, s38
	ds_load_b128 v[19:22], v19
	s_wait_loadcnt_dscnt 0x0
	v_mul_f64_e32 v[23:24], v[21:22], v[2:3]
	v_mul_f64_e32 v[2:3], v[19:20], v[2:3]
	s_delay_alu instid0(VALU_DEP_2) | instskip(NEXT) | instid1(VALU_DEP_2)
	v_fma_f64 v[19:20], v[19:20], v[0:1], -v[23:24]
	v_fma_f64 v[21:22], v[21:22], v[0:1], v[2:3]
	v_add_co_u32 v0, vcc_lo, v6, s22
	s_wait_alu 0xfffd
	v_add_co_ci_u32_e64 v1, null, s23, v7, vcc_lo
	scratch_store_b128 off, v[19:22], s24
	flat_store_b128 v[0:1], v[19:22]
	s_cbranch_scc1 .LBB227_21
.LBB227_30:                             ;   Parent Loop BB227_4 Depth=1
                                        ;     Parent Loop BB227_19 Depth=2
                                        ;       Parent Loop BB227_22 Depth=3
                                        ; =>      This Loop Header: Depth=4
                                        ;           Child Loop BB227_32 Depth 5
	s_wait_alu 0xfffe
	s_cmp_lg_u32 s43, 0
	s_cbranch_scc0 .LBB227_34
; %bb.31:                               ;   in Loop: Header=BB227_30 Depth=4
	s_lshl_b32 s22, s43, 4
	s_mov_b32 s23, s33
	scratch_load_b128 v[0:3], off, s22
	s_mov_b32 s24, s44
	s_mov_b32 s25, s43
.LBB227_32:                             ;   Parent Loop BB227_4 Depth=1
                                        ;     Parent Loop BB227_19 Depth=2
                                        ;       Parent Loop BB227_22 Depth=3
                                        ;         Parent Loop BB227_30 Depth=4
                                        ; =>        This Inner Loop Header: Depth=5
	scratch_load_b128 v[19:22], off, s23 offset:-8
	s_wait_alu 0xfffe
	v_mov_b32_e32 v23, s24
	s_add_co_i32 s25, s25, -1
	s_add_co_i32 s24, s24, -16
	s_add_co_i32 s23, s23, 16
	s_wait_alu 0xfffe
	s_cmp_eq_u32 s25, 0
	ds_load_b128 v[23:26], v23
	s_wait_loadcnt_dscnt 0x0
	v_mul_f64_e32 v[27:28], v[25:26], v[21:22]
	v_mul_f64_e32 v[21:22], v[23:24], v[21:22]
	s_delay_alu instid0(VALU_DEP_2) | instskip(NEXT) | instid1(VALU_DEP_2)
	v_fma_f64 v[23:24], v[23:24], v[19:20], -v[27:28]
	v_fma_f64 v[19:20], v[25:26], v[19:20], v[21:22]
	s_delay_alu instid0(VALU_DEP_2) | instskip(NEXT) | instid1(VALU_DEP_2)
	v_add_f64_e64 v[0:1], v[0:1], -v[23:24]
	v_add_f64_e64 v[2:3], v[2:3], -v[19:20]
	scratch_store_b128 off, v[0:3], s22
	s_cbranch_scc0 .LBB227_32
; %bb.33:                               ;   in Loop: Header=BB227_30 Depth=4
	s_sub_co_i32 s24, s18, s43
	s_wait_alu 0xfffe
	s_ashr_i32 s25, s24, 31
	s_wait_alu 0xfffe
	s_mov_b64 s[22:23], s[24:25]
	s_branch .LBB227_29
.LBB227_34:                             ;   in Loop: Header=BB227_30 Depth=4
                                        ; implicit-def: $vgpr0_vgpr1
                                        ; implicit-def: $sgpr24
                                        ; implicit-def: $sgpr22_sgpr23
	s_cbranch_execz .LBB227_29
; %bb.35:                               ;   in Loop: Header=BB227_30 Depth=4
	scratch_load_b128 v[0:3], off, off
	s_mov_b64 s[22:23], s[18:19]
	s_mov_b32 s24, s18
	s_branch .LBB227_29
.LBB227_36:                             ;   in Loop: Header=BB227_4 Depth=1
	s_mov_b32 s16, 0
.LBB227_37:                             ;   in Loop: Header=BB227_4 Depth=1
	s_wait_alu 0xfffe
	s_and_b32 vcc_lo, exec_lo, s16
	s_wait_alu 0xfffe
	s_cbranch_vccz .LBB227_2
; %bb.38:                               ;   in Loop: Header=BB227_4 Depth=1
	v_add_co_u32 v10, vcc_lo, v10, v17
	s_wait_alu 0xfffd
	v_add_co_ci_u32_e64 v11, null, v11, v16, vcc_lo
	s_mov_b32 s18, 0
	s_mov_b32 s22, 0
	s_branch .LBB227_40
.LBB227_39:                             ;   in Loop: Header=BB227_40 Depth=2
	s_cmp_lt_i32 s18, s28
	s_cselect_b32 s16, -1, 0
	s_add_co_i32 s19, s22, 1
	s_cmp_lt_u32 s22, 2
	s_cselect_b32 s22, -1, 0
	s_wait_alu 0xfffe
	s_and_b32 s16, s16, s22
	s_mov_b32 s22, s19
	s_wait_alu 0xfffe
	s_and_not1_b32 vcc_lo, exec_lo, s16
	s_wait_alu 0xfffe
	s_cbranch_vccnz .LBB227_2
.LBB227_40:                             ;   Parent Loop BB227_4 Depth=1
                                        ; =>  This Loop Header: Depth=2
                                        ;       Child Loop BB227_43 Depth 3
                                        ;         Child Loop BB227_44 Depth 4
                                        ;         Child Loop BB227_47 Depth 4
                                        ;           Child Loop BB227_48 Depth 5
                                        ;         Child Loop BB227_52 Depth 4
                                        ;           Child Loop BB227_54 Depth 5
	s_mov_b32 s23, s17
	s_getpc_b64 s[24:25]
	s_wait_alu 0xfffe
	s_sext_i32_i16 s25, s25
	s_add_co_u32 s24, s24, __const._ZL30rocblas_trsm_small_left_deviceILi24ELi24ELb1E19rocblas_complex_numIdES1_PKPKS1_PKPS1_Ev13rocblas_fill_18rocblas_operation_17rocblas_diagonal_iiT3_T4_lilT5_lili.step_sizes@rel32@lo+12
	s_wait_alu 0xfffe
	s_add_co_ci_u32 s25, s25, __const._ZL30rocblas_trsm_small_left_deviceILi24ELi24ELb1E19rocblas_complex_numIdES1_PKPKS1_PKPS1_Ev13rocblas_fill_18rocblas_operation_17rocblas_diagonal_iiT3_T4_lilT5_lili.step_sizes@rel32@hi+24
	s_lshl_b64 s[26:27], s[22:23], 2
	s_wait_alu 0xfffe
	s_add_nc_u64 s[24:25], s[24:25], s[26:27]
	s_load_b32 s24, s[24:25], 0x0
	s_wait_kmcnt 0x0
	s_add_co_i32 s23, s24, -1
	s_wait_alu 0xfffe
	s_add_co_i32 s16, s23, s18
	s_wait_alu 0xfffe
	s_cmp_ge_i32 s16, s28
	s_cbranch_scc1 .LBB227_39
; %bb.41:                               ;   in Loop: Header=BB227_40 Depth=2
	s_ashr_i32 s19, s18, 31
	s_ashr_i32 s25, s24, 31
	s_lshl_b64 s[26:27], s[18:19], 4
	s_max_i32 s38, s24, 1
	s_wait_alu 0xfffe
	v_add_co_u32 v4, vcc_lo, v10, s26
	s_wait_alu 0xfffd
	v_add_co_ci_u32_e64 v5, null, s27, v11, vcc_lo
	s_lshl_b64 s[26:27], s[24:25], 4
	s_lshl_b32 s19, s18, 4
	s_lshl_b32 s25, s24, 4
	s_mul_i32 s39, s18, 0x190
	s_mul_i32 s40, s24, 0x190
	s_branch .LBB227_43
.LBB227_42:                             ;   in Loop: Header=BB227_43 Depth=3
	v_add_co_u32 v4, vcc_lo, v4, s26
	s_add_co_i32 s18, s18, s24
	s_wait_alu 0xfffd
	v_add_co_ci_u32_e64 v5, null, s27, v5, vcc_lo
	s_add_co_i32 s16, s23, s18
	s_add_co_i32 s19, s19, s25
	s_add_co_i32 s39, s39, s40
	s_wait_alu 0xfffe
	s_cmp_ge_i32 s16, s28
	s_cbranch_scc1 .LBB227_39
.LBB227_43:                             ;   Parent Loop BB227_4 Depth=1
                                        ;     Parent Loop BB227_40 Depth=2
                                        ; =>    This Loop Header: Depth=3
                                        ;         Child Loop BB227_44 Depth 4
                                        ;         Child Loop BB227_47 Depth 4
                                        ;           Child Loop BB227_48 Depth 5
                                        ;         Child Loop BB227_52 Depth 4
                                        ;           Child Loop BB227_54 Depth 5
	v_dual_mov_b32 v0, v4 :: v_dual_mov_b32 v1, v5
	s_mov_b32 s16, 8
	s_mov_b32 s41, s38
.LBB227_44:                             ;   Parent Loop BB227_4 Depth=1
                                        ;     Parent Loop BB227_40 Depth=2
                                        ;       Parent Loop BB227_43 Depth=3
                                        ; =>      This Inner Loop Header: Depth=4
	flat_load_b128 v[19:22], v[0:1] offset:-8
	v_add_co_u32 v0, vcc_lo, v0, 16
	s_wait_alu 0xfffd
	v_add_co_ci_u32_e64 v1, null, 0, v1, vcc_lo
	s_add_co_i32 s41, s41, -1
	s_wait_alu 0xfffe
	s_mov_b32 s42, s16
	s_add_co_i32 s16, s16, 16
	s_cmp_eq_u32 s41, 0
	s_wait_loadcnt_dscnt 0x0
	v_mul_f64_e32 v[2:3], s[6:7], v[21:22]
	v_mul_f64_e32 v[23:24], s[4:5], v[21:22]
	s_delay_alu instid0(VALU_DEP_2) | instskip(NEXT) | instid1(VALU_DEP_2)
	v_fma_f64 v[21:22], s[4:5], v[19:20], -v[2:3]
	v_fma_f64 v[23:24], s[6:7], v[19:20], v[23:24]
	scratch_store_b128 off, v[21:24], s42 offset:-8
	s_cbranch_scc0 .LBB227_44
; %bb.45:                               ;   in Loop: Header=BB227_43 Depth=3
	s_cmp_lt_i32 s18, 1
	s_cbranch_scc1 .LBB227_50
; %bb.46:                               ;   in Loop: Header=BB227_43 Depth=3
	s_mov_b32 s16, 0
	s_mov_b32 s41, s19
.LBB227_47:                             ;   Parent Loop BB227_4 Depth=1
                                        ;     Parent Loop BB227_40 Depth=2
                                        ;       Parent Loop BB227_43 Depth=3
                                        ; =>      This Loop Header: Depth=4
                                        ;           Child Loop BB227_48 Depth 5
	s_wait_alu 0xfffe
	s_lshl_b64 s[42:43], s[16:17], 4
	s_mov_b32 s44, s38
	s_wait_alu 0xfffe
	v_add_co_u32 v0, vcc_lo, v6, s42
	s_wait_alu 0xfffd
	v_add_co_ci_u32_e64 v1, null, s43, v7, vcc_lo
	s_mov_b32 s42, s33
	s_mov_b32 s43, s41
	flat_load_b128 v[0:3], v[0:1]
.LBB227_48:                             ;   Parent Loop BB227_4 Depth=1
                                        ;     Parent Loop BB227_40 Depth=2
                                        ;       Parent Loop BB227_43 Depth=3
                                        ;         Parent Loop BB227_47 Depth=4
                                        ; =>        This Inner Loop Header: Depth=5
	scratch_load_b128 v[19:22], off, s42 offset:-8
	s_wait_alu 0xfffe
	v_mov_b32_e32 v23, s43
	s_add_co_i32 s44, s44, -1
	s_add_co_i32 s43, s43, 16
	ds_load_b128 v[23:26], v23
	s_wait_loadcnt_dscnt 0x100
	v_mul_f64_e32 v[27:28], v[2:3], v[25:26]
	v_mul_f64_e32 v[25:26], v[0:1], v[25:26]
	s_delay_alu instid0(VALU_DEP_2) | instskip(NEXT) | instid1(VALU_DEP_2)
	v_fma_f64 v[27:28], v[0:1], v[23:24], -v[27:28]
	v_fma_f64 v[23:24], v[2:3], v[23:24], v[25:26]
	s_wait_loadcnt 0x0
	s_delay_alu instid0(VALU_DEP_2) | instskip(NEXT) | instid1(VALU_DEP_2)
	v_add_f64_e64 v[19:20], v[19:20], -v[27:28]
	v_add_f64_e64 v[21:22], v[21:22], -v[23:24]
	scratch_store_b128 off, v[19:22], s42 offset:-8
	s_add_co_i32 s42, s42, 16
	s_wait_alu 0xfffe
	s_cmp_eq_u32 s44, 0
	s_cbranch_scc0 .LBB227_48
; %bb.49:                               ;   in Loop: Header=BB227_47 Depth=4
	s_add_co_i32 s16, s16, 1
	s_addk_co_i32 s41, 0x180
	s_wait_alu 0xfffe
	s_cmp_eq_u32 s16, s18
	s_cbranch_scc0 .LBB227_47
.LBB227_50:                             ;   in Loop: Header=BB227_43 Depth=3
	s_mov_b32 s16, 0
	s_mov_b32 s41, s39
	s_branch .LBB227_52
.LBB227_51:                             ;   in Loop: Header=BB227_52 Depth=4
	s_add_co_i32 s42, s16, s18
	s_lshl_b32 s44, s16, 4
	s_wait_alu 0xfffe
	s_mul_i32 s43, s42, 0x190
	s_add_co_i32 s16, s16, 1
	s_wait_alu 0xfffe
	v_mov_b32_e32 v19, s43
	s_ashr_i32 s43, s42, 31
	s_add_co_i32 s41, s41, 16
	s_wait_alu 0xfffe
	s_lshl_b64 s[42:43], s[42:43], 4
	s_cmp_eq_u32 s16, s38
	ds_load_b128 v[19:22], v19
	s_wait_loadcnt_dscnt 0x0
	v_mul_f64_e32 v[23:24], v[21:22], v[2:3]
	v_mul_f64_e32 v[2:3], v[19:20], v[2:3]
	s_delay_alu instid0(VALU_DEP_2) | instskip(NEXT) | instid1(VALU_DEP_2)
	v_fma_f64 v[19:20], v[19:20], v[0:1], -v[23:24]
	v_fma_f64 v[21:22], v[21:22], v[0:1], v[2:3]
	s_wait_alu 0xfffe
	v_add_co_u32 v0, vcc_lo, v6, s42
	s_wait_alu 0xfffd
	v_add_co_ci_u32_e64 v1, null, s43, v7, vcc_lo
	scratch_store_b128 off, v[19:22], s44
	flat_store_b128 v[0:1], v[19:22]
	s_cbranch_scc1 .LBB227_42
.LBB227_52:                             ;   Parent Loop BB227_4 Depth=1
                                        ;     Parent Loop BB227_40 Depth=2
                                        ;       Parent Loop BB227_43 Depth=3
                                        ; =>      This Loop Header: Depth=4
                                        ;           Child Loop BB227_54 Depth 5
	s_wait_alu 0xfffe
	s_cmp_lg_u32 s16, 0
	s_cbranch_scc0 .LBB227_56
; %bb.53:                               ;   in Loop: Header=BB227_52 Depth=4
	s_lshl_b32 s42, s16, 4
	s_mov_b32 s43, s33
	scratch_load_b128 v[0:3], off, s42
	s_mov_b32 s44, s41
	s_mov_b32 s45, s16
.LBB227_54:                             ;   Parent Loop BB227_4 Depth=1
                                        ;     Parent Loop BB227_40 Depth=2
                                        ;       Parent Loop BB227_43 Depth=3
                                        ;         Parent Loop BB227_52 Depth=4
                                        ; =>        This Inner Loop Header: Depth=5
	scratch_load_b128 v[19:22], off, s43 offset:-8
	s_wait_alu 0xfffe
	v_mov_b32_e32 v23, s44
	s_add_co_i32 s45, s45, -1
	s_addk_co_i32 s44, 0x180
	s_add_co_i32 s43, s43, 16
	s_wait_alu 0xfffe
	s_cmp_eq_u32 s45, 0
	ds_load_b128 v[23:26], v23
	s_wait_loadcnt_dscnt 0x0
	v_mul_f64_e32 v[27:28], v[25:26], v[21:22]
	v_mul_f64_e32 v[21:22], v[23:24], v[21:22]
	s_delay_alu instid0(VALU_DEP_2) | instskip(NEXT) | instid1(VALU_DEP_2)
	v_fma_f64 v[23:24], v[23:24], v[19:20], -v[27:28]
	v_fma_f64 v[19:20], v[25:26], v[19:20], v[21:22]
	s_delay_alu instid0(VALU_DEP_2) | instskip(NEXT) | instid1(VALU_DEP_2)
	v_add_f64_e64 v[0:1], v[0:1], -v[23:24]
	v_add_f64_e64 v[2:3], v[2:3], -v[19:20]
	scratch_store_b128 off, v[0:3], s42
	s_cbranch_scc0 .LBB227_54
; %bb.55:                               ;   in Loop: Header=BB227_52 Depth=4
	s_branch .LBB227_51
.LBB227_56:                             ;   in Loop: Header=BB227_52 Depth=4
                                        ; implicit-def: $vgpr0_vgpr1
	s_cbranch_execz .LBB227_51
; %bb.57:                               ;   in Loop: Header=BB227_52 Depth=4
	scratch_load_b128 v[0:3], off, off
	s_branch .LBB227_51
.LBB227_58:
	s_or_b32 exec_lo, exec_lo, s35
	s_and_saveexec_b32 s0, s36
	s_wait_alu 0xfffe
	s_xor_b32 s0, exec_lo, s0
.LBB227_59:
	s_endpgm
	.section	.rodata,"a",@progbits
	.p2align	6, 0x0
	.amdhsa_kernel _ZL30rocblas_trsm_small_left_deviceILi24ELi24ELb1E19rocblas_complex_numIdES1_PKPKS1_PKPS1_Ev13rocblas_fill_18rocblas_operation_17rocblas_diagonal_iiT3_T4_lilT5_lili
		.amdhsa_group_segment_fixed_size 9216
		.amdhsa_private_segment_fixed_size 400
		.amdhsa_kernarg_size 368
		.amdhsa_user_sgpr_count 2
		.amdhsa_user_sgpr_dispatch_ptr 0
		.amdhsa_user_sgpr_queue_ptr 0
		.amdhsa_user_sgpr_kernarg_segment_ptr 1
		.amdhsa_user_sgpr_dispatch_id 0
		.amdhsa_user_sgpr_private_segment_size 0
		.amdhsa_wavefront_size32 1
		.amdhsa_uses_dynamic_stack 0
		.amdhsa_enable_private_segment 1
		.amdhsa_system_sgpr_workgroup_id_x 1
		.amdhsa_system_sgpr_workgroup_id_y 0
		.amdhsa_system_sgpr_workgroup_id_z 1
		.amdhsa_system_sgpr_workgroup_info 0
		.amdhsa_system_vgpr_workitem_id 0
		.amdhsa_next_free_vgpr 241
		.amdhsa_next_free_sgpr 46
		.amdhsa_reserve_vcc 1
		.amdhsa_float_round_mode_32 0
		.amdhsa_float_round_mode_16_64 0
		.amdhsa_float_denorm_mode_32 3
		.amdhsa_float_denorm_mode_16_64 3
		.amdhsa_fp16_overflow 0
		.amdhsa_workgroup_processor_mode 1
		.amdhsa_memory_ordered 1
		.amdhsa_forward_progress 1
		.amdhsa_inst_pref_size 25
		.amdhsa_round_robin_scheduling 0
		.amdhsa_exception_fp_ieee_invalid_op 0
		.amdhsa_exception_fp_denorm_src 0
		.amdhsa_exception_fp_ieee_div_zero 0
		.amdhsa_exception_fp_ieee_overflow 0
		.amdhsa_exception_fp_ieee_underflow 0
		.amdhsa_exception_fp_ieee_inexact 0
		.amdhsa_exception_int_div_zero 0
	.end_amdhsa_kernel
	.section	.text._ZL30rocblas_trsm_small_left_deviceILi24ELi24ELb1E19rocblas_complex_numIdES1_PKPKS1_PKPS1_Ev13rocblas_fill_18rocblas_operation_17rocblas_diagonal_iiT3_T4_lilT5_lili,"axG",@progbits,_ZL30rocblas_trsm_small_left_deviceILi24ELi24ELb1E19rocblas_complex_numIdES1_PKPKS1_PKPS1_Ev13rocblas_fill_18rocblas_operation_17rocblas_diagonal_iiT3_T4_lilT5_lili,comdat
.Lfunc_end227:
	.size	_ZL30rocblas_trsm_small_left_deviceILi24ELi24ELb1E19rocblas_complex_numIdES1_PKPKS1_PKPS1_Ev13rocblas_fill_18rocblas_operation_17rocblas_diagonal_iiT3_T4_lilT5_lili, .Lfunc_end227-_ZL30rocblas_trsm_small_left_deviceILi24ELi24ELb1E19rocblas_complex_numIdES1_PKPKS1_PKPS1_Ev13rocblas_fill_18rocblas_operation_17rocblas_diagonal_iiT3_T4_lilT5_lili
                                        ; -- End function
	.set _ZL30rocblas_trsm_small_left_deviceILi24ELi24ELb1E19rocblas_complex_numIdES1_PKPKS1_PKPS1_Ev13rocblas_fill_18rocblas_operation_17rocblas_diagonal_iiT3_T4_lilT5_lili.num_vgpr, 29
	.set _ZL30rocblas_trsm_small_left_deviceILi24ELi24ELb1E19rocblas_complex_numIdES1_PKPKS1_PKPS1_Ev13rocblas_fill_18rocblas_operation_17rocblas_diagonal_iiT3_T4_lilT5_lili.num_agpr, 0
	.set _ZL30rocblas_trsm_small_left_deviceILi24ELi24ELb1E19rocblas_complex_numIdES1_PKPKS1_PKPS1_Ev13rocblas_fill_18rocblas_operation_17rocblas_diagonal_iiT3_T4_lilT5_lili.numbered_sgpr, 46
	.set _ZL30rocblas_trsm_small_left_deviceILi24ELi24ELb1E19rocblas_complex_numIdES1_PKPKS1_PKPS1_Ev13rocblas_fill_18rocblas_operation_17rocblas_diagonal_iiT3_T4_lilT5_lili.num_named_barrier, 0
	.set _ZL30rocblas_trsm_small_left_deviceILi24ELi24ELb1E19rocblas_complex_numIdES1_PKPKS1_PKPS1_Ev13rocblas_fill_18rocblas_operation_17rocblas_diagonal_iiT3_T4_lilT5_lili.private_seg_size, 400
	.set _ZL30rocblas_trsm_small_left_deviceILi24ELi24ELb1E19rocblas_complex_numIdES1_PKPKS1_PKPS1_Ev13rocblas_fill_18rocblas_operation_17rocblas_diagonal_iiT3_T4_lilT5_lili.uses_vcc, 1
	.set _ZL30rocblas_trsm_small_left_deviceILi24ELi24ELb1E19rocblas_complex_numIdES1_PKPKS1_PKPS1_Ev13rocblas_fill_18rocblas_operation_17rocblas_diagonal_iiT3_T4_lilT5_lili.uses_flat_scratch, 0
	.set _ZL30rocblas_trsm_small_left_deviceILi24ELi24ELb1E19rocblas_complex_numIdES1_PKPKS1_PKPS1_Ev13rocblas_fill_18rocblas_operation_17rocblas_diagonal_iiT3_T4_lilT5_lili.has_dyn_sized_stack, 0
	.set _ZL30rocblas_trsm_small_left_deviceILi24ELi24ELb1E19rocblas_complex_numIdES1_PKPKS1_PKPS1_Ev13rocblas_fill_18rocblas_operation_17rocblas_diagonal_iiT3_T4_lilT5_lili.has_recursion, 0
	.set _ZL30rocblas_trsm_small_left_deviceILi24ELi24ELb1E19rocblas_complex_numIdES1_PKPKS1_PKPS1_Ev13rocblas_fill_18rocblas_operation_17rocblas_diagonal_iiT3_T4_lilT5_lili.has_indirect_call, 0
	.section	.AMDGPU.csdata,"",@progbits
; Kernel info:
; codeLenInByte = 3144
; TotalNumSgprs: 48
; NumVgprs: 29
; ScratchSize: 400
; MemoryBound: 0
; FloatMode: 240
; IeeeMode: 1
; LDSByteSize: 9216 bytes/workgroup (compile time only)
; SGPRBlocks: 0
; VGPRBlocks: 30
; NumSGPRsForWavesPerEU: 48
; NumVGPRsForWavesPerEU: 241
; Occupancy: 4
; WaveLimiterHint : 1
; COMPUTE_PGM_RSRC2:SCRATCH_EN: 1
; COMPUTE_PGM_RSRC2:USER_SGPR: 2
; COMPUTE_PGM_RSRC2:TRAP_HANDLER: 0
; COMPUTE_PGM_RSRC2:TGID_X_EN: 1
; COMPUTE_PGM_RSRC2:TGID_Y_EN: 0
; COMPUTE_PGM_RSRC2:TGID_Z_EN: 1
; COMPUTE_PGM_RSRC2:TIDIG_COMP_CNT: 0
	.section	.text._ZL31rocblas_trsm_small_right_deviceI19rocblas_complex_numIdES1_PKPKS1_PKPS1_Li24EEv13rocblas_fill_18rocblas_operation_17rocblas_diagonal_iiT0_T1_lilT2_lili,"axG",@progbits,_ZL31rocblas_trsm_small_right_deviceI19rocblas_complex_numIdES1_PKPKS1_PKPS1_Li24EEv13rocblas_fill_18rocblas_operation_17rocblas_diagonal_iiT0_T1_lilT2_lili,comdat
	.globl	_ZL31rocblas_trsm_small_right_deviceI19rocblas_complex_numIdES1_PKPKS1_PKPS1_Li24EEv13rocblas_fill_18rocblas_operation_17rocblas_diagonal_iiT0_T1_lilT2_lili ; -- Begin function _ZL31rocblas_trsm_small_right_deviceI19rocblas_complex_numIdES1_PKPKS1_PKPS1_Li24EEv13rocblas_fill_18rocblas_operation_17rocblas_diagonal_iiT0_T1_lilT2_lili
	.p2align	8
	.type	_ZL31rocblas_trsm_small_right_deviceI19rocblas_complex_numIdES1_PKPKS1_PKPS1_Li24EEv13rocblas_fill_18rocblas_operation_17rocblas_diagonal_iiT0_T1_lilT2_lili,@function
_ZL31rocblas_trsm_small_right_deviceI19rocblas_complex_numIdES1_PKPKS1_PKPS1_Li24EEv13rocblas_fill_18rocblas_operation_17rocblas_diagonal_iiT0_T1_lilT2_lili: ; @_ZL31rocblas_trsm_small_right_deviceI19rocblas_complex_numIdES1_PKPKS1_PKPS1_Li24EEv13rocblas_fill_18rocblas_operation_17rocblas_diagonal_iiT0_T1_lilT2_lili
; %bb.0:
	s_load_b32 s24, s[0:1], 0x68
	s_lshr_b32 s2, ttmp7, 16
	s_wait_kmcnt 0x0
	s_cmp_ge_u32 s2, s24
	s_cbranch_scc1 .LBB228_146
; %bb.1:
	s_clause 0x6
	s_load_b32 s20, s[0:1], 0x38
	s_load_b32 s34, s[0:1], 0x58
	s_load_b128 s[16:19], s[0:1], 0x0
	s_load_b32 s25, s[0:1], 0x10
	s_load_b32 s3, s[0:1], 0x70
	s_load_b128 s[12:15], s[0:1], 0x48
	s_load_b256 s[4:11], s[0:1], 0x18
	s_mul_i32 s1, ttmp9, 0xffffffe8
	v_dual_mov_b32 v1, 0 :: v_dual_lshlrev_b32 v32, 4, v0
	s_mov_b32 s22, ttmp9
	v_mul_u32_u24_e32 v2, 0x180, v0
	s_delay_alu instid0(VALU_DEP_2) | instskip(NEXT) | instid1(VALU_DEP_2)
	v_or_b32_e32 v27, 0x2400, v32
	v_dual_mov_b32 v2, 0x3ff00000 :: v_dual_add_nc_u32 v39, v32, v2
	s_wait_kmcnt 0x0
	s_ashr_i32 s21, s20, 31
	s_ashr_i32 s35, s34, 31
	s_cmp_lg_u32 s16, 0x7a
	s_cselect_b32 s29, -1, 0
	s_cmp_eq_u32 s17, 0x71
	s_cselect_b32 s0, -1, 0
	s_min_i32 s26, s25, 24
	s_add_co_i32 s3, s3, -1
	s_add_co_i32 s1, s19, s1
	s_add_co_i32 s27, s26, -1
	s_cmp_ge_u32 ttmp9, s3
	s_mul_i32 s33, s26, 0x180
	s_cselect_b32 s19, s1, 24
	s_ashr_i32 s23, ttmp9, 31
	s_cmp_eq_u32 s18, 0x84
	v_cmp_gt_i32_e32 vcc_lo, s19, v0
	s_cselect_b32 s28, -1, 0
	s_cmp_gt_i32 s25, 0
	v_cmp_gt_i32_e64 s1, s26, v0
	s_cselect_b32 s18, -1, 0
	s_cmp_lg_u32 s17, 0x6f
	v_add3_u32 v38, s33, v32, 0x2280
	s_cselect_b32 s17, -1, 0
	s_cmp_lg_u32 s16, 0x79
	v_lshlrev_b32_e32 v0, 4, v0
	s_cselect_b32 s16, -1, 0
	s_or_b32 s29, s29, s17
	s_or_b32 s30, s16, s17
	s_cmp_gt_i32 s25, 3
	v_cndmask_b32_e64 v33, 0, 1, s16
	s_mul_u64 s[16:17], s[22:23], 0x180
	s_cselect_b32 s22, -1, 0
	s_wait_alu 0xfffe
	s_and_b32 s23, vcc_lo, s18
	s_lshl_b64 s[18:19], s[10:11], 4
	s_lshl_b64 s[10:11], s[14:15], 4
	s_wait_alu 0xfffe
	v_add_co_u32 v3, s14, s18, v32
	s_delay_alu instid0(VALU_DEP_1)
	v_add_co_ci_u32_e64 v34, null, s19, 0, s14
	s_add_nc_u64 s[18:19], s[16:17], s[10:11]
	v_or_b32_e32 v35, 8, v3
	s_wait_alu 0xfffe
	v_add_co_u32 v4, s18, s18, v32
	s_wait_alu 0xf1ff
	v_add_co_ci_u32_e64 v36, null, s19, 0, s18
	s_lshl_b64 s[18:19], s[34:35], 4
	v_or_b32_e32 v37, 8, v4
	s_mul_i32 s34, s26, 0x190
	s_lshl_b32 s35, s26, 4
	s_mov_b32 s3, 0
	s_lshl_b64 s[14:15], s[20:21], 4
	s_add_co_i32 s31, s34, 0xfffffe40
	s_addk_co_i32 s33, 0xfe80
	s_addk_co_i32 s34, 0xf9f0
	s_add_co_i32 s35, s35, -16
	s_branch .LBB228_3
.LBB228_2:                              ;   in Loop: Header=BB228_3 Depth=1
	s_wait_alu 0xfffe
	s_or_b32 exec_lo, exec_lo, s20
	s_add_co_i32 s2, s2, 0x10000
	s_delay_alu instid0(SALU_CYCLE_1)
	s_cmp_lt_u32 s2, s24
	s_cbranch_scc0 .LBB228_146
.LBB228_3:                              ; =>This Loop Header: Depth=1
                                        ;     Child Loop BB228_5 Depth 2
                                        ;     Child Loop BB228_10 Depth 2
	;; [unrolled: 1-line block ×3, first 2 shown]
                                        ;       Child Loop BB228_17 Depth 3
                                        ;     Child Loop BB228_39 Depth 2
                                        ;       Child Loop BB228_40 Depth 3
                                        ;     Child Loop BB228_48 Depth 2
	;; [unrolled: 2-line block ×8, first 2 shown]
	s_lshl_b64 s[20:21], s[2:3], 3
	s_wait_alu 0xfffe
	s_add_nc_u64 s[36:37], s[12:13], s[20:21]
	global_load_b64 v[28:29], v1, s[36:37]
	s_and_saveexec_b32 s36, s1
	s_cbranch_execz .LBB228_8
; %bb.4:                                ;   in Loop: Header=BB228_3 Depth=1
	s_add_nc_u64 s[20:21], s[8:9], s[20:21]
	v_mov_b32_e32 v5, v32
	global_load_b64 v[3:4], v1, s[20:21]
	s_mov_b32 s20, s26
	s_wait_loadcnt 0x0
	v_add_co_u32 v3, vcc_lo, v3, v35
	s_wait_alu 0xfffd
	v_add_co_ci_u32_e64 v4, null, v4, v34, vcc_lo
.LBB228_5:                              ;   Parent Loop BB228_3 Depth=1
                                        ; =>  This Inner Loop Header: Depth=2
	flat_load_b128 v[6:9], v[3:4] offset:-8
	s_wait_alu 0xfffe
	v_add_co_u32 v3, vcc_lo, v3, s14
	s_wait_alu 0xfffd
	v_add_co_ci_u32_e64 v4, null, s15, v4, vcc_lo
	s_add_co_i32 s20, s20, -1
	s_wait_alu 0xfffe
	s_cmp_eq_u32 s20, 0
	s_wait_loadcnt_dscnt 0x0
	v_xor_b32_e32 v10, 0x80000000, v9
	s_delay_alu instid0(VALU_DEP_1)
	v_cndmask_b32_e64 v9, v9, v10, s0
	ds_store_b128 v5, v[6:9]
	v_add_nc_u32_e32 v5, 0x180, v5
	s_cbranch_scc0 .LBB228_5
; %bb.6:                                ;   in Loop: Header=BB228_3 Depth=1
	s_and_b32 vcc_lo, exec_lo, s28
	s_wait_alu 0xfffe
	s_cbranch_vccz .LBB228_8
; %bb.7:                                ;   in Loop: Header=BB228_3 Depth=1
	v_dual_mov_b32 v3, v1 :: v_dual_mov_b32 v4, v1
	ds_store_b128 v39, v[1:4]
.LBB228_8:                              ;   in Loop: Header=BB228_3 Depth=1
	s_wait_alu 0xfffe
	s_or_b32 exec_lo, exec_lo, s36
	s_and_saveexec_b32 s20, s23
	s_cbranch_execz .LBB228_11
; %bb.9:                                ;   in Loop: Header=BB228_3 Depth=1
	s_wait_loadcnt 0x0
	v_add_co_u32 v3, vcc_lo, v28, v37
	s_wait_alu 0xfffd
	v_add_co_ci_u32_e64 v4, null, v29, v36, vcc_lo
	v_mov_b32_e32 v5, v27
	s_mov_b32 s21, s25
.LBB228_10:                             ;   Parent Loop BB228_3 Depth=1
                                        ; =>  This Inner Loop Header: Depth=2
	flat_load_b128 v[6:9], v[3:4] offset:-8
	s_wait_alu 0xfffe
	v_add_co_u32 v3, vcc_lo, v3, s18
	s_wait_alu 0xfffd
	v_add_co_ci_u32_e64 v4, null, s19, v4, vcc_lo
	s_add_co_i32 s21, s21, -1
	s_wait_alu 0xfffe
	s_cmp_lg_u32 s21, 0
	s_wait_loadcnt_dscnt 0x0
	v_mul_f64_e32 v[10:11], s[6:7], v[8:9]
	v_mul_f64_e32 v[12:13], s[4:5], v[8:9]
	s_delay_alu instid0(VALU_DEP_2) | instskip(NEXT) | instid1(VALU_DEP_2)
	v_fma_f64 v[8:9], s[4:5], v[6:7], -v[10:11]
	v_fma_f64 v[10:11], s[6:7], v[6:7], v[12:13]
	ds_store_b128 v5, v[8:11]
	v_add_nc_u32_e32 v5, 0x180, v5
	s_cbranch_scc1 .LBB228_10
.LBB228_11:                             ;   in Loop: Header=BB228_3 Depth=1
	s_wait_alu 0xfffe
	s_or_b32 exec_lo, exec_lo, s20
	s_delay_alu instid0(SALU_CYCLE_1)
	s_and_b32 vcc_lo, exec_lo, s30
	s_mov_b32 s20, -1
	; wave barrier
	s_wait_loadcnt_dscnt 0x0
	global_inv scope:SCOPE_SE
	s_wait_alu 0xfffe
	s_cbranch_vccz .LBB228_111
; %bb.12:                               ;   in Loop: Header=BB228_3 Depth=1
	s_and_b32 vcc_lo, exec_lo, s29
	s_wait_alu 0xfffe
	s_cbranch_vccz .LBB228_79
; %bb.13:                               ;   in Loop: Header=BB228_3 Depth=1
	v_cmp_ne_u32_e32 vcc_lo, 1, v33
	s_cbranch_vccnz .LBB228_46
; %bb.14:                               ;   in Loop: Header=BB228_3 Depth=1
	s_and_not1_b32 vcc_lo, exec_lo, s22
	s_mov_b32 s36, 0
	s_wait_alu 0xfffe
	s_cbranch_vccnz .LBB228_36
; %bb.15:                               ;   in Loop: Header=BB228_3 Depth=1
	s_mov_b32 s20, 0
	s_mov_b32 s21, 0
.LBB228_16:                             ;   Parent Loop BB228_3 Depth=1
                                        ; =>  This Loop Header: Depth=2
                                        ;       Child Loop BB228_17 Depth 3
	s_wait_alu 0xfffe
	v_mad_co_u64_u32 v[30:31], null, 0x180, s21, v[27:28]
	s_or_b32 s36, s21, 3
	v_mov_b32_e32 v11, v27
	s_wait_alu 0xfffe
	s_mulk_i32 s36, 0x180
	s_cmp_eq_u32 s21, 0
	s_wait_alu 0xfffe
	v_add_nc_u32_e32 v31, s36, v27
	s_mov_b32 s36, s20
	ds_load_b128 v[19:22], v30
	ds_load_b128 v[15:18], v30 offset:384
	ds_load_b128 v[7:10], v30 offset:768
	ds_load_b128 v[3:6], v31
	s_mov_b32 s37, s21
	s_cbranch_scc1 .LBB228_18
.LBB228_17:                             ;   Parent Loop BB228_3 Depth=1
                                        ;     Parent Loop BB228_16 Depth=2
                                        ; =>    This Inner Loop Header: Depth=3
	s_wait_alu 0xfffe
	v_mov_b32_e32 v12, s36
	s_add_co_i32 s37, s37, -1
	s_addk_co_i32 s36, 0x180
	s_wait_alu 0xfffe
	s_cmp_eq_u32 s37, 0
	ds_load_b128 v[23:26], v11
	ds_load_b128 v[40:43], v12
	ds_load_b128 v[44:47], v12 offset:16
	ds_load_b128 v[48:51], v12 offset:32
	;; [unrolled: 1-line block ×3, first 2 shown]
	v_add_nc_u32_e32 v11, 0x180, v11
	s_wait_dscnt 0x3
	v_mul_f64_e32 v[12:13], v[25:26], v[42:43]
	v_mul_f64_e32 v[42:43], v[23:24], v[42:43]
	s_wait_dscnt 0x2
	v_mul_f64_e32 v[56:57], v[25:26], v[46:47]
	v_mul_f64_e32 v[46:47], v[23:24], v[46:47]
	;; [unrolled: 3-line block ×4, first 2 shown]
	v_fma_f64 v[12:13], v[23:24], v[40:41], -v[12:13]
	v_fma_f64 v[40:41], v[25:26], v[40:41], v[42:43]
	v_fma_f64 v[42:43], v[23:24], v[44:45], -v[56:57]
	v_fma_f64 v[44:45], v[25:26], v[44:45], v[46:47]
	;; [unrolled: 2-line block ×4, first 2 shown]
	v_add_f64_e64 v[19:20], v[19:20], -v[12:13]
	v_add_f64_e64 v[21:22], v[21:22], -v[40:41]
	;; [unrolled: 1-line block ×8, first 2 shown]
	s_cbranch_scc0 .LBB228_17
.LBB228_18:                             ;   in Loop: Header=BB228_16 Depth=2
	s_lshl_b32 s36, s21, 4
	s_mul_i32 s37, s21, 0x180
	s_wait_alu 0xfffe
	s_add_co_i32 s37, s36, s37
	s_wait_alu 0xfffe
	v_mov_b32_e32 v11, s37
	ds_load_b128 v[23:26], v11
                                        ; implicit-def: $vgpr13_vgpr14
	s_wait_dscnt 0x0
	v_cmp_ngt_f64_e64 s38, |v[23:24]|, |v[25:26]|
	s_and_b32 vcc_lo, exec_lo, s38
	s_mov_b32 s38, -1
	s_wait_alu 0xfffe
	s_cbranch_vccz .LBB228_20
; %bb.19:                               ;   in Loop: Header=BB228_16 Depth=2
	v_div_scale_f64 v[11:12], null, v[25:26], v[25:26], v[23:24]
	v_div_scale_f64 v[42:43], vcc_lo, v[23:24], v[25:26], v[23:24]
	s_mov_b32 s38, 0
	v_rcp_f64_e32 v[13:14], v[11:12]
	s_delay_alu instid0(TRANS32_DEP_1) | instskip(NEXT) | instid1(VALU_DEP_1)
	v_fma_f64 v[40:41], -v[11:12], v[13:14], 1.0
	v_fma_f64 v[13:14], v[13:14], v[40:41], v[13:14]
	s_delay_alu instid0(VALU_DEP_1) | instskip(NEXT) | instid1(VALU_DEP_1)
	v_fma_f64 v[40:41], -v[11:12], v[13:14], 1.0
	v_fma_f64 v[13:14], v[13:14], v[40:41], v[13:14]
	s_delay_alu instid0(VALU_DEP_1) | instskip(NEXT) | instid1(VALU_DEP_1)
	v_mul_f64_e32 v[40:41], v[42:43], v[13:14]
	v_fma_f64 v[11:12], -v[11:12], v[40:41], v[42:43]
	s_wait_alu 0xfffd
	s_delay_alu instid0(VALU_DEP_1) | instskip(NEXT) | instid1(VALU_DEP_1)
	v_div_fmas_f64 v[11:12], v[11:12], v[13:14], v[40:41]
	v_div_fixup_f64 v[11:12], v[11:12], v[25:26], v[23:24]
	s_delay_alu instid0(VALU_DEP_1) | instskip(NEXT) | instid1(VALU_DEP_1)
	v_fma_f64 v[13:14], v[23:24], v[11:12], v[25:26]
	v_div_scale_f64 v[40:41], null, v[13:14], v[13:14], 1.0
	v_div_scale_f64 v[46:47], vcc_lo, 1.0, v[13:14], 1.0
	s_delay_alu instid0(VALU_DEP_2) | instskip(NEXT) | instid1(TRANS32_DEP_1)
	v_rcp_f64_e32 v[42:43], v[40:41]
	v_fma_f64 v[44:45], -v[40:41], v[42:43], 1.0
	s_delay_alu instid0(VALU_DEP_1) | instskip(NEXT) | instid1(VALU_DEP_1)
	v_fma_f64 v[42:43], v[42:43], v[44:45], v[42:43]
	v_fma_f64 v[44:45], -v[40:41], v[42:43], 1.0
	s_delay_alu instid0(VALU_DEP_1) | instskip(NEXT) | instid1(VALU_DEP_1)
	v_fma_f64 v[42:43], v[42:43], v[44:45], v[42:43]
	v_mul_f64_e32 v[44:45], v[46:47], v[42:43]
	s_delay_alu instid0(VALU_DEP_1) | instskip(SKIP_1) | instid1(VALU_DEP_1)
	v_fma_f64 v[40:41], -v[40:41], v[44:45], v[46:47]
	s_wait_alu 0xfffd
	v_div_fmas_f64 v[40:41], v[40:41], v[42:43], v[44:45]
	v_fma_f64 v[42:43], v[19:20], v[11:12], v[21:22]
	s_delay_alu instid0(VALU_DEP_2) | instskip(SKIP_1) | instid1(VALU_DEP_2)
	v_div_fixup_f64 v[13:14], v[40:41], v[13:14], 1.0
	v_fma_f64 v[40:41], v[21:22], v[11:12], -v[19:20]
	v_mul_f64_e32 v[11:12], v[42:43], v[13:14]
	s_delay_alu instid0(VALU_DEP_2)
	v_mul_f64_e32 v[13:14], v[40:41], v[13:14]
.LBB228_20:                             ;   in Loop: Header=BB228_16 Depth=2
	s_wait_alu 0xfffe
	s_and_not1_b32 vcc_lo, exec_lo, s38
	s_wait_alu 0xfffe
	s_cbranch_vccnz .LBB228_22
; %bb.21:                               ;   in Loop: Header=BB228_16 Depth=2
	v_div_scale_f64 v[11:12], null, v[23:24], v[23:24], v[25:26]
	v_div_scale_f64 v[42:43], vcc_lo, v[25:26], v[23:24], v[25:26]
	s_delay_alu instid0(VALU_DEP_2) | instskip(NEXT) | instid1(TRANS32_DEP_1)
	v_rcp_f64_e32 v[13:14], v[11:12]
	v_fma_f64 v[40:41], -v[11:12], v[13:14], 1.0
	s_delay_alu instid0(VALU_DEP_1) | instskip(NEXT) | instid1(VALU_DEP_1)
	v_fma_f64 v[13:14], v[13:14], v[40:41], v[13:14]
	v_fma_f64 v[40:41], -v[11:12], v[13:14], 1.0
	s_delay_alu instid0(VALU_DEP_1) | instskip(NEXT) | instid1(VALU_DEP_1)
	v_fma_f64 v[13:14], v[13:14], v[40:41], v[13:14]
	v_mul_f64_e32 v[40:41], v[42:43], v[13:14]
	s_delay_alu instid0(VALU_DEP_1) | instskip(SKIP_1) | instid1(VALU_DEP_1)
	v_fma_f64 v[11:12], -v[11:12], v[40:41], v[42:43]
	s_wait_alu 0xfffd
	v_div_fmas_f64 v[11:12], v[11:12], v[13:14], v[40:41]
	s_delay_alu instid0(VALU_DEP_1) | instskip(NEXT) | instid1(VALU_DEP_1)
	v_div_fixup_f64 v[11:12], v[11:12], v[23:24], v[25:26]
	v_fma_f64 v[13:14], v[25:26], v[11:12], v[23:24]
	s_delay_alu instid0(VALU_DEP_1) | instskip(SKIP_1) | instid1(VALU_DEP_2)
	v_div_scale_f64 v[23:24], null, v[13:14], v[13:14], 1.0
	v_div_scale_f64 v[42:43], vcc_lo, 1.0, v[13:14], 1.0
	v_rcp_f64_e32 v[25:26], v[23:24]
	s_delay_alu instid0(TRANS32_DEP_1) | instskip(NEXT) | instid1(VALU_DEP_1)
	v_fma_f64 v[40:41], -v[23:24], v[25:26], 1.0
	v_fma_f64 v[25:26], v[25:26], v[40:41], v[25:26]
	s_delay_alu instid0(VALU_DEP_1) | instskip(NEXT) | instid1(VALU_DEP_1)
	v_fma_f64 v[40:41], -v[23:24], v[25:26], 1.0
	v_fma_f64 v[25:26], v[25:26], v[40:41], v[25:26]
	s_delay_alu instid0(VALU_DEP_1) | instskip(NEXT) | instid1(VALU_DEP_1)
	v_mul_f64_e32 v[40:41], v[42:43], v[25:26]
	v_fma_f64 v[23:24], -v[23:24], v[40:41], v[42:43]
	s_wait_alu 0xfffd
	s_delay_alu instid0(VALU_DEP_1) | instskip(SKIP_2) | instid1(VALU_DEP_3)
	v_div_fmas_f64 v[23:24], v[23:24], v[25:26], v[40:41]
	v_fma_f64 v[25:26], v[21:22], v[11:12], v[19:20]
	v_fma_f64 v[19:20], -v[19:20], v[11:12], v[21:22]
	v_div_fixup_f64 v[13:14], v[23:24], v[13:14], 1.0
	s_delay_alu instid0(VALU_DEP_1) | instskip(NEXT) | instid1(VALU_DEP_3)
	v_mul_f64_e32 v[11:12], v[25:26], v[13:14]
	v_mul_f64_e32 v[13:14], v[19:20], v[13:14]
.LBB228_22:                             ;   in Loop: Header=BB228_16 Depth=2
	v_mov_b32_e32 v19, s37
	ds_load_b128 v[23:26], v19 offset:16
	ds_load_b128 v[19:22], v19 offset:400
	ds_store_b128 v30, v[11:14]
	s_wait_dscnt 0x2
	v_mul_f64_e32 v[40:41], v[13:14], v[25:26]
	v_mul_f64_e32 v[25:26], v[11:12], v[25:26]
	s_wait_dscnt 0x1
	v_cmp_ngt_f64_e64 s38, |v[19:20]|, |v[21:22]|
	s_delay_alu instid0(VALU_DEP_3) | instskip(NEXT) | instid1(VALU_DEP_3)
	v_fma_f64 v[40:41], v[11:12], v[23:24], -v[40:41]
	v_fma_f64 v[25:26], v[13:14], v[23:24], v[25:26]
	s_and_b32 vcc_lo, exec_lo, s38
	s_mov_b32 s38, -1
	s_delay_alu instid0(VALU_DEP_2) | instskip(NEXT) | instid1(VALU_DEP_2)
	v_add_f64_e64 v[23:24], v[15:16], -v[40:41]
	v_add_f64_e64 v[25:26], v[17:18], -v[25:26]
                                        ; implicit-def: $vgpr17_vgpr18
	s_wait_alu 0xfffe
	s_cbranch_vccz .LBB228_24
; %bb.23:                               ;   in Loop: Header=BB228_16 Depth=2
	v_div_scale_f64 v[15:16], null, v[21:22], v[21:22], v[19:20]
	v_div_scale_f64 v[42:43], vcc_lo, v[19:20], v[21:22], v[19:20]
	s_mov_b32 s38, 0
	v_rcp_f64_e32 v[17:18], v[15:16]
	s_delay_alu instid0(TRANS32_DEP_1) | instskip(NEXT) | instid1(VALU_DEP_1)
	v_fma_f64 v[40:41], -v[15:16], v[17:18], 1.0
	v_fma_f64 v[17:18], v[17:18], v[40:41], v[17:18]
	s_delay_alu instid0(VALU_DEP_1) | instskip(NEXT) | instid1(VALU_DEP_1)
	v_fma_f64 v[40:41], -v[15:16], v[17:18], 1.0
	v_fma_f64 v[17:18], v[17:18], v[40:41], v[17:18]
	s_delay_alu instid0(VALU_DEP_1) | instskip(NEXT) | instid1(VALU_DEP_1)
	v_mul_f64_e32 v[40:41], v[42:43], v[17:18]
	v_fma_f64 v[15:16], -v[15:16], v[40:41], v[42:43]
	s_wait_alu 0xfffd
	s_delay_alu instid0(VALU_DEP_1) | instskip(NEXT) | instid1(VALU_DEP_1)
	v_div_fmas_f64 v[15:16], v[15:16], v[17:18], v[40:41]
	v_div_fixup_f64 v[15:16], v[15:16], v[21:22], v[19:20]
	s_delay_alu instid0(VALU_DEP_1) | instskip(NEXT) | instid1(VALU_DEP_1)
	v_fma_f64 v[17:18], v[19:20], v[15:16], v[21:22]
	v_div_scale_f64 v[40:41], null, v[17:18], v[17:18], 1.0
	v_div_scale_f64 v[46:47], vcc_lo, 1.0, v[17:18], 1.0
	s_delay_alu instid0(VALU_DEP_2) | instskip(NEXT) | instid1(TRANS32_DEP_1)
	v_rcp_f64_e32 v[42:43], v[40:41]
	v_fma_f64 v[44:45], -v[40:41], v[42:43], 1.0
	s_delay_alu instid0(VALU_DEP_1) | instskip(NEXT) | instid1(VALU_DEP_1)
	v_fma_f64 v[42:43], v[42:43], v[44:45], v[42:43]
	v_fma_f64 v[44:45], -v[40:41], v[42:43], 1.0
	s_delay_alu instid0(VALU_DEP_1) | instskip(NEXT) | instid1(VALU_DEP_1)
	v_fma_f64 v[42:43], v[42:43], v[44:45], v[42:43]
	v_mul_f64_e32 v[44:45], v[46:47], v[42:43]
	s_delay_alu instid0(VALU_DEP_1) | instskip(SKIP_1) | instid1(VALU_DEP_1)
	v_fma_f64 v[40:41], -v[40:41], v[44:45], v[46:47]
	s_wait_alu 0xfffd
	v_div_fmas_f64 v[40:41], v[40:41], v[42:43], v[44:45]
	v_fma_f64 v[42:43], v[15:16], v[23:24], v[25:26]
	s_delay_alu instid0(VALU_DEP_2) | instskip(SKIP_1) | instid1(VALU_DEP_2)
	v_div_fixup_f64 v[17:18], v[40:41], v[17:18], 1.0
	v_fma_f64 v[40:41], v[15:16], v[25:26], -v[23:24]
	v_mul_f64_e32 v[15:16], v[42:43], v[17:18]
	s_delay_alu instid0(VALU_DEP_2)
	v_mul_f64_e32 v[17:18], v[40:41], v[17:18]
.LBB228_24:                             ;   in Loop: Header=BB228_16 Depth=2
	s_wait_alu 0xfffe
	s_and_not1_b32 vcc_lo, exec_lo, s38
	s_wait_alu 0xfffe
	s_cbranch_vccnz .LBB228_26
; %bb.25:                               ;   in Loop: Header=BB228_16 Depth=2
	v_div_scale_f64 v[15:16], null, v[19:20], v[19:20], v[21:22]
	v_div_scale_f64 v[42:43], vcc_lo, v[21:22], v[19:20], v[21:22]
	s_delay_alu instid0(VALU_DEP_2) | instskip(NEXT) | instid1(TRANS32_DEP_1)
	v_rcp_f64_e32 v[17:18], v[15:16]
	v_fma_f64 v[40:41], -v[15:16], v[17:18], 1.0
	s_delay_alu instid0(VALU_DEP_1) | instskip(NEXT) | instid1(VALU_DEP_1)
	v_fma_f64 v[17:18], v[17:18], v[40:41], v[17:18]
	v_fma_f64 v[40:41], -v[15:16], v[17:18], 1.0
	s_delay_alu instid0(VALU_DEP_1) | instskip(NEXT) | instid1(VALU_DEP_1)
	v_fma_f64 v[17:18], v[17:18], v[40:41], v[17:18]
	v_mul_f64_e32 v[40:41], v[42:43], v[17:18]
	s_delay_alu instid0(VALU_DEP_1) | instskip(SKIP_1) | instid1(VALU_DEP_1)
	v_fma_f64 v[15:16], -v[15:16], v[40:41], v[42:43]
	s_wait_alu 0xfffd
	v_div_fmas_f64 v[15:16], v[15:16], v[17:18], v[40:41]
	s_delay_alu instid0(VALU_DEP_1) | instskip(NEXT) | instid1(VALU_DEP_1)
	v_div_fixup_f64 v[15:16], v[15:16], v[19:20], v[21:22]
	v_fma_f64 v[17:18], v[21:22], v[15:16], v[19:20]
	s_delay_alu instid0(VALU_DEP_1) | instskip(SKIP_1) | instid1(VALU_DEP_2)
	v_div_scale_f64 v[19:20], null, v[17:18], v[17:18], 1.0
	v_div_scale_f64 v[42:43], vcc_lo, 1.0, v[17:18], 1.0
	v_rcp_f64_e32 v[21:22], v[19:20]
	s_delay_alu instid0(TRANS32_DEP_1) | instskip(NEXT) | instid1(VALU_DEP_1)
	v_fma_f64 v[40:41], -v[19:20], v[21:22], 1.0
	v_fma_f64 v[21:22], v[21:22], v[40:41], v[21:22]
	s_delay_alu instid0(VALU_DEP_1) | instskip(NEXT) | instid1(VALU_DEP_1)
	v_fma_f64 v[40:41], -v[19:20], v[21:22], 1.0
	v_fma_f64 v[21:22], v[21:22], v[40:41], v[21:22]
	s_delay_alu instid0(VALU_DEP_1) | instskip(NEXT) | instid1(VALU_DEP_1)
	v_mul_f64_e32 v[40:41], v[42:43], v[21:22]
	v_fma_f64 v[19:20], -v[19:20], v[40:41], v[42:43]
	s_wait_alu 0xfffd
	s_delay_alu instid0(VALU_DEP_1) | instskip(SKIP_1) | instid1(VALU_DEP_2)
	v_div_fmas_f64 v[19:20], v[19:20], v[21:22], v[40:41]
	v_fma_f64 v[21:22], v[15:16], v[25:26], v[23:24]
	v_div_fixup_f64 v[17:18], v[19:20], v[17:18], 1.0
	v_fma_f64 v[19:20], -v[15:16], v[23:24], v[25:26]
	s_delay_alu instid0(VALU_DEP_2) | instskip(NEXT) | instid1(VALU_DEP_2)
	v_mul_f64_e32 v[15:16], v[21:22], v[17:18]
	v_mul_f64_e32 v[17:18], v[19:20], v[17:18]
.LBB228_26:                             ;   in Loop: Header=BB228_16 Depth=2
	s_add_co_i32 s38, s37, 0x190
	s_or_b32 s39, s36, 16
	s_wait_alu 0xfffe
	s_sub_co_i32 s39, s38, s39
	s_wait_alu 0xfffe
	s_add_co_i32 s39, s39, s36
	s_wait_alu 0xfffe
	v_dual_mov_b32 v19, s37 :: v_dual_mov_b32 v40, s39
	ds_load_b128 v[23:26], v19 offset:32
	ds_load_b128 v[19:22], v19 offset:800
	;; [unrolled: 1-line block ×3, first 2 shown]
	ds_store_b128 v30, v[15:18] offset:384
	s_wait_dscnt 0x3
	v_mul_f64_e32 v[44:45], v[13:14], v[25:26]
	v_mul_f64_e32 v[25:26], v[11:12], v[25:26]
	s_wait_dscnt 0x1
	v_mul_f64_e32 v[46:47], v[17:18], v[42:43]
	v_mul_f64_e32 v[42:43], v[15:16], v[42:43]
	v_cmp_ngt_f64_e64 s40, |v[19:20]|, |v[21:22]|
	v_fma_f64 v[44:45], v[11:12], v[23:24], -v[44:45]
	v_fma_f64 v[23:24], v[13:14], v[23:24], v[25:26]
	v_fma_f64 v[25:26], v[15:16], v[40:41], -v[46:47]
	v_fma_f64 v[40:41], v[17:18], v[40:41], v[42:43]
	s_and_b32 vcc_lo, exec_lo, s40
	s_mov_b32 s40, -1
	s_delay_alu instid0(VALU_DEP_4) | instskip(NEXT) | instid1(VALU_DEP_4)
	v_add_f64_e64 v[7:8], v[7:8], -v[44:45]
	v_add_f64_e64 v[9:10], v[9:10], -v[23:24]
	s_delay_alu instid0(VALU_DEP_2) | instskip(NEXT) | instid1(VALU_DEP_2)
	v_add_f64_e64 v[23:24], v[7:8], -v[25:26]
	v_add_f64_e64 v[25:26], v[9:10], -v[40:41]
                                        ; implicit-def: $vgpr9_vgpr10
	s_wait_alu 0xfffe
	s_cbranch_vccz .LBB228_28
; %bb.27:                               ;   in Loop: Header=BB228_16 Depth=2
	v_div_scale_f64 v[7:8], null, v[21:22], v[21:22], v[19:20]
	v_div_scale_f64 v[42:43], vcc_lo, v[19:20], v[21:22], v[19:20]
	s_mov_b32 s40, 0
	v_rcp_f64_e32 v[9:10], v[7:8]
	s_delay_alu instid0(TRANS32_DEP_1) | instskip(NEXT) | instid1(VALU_DEP_1)
	v_fma_f64 v[40:41], -v[7:8], v[9:10], 1.0
	v_fma_f64 v[9:10], v[9:10], v[40:41], v[9:10]
	s_delay_alu instid0(VALU_DEP_1) | instskip(NEXT) | instid1(VALU_DEP_1)
	v_fma_f64 v[40:41], -v[7:8], v[9:10], 1.0
	v_fma_f64 v[9:10], v[9:10], v[40:41], v[9:10]
	s_delay_alu instid0(VALU_DEP_1) | instskip(NEXT) | instid1(VALU_DEP_1)
	v_mul_f64_e32 v[40:41], v[42:43], v[9:10]
	v_fma_f64 v[7:8], -v[7:8], v[40:41], v[42:43]
	s_wait_alu 0xfffd
	s_delay_alu instid0(VALU_DEP_1) | instskip(NEXT) | instid1(VALU_DEP_1)
	v_div_fmas_f64 v[7:8], v[7:8], v[9:10], v[40:41]
	v_div_fixup_f64 v[7:8], v[7:8], v[21:22], v[19:20]
	s_delay_alu instid0(VALU_DEP_1) | instskip(NEXT) | instid1(VALU_DEP_1)
	v_fma_f64 v[9:10], v[19:20], v[7:8], v[21:22]
	v_div_scale_f64 v[40:41], null, v[9:10], v[9:10], 1.0
	v_div_scale_f64 v[46:47], vcc_lo, 1.0, v[9:10], 1.0
	s_delay_alu instid0(VALU_DEP_2) | instskip(NEXT) | instid1(TRANS32_DEP_1)
	v_rcp_f64_e32 v[42:43], v[40:41]
	v_fma_f64 v[44:45], -v[40:41], v[42:43], 1.0
	s_delay_alu instid0(VALU_DEP_1) | instskip(NEXT) | instid1(VALU_DEP_1)
	v_fma_f64 v[42:43], v[42:43], v[44:45], v[42:43]
	v_fma_f64 v[44:45], -v[40:41], v[42:43], 1.0
	s_delay_alu instid0(VALU_DEP_1) | instskip(NEXT) | instid1(VALU_DEP_1)
	v_fma_f64 v[42:43], v[42:43], v[44:45], v[42:43]
	v_mul_f64_e32 v[44:45], v[46:47], v[42:43]
	s_delay_alu instid0(VALU_DEP_1) | instskip(SKIP_1) | instid1(VALU_DEP_1)
	v_fma_f64 v[40:41], -v[40:41], v[44:45], v[46:47]
	s_wait_alu 0xfffd
	v_div_fmas_f64 v[40:41], v[40:41], v[42:43], v[44:45]
	v_fma_f64 v[42:43], v[7:8], v[23:24], v[25:26]
	s_delay_alu instid0(VALU_DEP_2) | instskip(SKIP_1) | instid1(VALU_DEP_2)
	v_div_fixup_f64 v[9:10], v[40:41], v[9:10], 1.0
	v_fma_f64 v[40:41], v[7:8], v[25:26], -v[23:24]
	v_mul_f64_e32 v[7:8], v[42:43], v[9:10]
	s_delay_alu instid0(VALU_DEP_2)
	v_mul_f64_e32 v[9:10], v[40:41], v[9:10]
.LBB228_28:                             ;   in Loop: Header=BB228_16 Depth=2
	s_and_not1_b32 vcc_lo, exec_lo, s40
	s_wait_alu 0xfffe
	s_cbranch_vccnz .LBB228_30
; %bb.29:                               ;   in Loop: Header=BB228_16 Depth=2
	v_div_scale_f64 v[7:8], null, v[19:20], v[19:20], v[21:22]
	v_div_scale_f64 v[42:43], vcc_lo, v[21:22], v[19:20], v[21:22]
	s_delay_alu instid0(VALU_DEP_2) | instskip(NEXT) | instid1(TRANS32_DEP_1)
	v_rcp_f64_e32 v[9:10], v[7:8]
	v_fma_f64 v[40:41], -v[7:8], v[9:10], 1.0
	s_delay_alu instid0(VALU_DEP_1) | instskip(NEXT) | instid1(VALU_DEP_1)
	v_fma_f64 v[9:10], v[9:10], v[40:41], v[9:10]
	v_fma_f64 v[40:41], -v[7:8], v[9:10], 1.0
	s_delay_alu instid0(VALU_DEP_1) | instskip(NEXT) | instid1(VALU_DEP_1)
	v_fma_f64 v[9:10], v[9:10], v[40:41], v[9:10]
	v_mul_f64_e32 v[40:41], v[42:43], v[9:10]
	s_delay_alu instid0(VALU_DEP_1) | instskip(SKIP_1) | instid1(VALU_DEP_1)
	v_fma_f64 v[7:8], -v[7:8], v[40:41], v[42:43]
	s_wait_alu 0xfffd
	v_div_fmas_f64 v[7:8], v[7:8], v[9:10], v[40:41]
	s_delay_alu instid0(VALU_DEP_1) | instskip(NEXT) | instid1(VALU_DEP_1)
	v_div_fixup_f64 v[7:8], v[7:8], v[19:20], v[21:22]
	v_fma_f64 v[9:10], v[21:22], v[7:8], v[19:20]
	s_delay_alu instid0(VALU_DEP_1) | instskip(SKIP_1) | instid1(VALU_DEP_2)
	v_div_scale_f64 v[19:20], null, v[9:10], v[9:10], 1.0
	v_div_scale_f64 v[42:43], vcc_lo, 1.0, v[9:10], 1.0
	v_rcp_f64_e32 v[21:22], v[19:20]
	s_delay_alu instid0(TRANS32_DEP_1) | instskip(NEXT) | instid1(VALU_DEP_1)
	v_fma_f64 v[40:41], -v[19:20], v[21:22], 1.0
	v_fma_f64 v[21:22], v[21:22], v[40:41], v[21:22]
	s_delay_alu instid0(VALU_DEP_1) | instskip(NEXT) | instid1(VALU_DEP_1)
	v_fma_f64 v[40:41], -v[19:20], v[21:22], 1.0
	v_fma_f64 v[21:22], v[21:22], v[40:41], v[21:22]
	s_delay_alu instid0(VALU_DEP_1) | instskip(NEXT) | instid1(VALU_DEP_1)
	v_mul_f64_e32 v[40:41], v[42:43], v[21:22]
	v_fma_f64 v[19:20], -v[19:20], v[40:41], v[42:43]
	s_wait_alu 0xfffd
	s_delay_alu instid0(VALU_DEP_1) | instskip(SKIP_1) | instid1(VALU_DEP_2)
	v_div_fmas_f64 v[19:20], v[19:20], v[21:22], v[40:41]
	v_fma_f64 v[21:22], v[7:8], v[25:26], v[23:24]
	v_div_fixup_f64 v[9:10], v[19:20], v[9:10], 1.0
	v_fma_f64 v[19:20], -v[7:8], v[23:24], v[25:26]
	s_delay_alu instid0(VALU_DEP_2) | instskip(NEXT) | instid1(VALU_DEP_2)
	v_mul_f64_e32 v[7:8], v[21:22], v[9:10]
	v_mul_f64_e32 v[9:10], v[19:20], v[9:10]
.LBB228_30:                             ;   in Loop: Header=BB228_16 Depth=2
	v_dual_mov_b32 v19, s37 :: v_dual_mov_b32 v40, s39
	s_or_b32 s37, s36, 32
	ds_load_b128 v[23:26], v19 offset:48
	ds_load_b128 v[19:22], v19 offset:1200
	;; [unrolled: 1-line block ×3, first 2 shown]
	s_wait_alu 0xfffe
	s_sub_co_i32 s37, s38, s37
	ds_store_b128 v30, v[7:10] offset:768
	s_wait_alu 0xfffe
	s_add_co_i32 s36, s37, s36
	s_wait_alu 0xfffe
	v_mov_b32_e32 v44, s36
	ds_load_b128 v[44:47], v44 offset:448
	s_wait_dscnt 0x4
	v_mul_f64_e32 v[48:49], v[13:14], v[25:26]
	v_mul_f64_e32 v[25:26], v[11:12], v[25:26]
	s_wait_dscnt 0x2
	v_mul_f64_e32 v[50:51], v[17:18], v[42:43]
	v_mul_f64_e32 v[42:43], v[15:16], v[42:43]
	v_cmp_ngt_f64_e64 s36, |v[19:20]|, |v[21:22]|
	v_fma_f64 v[11:12], v[11:12], v[23:24], -v[48:49]
	v_fma_f64 v[13:14], v[13:14], v[23:24], v[25:26]
	s_wait_dscnt 0x0
	v_mul_f64_e32 v[23:24], v[9:10], v[46:47]
	v_mul_f64_e32 v[25:26], v[7:8], v[46:47]
	v_fma_f64 v[15:16], v[15:16], v[40:41], -v[50:51]
	v_fma_f64 v[17:18], v[17:18], v[40:41], v[42:43]
	s_and_b32 vcc_lo, exec_lo, s36
	s_mov_b32 s36, -1
	v_add_f64_e64 v[3:4], v[3:4], -v[11:12]
	v_add_f64_e64 v[5:6], v[5:6], -v[13:14]
	v_fma_f64 v[11:12], v[7:8], v[44:45], -v[23:24]
	v_fma_f64 v[13:14], v[9:10], v[44:45], v[25:26]
	s_delay_alu instid0(VALU_DEP_4) | instskip(NEXT) | instid1(VALU_DEP_4)
	v_add_f64_e64 v[3:4], v[3:4], -v[15:16]
	v_add_f64_e64 v[5:6], v[5:6], -v[17:18]
	s_delay_alu instid0(VALU_DEP_2) | instskip(NEXT) | instid1(VALU_DEP_2)
	v_add_f64_e64 v[11:12], v[3:4], -v[11:12]
	v_add_f64_e64 v[13:14], v[5:6], -v[13:14]
                                        ; implicit-def: $vgpr5_vgpr6
	s_wait_alu 0xfffe
	s_cbranch_vccz .LBB228_32
; %bb.31:                               ;   in Loop: Header=BB228_16 Depth=2
	v_div_scale_f64 v[3:4], null, v[21:22], v[21:22], v[19:20]
	v_div_scale_f64 v[9:10], vcc_lo, v[19:20], v[21:22], v[19:20]
	s_mov_b32 s36, 0
	v_rcp_f64_e32 v[5:6], v[3:4]
	s_delay_alu instid0(TRANS32_DEP_1) | instskip(NEXT) | instid1(VALU_DEP_1)
	v_fma_f64 v[7:8], -v[3:4], v[5:6], 1.0
	v_fma_f64 v[5:6], v[5:6], v[7:8], v[5:6]
	s_delay_alu instid0(VALU_DEP_1) | instskip(NEXT) | instid1(VALU_DEP_1)
	v_fma_f64 v[7:8], -v[3:4], v[5:6], 1.0
	v_fma_f64 v[5:6], v[5:6], v[7:8], v[5:6]
	s_delay_alu instid0(VALU_DEP_1) | instskip(NEXT) | instid1(VALU_DEP_1)
	v_mul_f64_e32 v[7:8], v[9:10], v[5:6]
	v_fma_f64 v[3:4], -v[3:4], v[7:8], v[9:10]
	s_wait_alu 0xfffd
	s_delay_alu instid0(VALU_DEP_1) | instskip(NEXT) | instid1(VALU_DEP_1)
	v_div_fmas_f64 v[3:4], v[3:4], v[5:6], v[7:8]
	v_div_fixup_f64 v[3:4], v[3:4], v[21:22], v[19:20]
	s_delay_alu instid0(VALU_DEP_1) | instskip(NEXT) | instid1(VALU_DEP_1)
	v_fma_f64 v[5:6], v[19:20], v[3:4], v[21:22]
	v_div_scale_f64 v[7:8], null, v[5:6], v[5:6], 1.0
	v_div_scale_f64 v[17:18], vcc_lo, 1.0, v[5:6], 1.0
	s_delay_alu instid0(VALU_DEP_2) | instskip(NEXT) | instid1(TRANS32_DEP_1)
	v_rcp_f64_e32 v[9:10], v[7:8]
	v_fma_f64 v[15:16], -v[7:8], v[9:10], 1.0
	s_delay_alu instid0(VALU_DEP_1) | instskip(NEXT) | instid1(VALU_DEP_1)
	v_fma_f64 v[9:10], v[9:10], v[15:16], v[9:10]
	v_fma_f64 v[15:16], -v[7:8], v[9:10], 1.0
	s_delay_alu instid0(VALU_DEP_1) | instskip(NEXT) | instid1(VALU_DEP_1)
	v_fma_f64 v[9:10], v[9:10], v[15:16], v[9:10]
	v_mul_f64_e32 v[15:16], v[17:18], v[9:10]
	s_delay_alu instid0(VALU_DEP_1) | instskip(SKIP_1) | instid1(VALU_DEP_1)
	v_fma_f64 v[7:8], -v[7:8], v[15:16], v[17:18]
	s_wait_alu 0xfffd
	v_div_fmas_f64 v[7:8], v[7:8], v[9:10], v[15:16]
	v_fma_f64 v[9:10], v[3:4], v[11:12], v[13:14]
	s_delay_alu instid0(VALU_DEP_2) | instskip(SKIP_1) | instid1(VALU_DEP_2)
	v_div_fixup_f64 v[5:6], v[7:8], v[5:6], 1.0
	v_fma_f64 v[7:8], v[3:4], v[13:14], -v[11:12]
	v_mul_f64_e32 v[3:4], v[9:10], v[5:6]
	s_delay_alu instid0(VALU_DEP_2)
	v_mul_f64_e32 v[5:6], v[7:8], v[5:6]
.LBB228_32:                             ;   in Loop: Header=BB228_16 Depth=2
	s_wait_alu 0xfffe
	s_and_not1_b32 vcc_lo, exec_lo, s36
	s_wait_alu 0xfffe
	s_cbranch_vccnz .LBB228_34
; %bb.33:                               ;   in Loop: Header=BB228_16 Depth=2
	v_div_scale_f64 v[3:4], null, v[19:20], v[19:20], v[21:22]
	v_div_scale_f64 v[9:10], vcc_lo, v[21:22], v[19:20], v[21:22]
	s_delay_alu instid0(VALU_DEP_2) | instskip(NEXT) | instid1(TRANS32_DEP_1)
	v_rcp_f64_e32 v[5:6], v[3:4]
	v_fma_f64 v[7:8], -v[3:4], v[5:6], 1.0
	s_delay_alu instid0(VALU_DEP_1) | instskip(NEXT) | instid1(VALU_DEP_1)
	v_fma_f64 v[5:6], v[5:6], v[7:8], v[5:6]
	v_fma_f64 v[7:8], -v[3:4], v[5:6], 1.0
	s_delay_alu instid0(VALU_DEP_1) | instskip(NEXT) | instid1(VALU_DEP_1)
	v_fma_f64 v[5:6], v[5:6], v[7:8], v[5:6]
	v_mul_f64_e32 v[7:8], v[9:10], v[5:6]
	s_delay_alu instid0(VALU_DEP_1) | instskip(SKIP_1) | instid1(VALU_DEP_1)
	v_fma_f64 v[3:4], -v[3:4], v[7:8], v[9:10]
	s_wait_alu 0xfffd
	v_div_fmas_f64 v[3:4], v[3:4], v[5:6], v[7:8]
	s_delay_alu instid0(VALU_DEP_1) | instskip(NEXT) | instid1(VALU_DEP_1)
	v_div_fixup_f64 v[3:4], v[3:4], v[19:20], v[21:22]
	v_fma_f64 v[5:6], v[21:22], v[3:4], v[19:20]
	s_delay_alu instid0(VALU_DEP_1) | instskip(SKIP_1) | instid1(VALU_DEP_2)
	v_div_scale_f64 v[7:8], null, v[5:6], v[5:6], 1.0
	v_div_scale_f64 v[17:18], vcc_lo, 1.0, v[5:6], 1.0
	v_rcp_f64_e32 v[9:10], v[7:8]
	s_delay_alu instid0(TRANS32_DEP_1) | instskip(NEXT) | instid1(VALU_DEP_1)
	v_fma_f64 v[15:16], -v[7:8], v[9:10], 1.0
	v_fma_f64 v[9:10], v[9:10], v[15:16], v[9:10]
	s_delay_alu instid0(VALU_DEP_1) | instskip(NEXT) | instid1(VALU_DEP_1)
	v_fma_f64 v[15:16], -v[7:8], v[9:10], 1.0
	v_fma_f64 v[9:10], v[9:10], v[15:16], v[9:10]
	s_delay_alu instid0(VALU_DEP_1) | instskip(NEXT) | instid1(VALU_DEP_1)
	v_mul_f64_e32 v[15:16], v[17:18], v[9:10]
	v_fma_f64 v[7:8], -v[7:8], v[15:16], v[17:18]
	s_wait_alu 0xfffd
	s_delay_alu instid0(VALU_DEP_1) | instskip(SKIP_1) | instid1(VALU_DEP_2)
	v_div_fmas_f64 v[7:8], v[7:8], v[9:10], v[15:16]
	v_fma_f64 v[9:10], v[3:4], v[13:14], v[11:12]
	v_div_fixup_f64 v[5:6], v[7:8], v[5:6], 1.0
	v_fma_f64 v[7:8], -v[3:4], v[11:12], v[13:14]
	s_delay_alu instid0(VALU_DEP_2) | instskip(NEXT) | instid1(VALU_DEP_2)
	v_mul_f64_e32 v[3:4], v[9:10], v[5:6]
	v_mul_f64_e32 v[5:6], v[7:8], v[5:6]
.LBB228_34:                             ;   in Loop: Header=BB228_16 Depth=2
	s_add_co_i32 s36, s21, 4
	s_add_co_i32 s21, s21, 7
	;; [unrolled: 1-line block ×3, first 2 shown]
	s_wait_alu 0xfffe
	s_cmp_ge_i32 s21, s26
	ds_store_b128 v31, v[3:6]
	s_cbranch_scc1 .LBB228_36
; %bb.35:                               ;   in Loop: Header=BB228_16 Depth=2
	s_mov_b32 s21, s36
	s_branch .LBB228_16
.LBB228_36:                             ;   in Loop: Header=BB228_3 Depth=1
	s_cmp_ge_i32 s36, s26
	s_cbranch_scc1 .LBB228_45
; %bb.37:                               ;   in Loop: Header=BB228_3 Depth=1
	s_lshl_b32 s20, s36, 4
	s_branch .LBB228_39
.LBB228_38:                             ;   in Loop: Header=BB228_39 Depth=2
	s_add_co_i32 s36, s36, 1
	s_add_co_i32 s20, s20, 16
	s_wait_alu 0xfffe
	s_cmp_ge_i32 s36, s26
	ds_store_b128 v15, v[11:14]
	s_cbranch_scc1 .LBB228_45
.LBB228_39:                             ;   Parent Loop BB228_3 Depth=1
                                        ; =>  This Loop Header: Depth=2
                                        ;       Child Loop BB228_40 Depth 3
	s_mul_i32 s21, s36, 0x180
	v_mov_b32_e32 v7, v27
	s_wait_alu 0xfffe
	v_add_nc_u32_e32 v15, s21, v27
	s_cmp_eq_u32 s36, 0
	s_mov_b32 s37, s20
	s_mov_b32 s38, s36
	ds_load_b128 v[3:6], v15
	s_cbranch_scc1 .LBB228_41
.LBB228_40:                             ;   Parent Loop BB228_3 Depth=1
                                        ;     Parent Loop BB228_39 Depth=2
                                        ; =>    This Inner Loop Header: Depth=3
	s_wait_alu 0xfffe
	v_mov_b32_e32 v12, s37
	s_add_co_i32 s38, s38, -1
	s_addk_co_i32 s37, 0x180
	s_wait_alu 0xfffe
	s_cmp_eq_u32 s38, 0
	ds_load_b128 v[8:11], v7
	ds_load_b128 v[16:19], v12
	v_add_nc_u32_e32 v7, 0x180, v7
	s_wait_dscnt 0x0
	v_mul_f64_e32 v[12:13], v[18:19], v[10:11]
	v_mul_f64_e32 v[10:11], v[16:17], v[10:11]
	s_delay_alu instid0(VALU_DEP_2) | instskip(NEXT) | instid1(VALU_DEP_2)
	v_fma_f64 v[12:13], v[16:17], v[8:9], -v[12:13]
	v_fma_f64 v[8:9], v[18:19], v[8:9], v[10:11]
	s_delay_alu instid0(VALU_DEP_2) | instskip(NEXT) | instid1(VALU_DEP_2)
	v_add_f64_e64 v[3:4], v[3:4], -v[12:13]
	v_add_f64_e64 v[5:6], v[5:6], -v[8:9]
	s_cbranch_scc0 .LBB228_40
.LBB228_41:                             ;   in Loop: Header=BB228_39 Depth=2
	s_lshl_b32 s37, s36, 4
                                        ; implicit-def: $vgpr11_vgpr12
	s_wait_alu 0xfffe
	s_add_co_i32 s21, s37, s21
	s_wait_alu 0xfffe
	v_mov_b32_e32 v7, s21
	ds_load_b128 v[7:10], v7
	s_wait_dscnt 0x0
	v_cmp_ngt_f64_e64 s21, |v[7:8]|, |v[9:10]|
	s_and_b32 vcc_lo, exec_lo, s21
	s_mov_b32 s21, -1
	s_wait_alu 0xfffe
	s_cbranch_vccz .LBB228_43
; %bb.42:                               ;   in Loop: Header=BB228_39 Depth=2
	v_div_scale_f64 v[11:12], null, v[9:10], v[9:10], v[7:8]
	v_div_scale_f64 v[18:19], vcc_lo, v[7:8], v[9:10], v[7:8]
	s_mov_b32 s21, 0
	v_rcp_f64_e32 v[13:14], v[11:12]
	s_delay_alu instid0(TRANS32_DEP_1) | instskip(NEXT) | instid1(VALU_DEP_1)
	v_fma_f64 v[16:17], -v[11:12], v[13:14], 1.0
	v_fma_f64 v[13:14], v[13:14], v[16:17], v[13:14]
	s_delay_alu instid0(VALU_DEP_1) | instskip(NEXT) | instid1(VALU_DEP_1)
	v_fma_f64 v[16:17], -v[11:12], v[13:14], 1.0
	v_fma_f64 v[13:14], v[13:14], v[16:17], v[13:14]
	s_delay_alu instid0(VALU_DEP_1) | instskip(NEXT) | instid1(VALU_DEP_1)
	v_mul_f64_e32 v[16:17], v[18:19], v[13:14]
	v_fma_f64 v[11:12], -v[11:12], v[16:17], v[18:19]
	s_wait_alu 0xfffd
	s_delay_alu instid0(VALU_DEP_1) | instskip(NEXT) | instid1(VALU_DEP_1)
	v_div_fmas_f64 v[11:12], v[11:12], v[13:14], v[16:17]
	v_div_fixup_f64 v[11:12], v[11:12], v[9:10], v[7:8]
	s_delay_alu instid0(VALU_DEP_1) | instskip(NEXT) | instid1(VALU_DEP_1)
	v_fma_f64 v[13:14], v[7:8], v[11:12], v[9:10]
	v_div_scale_f64 v[16:17], null, v[13:14], v[13:14], 1.0
	v_div_scale_f64 v[22:23], vcc_lo, 1.0, v[13:14], 1.0
	s_delay_alu instid0(VALU_DEP_2) | instskip(NEXT) | instid1(TRANS32_DEP_1)
	v_rcp_f64_e32 v[18:19], v[16:17]
	v_fma_f64 v[20:21], -v[16:17], v[18:19], 1.0
	s_delay_alu instid0(VALU_DEP_1) | instskip(NEXT) | instid1(VALU_DEP_1)
	v_fma_f64 v[18:19], v[18:19], v[20:21], v[18:19]
	v_fma_f64 v[20:21], -v[16:17], v[18:19], 1.0
	s_delay_alu instid0(VALU_DEP_1) | instskip(NEXT) | instid1(VALU_DEP_1)
	v_fma_f64 v[18:19], v[18:19], v[20:21], v[18:19]
	v_mul_f64_e32 v[20:21], v[22:23], v[18:19]
	s_delay_alu instid0(VALU_DEP_1) | instskip(SKIP_1) | instid1(VALU_DEP_1)
	v_fma_f64 v[16:17], -v[16:17], v[20:21], v[22:23]
	s_wait_alu 0xfffd
	v_div_fmas_f64 v[16:17], v[16:17], v[18:19], v[20:21]
	v_fma_f64 v[18:19], v[3:4], v[11:12], v[5:6]
	s_delay_alu instid0(VALU_DEP_2) | instskip(SKIP_1) | instid1(VALU_DEP_2)
	v_div_fixup_f64 v[13:14], v[16:17], v[13:14], 1.0
	v_fma_f64 v[16:17], v[5:6], v[11:12], -v[3:4]
	v_mul_f64_e32 v[11:12], v[18:19], v[13:14]
	s_delay_alu instid0(VALU_DEP_2)
	v_mul_f64_e32 v[13:14], v[16:17], v[13:14]
.LBB228_43:                             ;   in Loop: Header=BB228_39 Depth=2
	s_wait_alu 0xfffe
	s_and_not1_b32 vcc_lo, exec_lo, s21
	s_wait_alu 0xfffe
	s_cbranch_vccnz .LBB228_38
; %bb.44:                               ;   in Loop: Header=BB228_39 Depth=2
	v_div_scale_f64 v[11:12], null, v[7:8], v[7:8], v[9:10]
	v_div_scale_f64 v[18:19], vcc_lo, v[9:10], v[7:8], v[9:10]
	s_delay_alu instid0(VALU_DEP_2) | instskip(NEXT) | instid1(TRANS32_DEP_1)
	v_rcp_f64_e32 v[13:14], v[11:12]
	v_fma_f64 v[16:17], -v[11:12], v[13:14], 1.0
	s_delay_alu instid0(VALU_DEP_1) | instskip(NEXT) | instid1(VALU_DEP_1)
	v_fma_f64 v[13:14], v[13:14], v[16:17], v[13:14]
	v_fma_f64 v[16:17], -v[11:12], v[13:14], 1.0
	s_delay_alu instid0(VALU_DEP_1) | instskip(NEXT) | instid1(VALU_DEP_1)
	v_fma_f64 v[13:14], v[13:14], v[16:17], v[13:14]
	v_mul_f64_e32 v[16:17], v[18:19], v[13:14]
	s_delay_alu instid0(VALU_DEP_1) | instskip(SKIP_1) | instid1(VALU_DEP_1)
	v_fma_f64 v[11:12], -v[11:12], v[16:17], v[18:19]
	s_wait_alu 0xfffd
	v_div_fmas_f64 v[11:12], v[11:12], v[13:14], v[16:17]
	s_delay_alu instid0(VALU_DEP_1) | instskip(NEXT) | instid1(VALU_DEP_1)
	v_div_fixup_f64 v[11:12], v[11:12], v[7:8], v[9:10]
	v_fma_f64 v[7:8], v[9:10], v[11:12], v[7:8]
	s_delay_alu instid0(VALU_DEP_1) | instskip(SKIP_1) | instid1(VALU_DEP_2)
	v_div_scale_f64 v[9:10], null, v[7:8], v[7:8], 1.0
	v_div_scale_f64 v[18:19], vcc_lo, 1.0, v[7:8], 1.0
	v_rcp_f64_e32 v[13:14], v[9:10]
	s_delay_alu instid0(TRANS32_DEP_1) | instskip(NEXT) | instid1(VALU_DEP_1)
	v_fma_f64 v[16:17], -v[9:10], v[13:14], 1.0
	v_fma_f64 v[13:14], v[13:14], v[16:17], v[13:14]
	s_delay_alu instid0(VALU_DEP_1) | instskip(NEXT) | instid1(VALU_DEP_1)
	v_fma_f64 v[16:17], -v[9:10], v[13:14], 1.0
	v_fma_f64 v[13:14], v[13:14], v[16:17], v[13:14]
	s_delay_alu instid0(VALU_DEP_1) | instskip(NEXT) | instid1(VALU_DEP_1)
	v_mul_f64_e32 v[16:17], v[18:19], v[13:14]
	v_fma_f64 v[9:10], -v[9:10], v[16:17], v[18:19]
	s_wait_alu 0xfffd
	s_delay_alu instid0(VALU_DEP_1) | instskip(SKIP_2) | instid1(VALU_DEP_3)
	v_div_fmas_f64 v[9:10], v[9:10], v[13:14], v[16:17]
	v_fma_f64 v[13:14], v[5:6], v[11:12], v[3:4]
	v_fma_f64 v[3:4], -v[3:4], v[11:12], v[5:6]
	v_div_fixup_f64 v[7:8], v[9:10], v[7:8], 1.0
	s_delay_alu instid0(VALU_DEP_1) | instskip(NEXT) | instid1(VALU_DEP_3)
	v_mul_f64_e32 v[11:12], v[13:14], v[7:8]
	v_mul_f64_e32 v[13:14], v[3:4], v[7:8]
	s_branch .LBB228_38
.LBB228_45:                             ;   in Loop: Header=BB228_3 Depth=1
	s_mov_b32 s20, 0
.LBB228_46:                             ;   in Loop: Header=BB228_3 Depth=1
	s_wait_alu 0xfffe
	s_and_b32 vcc_lo, exec_lo, s20
	s_wait_alu 0xfffe
	s_cbranch_vccz .LBB228_78
; %bb.47:                               ;   in Loop: Header=BB228_3 Depth=1
	s_mov_b32 s36, s27
	s_and_not1_b32 vcc_lo, exec_lo, s22
	s_mov_b32 s20, s31
	s_mov_b32 s21, s27
	s_wait_alu 0xfffe
	s_cbranch_vccnz .LBB228_69
.LBB228_48:                             ;   Parent Loop BB228_3 Depth=1
                                        ; =>  This Loop Header: Depth=2
                                        ;       Child Loop BB228_49 Depth 3
	s_wait_alu 0xfffe
	s_mul_i32 s37, s21, 0x180
	s_mov_b32 s38, s27
	s_wait_alu 0xfffe
	v_add_nc_u32_e32 v41, s37, v27
	s_add_co_i32 s36, s37, 0xfffffb80
	s_cmp_le_i32 s27, s21
	s_wait_alu 0xfffe
	v_add_nc_u32_e32 v30, s36, v27
	s_mov_b32 s36, s20
	v_dual_mov_b32 v11, v38 :: v_dual_add_nc_u32 v40, 0xfffffe80, v41
	v_add_nc_u32_e32 v31, 0xfffffd00, v41
	ds_load_b128 v[19:22], v41
	ds_load_b128 v[15:18], v40
	;; [unrolled: 1-line block ×4, first 2 shown]
	s_cbranch_scc1 .LBB228_50
.LBB228_49:                             ;   Parent Loop BB228_3 Depth=1
                                        ;     Parent Loop BB228_48 Depth=2
                                        ; =>    This Inner Loop Header: Depth=3
	s_wait_alu 0xfffe
	v_mov_b32_e32 v12, s36
	s_add_co_i32 s38, s38, -1
	s_addk_co_i32 s36, 0xfe80
	s_wait_alu 0xfffe
	s_cmp_le_i32 s38, s21
	ds_load_b128 v[23:26], v11
	ds_load_b128 v[42:45], v12 offset:48
	ds_load_b128 v[46:49], v12 offset:32
	;; [unrolled: 1-line block ×3, first 2 shown]
	ds_load_b128 v[54:57], v12
	v_add_nc_u32_e32 v11, 0xfffffe80, v11
	s_wait_dscnt 0x3
	v_mul_f64_e32 v[12:13], v[25:26], v[44:45]
	v_mul_f64_e32 v[44:45], v[23:24], v[44:45]
	s_wait_dscnt 0x2
	v_mul_f64_e32 v[58:59], v[25:26], v[48:49]
	v_mul_f64_e32 v[48:49], v[23:24], v[48:49]
	;; [unrolled: 3-line block ×4, first 2 shown]
	v_fma_f64 v[12:13], v[23:24], v[42:43], -v[12:13]
	v_fma_f64 v[42:43], v[25:26], v[42:43], v[44:45]
	v_fma_f64 v[44:45], v[23:24], v[46:47], -v[58:59]
	v_fma_f64 v[46:47], v[25:26], v[46:47], v[48:49]
	v_fma_f64 v[48:49], v[23:24], v[50:51], -v[60:61]
	v_fma_f64 v[50:51], v[25:26], v[50:51], v[52:53]
	v_fma_f64 v[23:24], v[23:24], v[54:55], -v[62:63]
	v_fma_f64 v[25:26], v[25:26], v[54:55], v[56:57]
	v_add_f64_e64 v[19:20], v[19:20], -v[12:13]
	v_add_f64_e64 v[21:22], v[21:22], -v[42:43]
	v_add_f64_e64 v[15:16], v[15:16], -v[44:45]
	v_add_f64_e64 v[17:18], v[17:18], -v[46:47]
	v_add_f64_e64 v[7:8], v[7:8], -v[48:49]
	v_add_f64_e64 v[9:10], v[9:10], -v[50:51]
	v_add_f64_e64 v[3:4], v[3:4], -v[23:24]
	v_add_f64_e64 v[5:6], v[5:6], -v[25:26]
	s_cbranch_scc0 .LBB228_49
.LBB228_50:                             ;   in Loop: Header=BB228_48 Depth=2
	s_add_co_i32 s36, s21, -3
; %bb.51:                               ;   in Loop: Header=BB228_48 Depth=2
	s_lshl_b32 s38, s21, 4
	s_wait_alu 0xfffe
	s_add_co_i32 s37, s38, s37
	s_wait_alu 0xfffe
	v_mov_b32_e32 v11, s37
	ds_load_b128 v[23:26], v11
                                        ; implicit-def: $vgpr13_vgpr14
	s_wait_dscnt 0x0
	v_cmp_ngt_f64_e64 s38, |v[23:24]|, |v[25:26]|
	s_and_b32 vcc_lo, exec_lo, s38
	s_mov_b32 s38, -1
	s_wait_alu 0xfffe
	s_cbranch_vccz .LBB228_53
; %bb.52:                               ;   in Loop: Header=BB228_48 Depth=2
	v_div_scale_f64 v[11:12], null, v[25:26], v[25:26], v[23:24]
	v_div_scale_f64 v[44:45], vcc_lo, v[23:24], v[25:26], v[23:24]
	s_mov_b32 s38, 0
	v_rcp_f64_e32 v[13:14], v[11:12]
	s_delay_alu instid0(TRANS32_DEP_1) | instskip(NEXT) | instid1(VALU_DEP_1)
	v_fma_f64 v[42:43], -v[11:12], v[13:14], 1.0
	v_fma_f64 v[13:14], v[13:14], v[42:43], v[13:14]
	s_delay_alu instid0(VALU_DEP_1) | instskip(NEXT) | instid1(VALU_DEP_1)
	v_fma_f64 v[42:43], -v[11:12], v[13:14], 1.0
	v_fma_f64 v[13:14], v[13:14], v[42:43], v[13:14]
	s_delay_alu instid0(VALU_DEP_1) | instskip(NEXT) | instid1(VALU_DEP_1)
	v_mul_f64_e32 v[42:43], v[44:45], v[13:14]
	v_fma_f64 v[11:12], -v[11:12], v[42:43], v[44:45]
	s_wait_alu 0xfffd
	s_delay_alu instid0(VALU_DEP_1) | instskip(NEXT) | instid1(VALU_DEP_1)
	v_div_fmas_f64 v[11:12], v[11:12], v[13:14], v[42:43]
	v_div_fixup_f64 v[11:12], v[11:12], v[25:26], v[23:24]
	s_delay_alu instid0(VALU_DEP_1) | instskip(NEXT) | instid1(VALU_DEP_1)
	v_fma_f64 v[13:14], v[23:24], v[11:12], v[25:26]
	v_div_scale_f64 v[42:43], null, v[13:14], v[13:14], 1.0
	v_div_scale_f64 v[48:49], vcc_lo, 1.0, v[13:14], 1.0
	s_delay_alu instid0(VALU_DEP_2) | instskip(NEXT) | instid1(TRANS32_DEP_1)
	v_rcp_f64_e32 v[44:45], v[42:43]
	v_fma_f64 v[46:47], -v[42:43], v[44:45], 1.0
	s_delay_alu instid0(VALU_DEP_1) | instskip(NEXT) | instid1(VALU_DEP_1)
	v_fma_f64 v[44:45], v[44:45], v[46:47], v[44:45]
	v_fma_f64 v[46:47], -v[42:43], v[44:45], 1.0
	s_delay_alu instid0(VALU_DEP_1) | instskip(NEXT) | instid1(VALU_DEP_1)
	v_fma_f64 v[44:45], v[44:45], v[46:47], v[44:45]
	v_mul_f64_e32 v[46:47], v[48:49], v[44:45]
	s_delay_alu instid0(VALU_DEP_1) | instskip(SKIP_1) | instid1(VALU_DEP_1)
	v_fma_f64 v[42:43], -v[42:43], v[46:47], v[48:49]
	s_wait_alu 0xfffd
	v_div_fmas_f64 v[42:43], v[42:43], v[44:45], v[46:47]
	v_fma_f64 v[44:45], v[19:20], v[11:12], v[21:22]
	s_delay_alu instid0(VALU_DEP_2) | instskip(SKIP_1) | instid1(VALU_DEP_2)
	v_div_fixup_f64 v[13:14], v[42:43], v[13:14], 1.0
	v_fma_f64 v[42:43], v[21:22], v[11:12], -v[19:20]
	v_mul_f64_e32 v[11:12], v[44:45], v[13:14]
	s_delay_alu instid0(VALU_DEP_2)
	v_mul_f64_e32 v[13:14], v[42:43], v[13:14]
.LBB228_53:                             ;   in Loop: Header=BB228_48 Depth=2
	s_wait_alu 0xfffe
	s_and_not1_b32 vcc_lo, exec_lo, s38
	s_wait_alu 0xfffe
	s_cbranch_vccnz .LBB228_55
; %bb.54:                               ;   in Loop: Header=BB228_48 Depth=2
	v_div_scale_f64 v[11:12], null, v[23:24], v[23:24], v[25:26]
	v_div_scale_f64 v[44:45], vcc_lo, v[25:26], v[23:24], v[25:26]
	s_delay_alu instid0(VALU_DEP_2) | instskip(NEXT) | instid1(TRANS32_DEP_1)
	v_rcp_f64_e32 v[13:14], v[11:12]
	v_fma_f64 v[42:43], -v[11:12], v[13:14], 1.0
	s_delay_alu instid0(VALU_DEP_1) | instskip(NEXT) | instid1(VALU_DEP_1)
	v_fma_f64 v[13:14], v[13:14], v[42:43], v[13:14]
	v_fma_f64 v[42:43], -v[11:12], v[13:14], 1.0
	s_delay_alu instid0(VALU_DEP_1) | instskip(NEXT) | instid1(VALU_DEP_1)
	v_fma_f64 v[13:14], v[13:14], v[42:43], v[13:14]
	v_mul_f64_e32 v[42:43], v[44:45], v[13:14]
	s_delay_alu instid0(VALU_DEP_1) | instskip(SKIP_1) | instid1(VALU_DEP_1)
	v_fma_f64 v[11:12], -v[11:12], v[42:43], v[44:45]
	s_wait_alu 0xfffd
	v_div_fmas_f64 v[11:12], v[11:12], v[13:14], v[42:43]
	s_delay_alu instid0(VALU_DEP_1) | instskip(NEXT) | instid1(VALU_DEP_1)
	v_div_fixup_f64 v[11:12], v[11:12], v[23:24], v[25:26]
	v_fma_f64 v[13:14], v[25:26], v[11:12], v[23:24]
	s_delay_alu instid0(VALU_DEP_1) | instskip(SKIP_1) | instid1(VALU_DEP_2)
	v_div_scale_f64 v[23:24], null, v[13:14], v[13:14], 1.0
	v_div_scale_f64 v[44:45], vcc_lo, 1.0, v[13:14], 1.0
	v_rcp_f64_e32 v[25:26], v[23:24]
	s_delay_alu instid0(TRANS32_DEP_1) | instskip(NEXT) | instid1(VALU_DEP_1)
	v_fma_f64 v[42:43], -v[23:24], v[25:26], 1.0
	v_fma_f64 v[25:26], v[25:26], v[42:43], v[25:26]
	s_delay_alu instid0(VALU_DEP_1) | instskip(NEXT) | instid1(VALU_DEP_1)
	v_fma_f64 v[42:43], -v[23:24], v[25:26], 1.0
	v_fma_f64 v[25:26], v[25:26], v[42:43], v[25:26]
	s_delay_alu instid0(VALU_DEP_1) | instskip(NEXT) | instid1(VALU_DEP_1)
	v_mul_f64_e32 v[42:43], v[44:45], v[25:26]
	v_fma_f64 v[23:24], -v[23:24], v[42:43], v[44:45]
	s_wait_alu 0xfffd
	s_delay_alu instid0(VALU_DEP_1) | instskip(SKIP_2) | instid1(VALU_DEP_3)
	v_div_fmas_f64 v[23:24], v[23:24], v[25:26], v[42:43]
	v_fma_f64 v[25:26], v[21:22], v[11:12], v[19:20]
	v_fma_f64 v[19:20], -v[19:20], v[11:12], v[21:22]
	v_div_fixup_f64 v[13:14], v[23:24], v[13:14], 1.0
	s_delay_alu instid0(VALU_DEP_1) | instskip(NEXT) | instid1(VALU_DEP_3)
	v_mul_f64_e32 v[11:12], v[25:26], v[13:14]
	v_mul_f64_e32 v[13:14], v[19:20], v[13:14]
.LBB228_55:                             ;   in Loop: Header=BB228_48 Depth=2
	s_add_co_i32 s38, s37, -16
	s_add_co_i32 s39, s37, 0xfffffe70
	s_wait_alu 0xfffe
	v_mov_b32_e32 v19, s38
	ds_store_b128 v41, v[11:14]
	ds_load_b128 v[23:26], v19
	v_mov_b32_e32 v19, s39
	ds_load_b128 v[19:22], v19
	s_wait_dscnt 0x1
	v_mul_f64_e32 v[42:43], v[13:14], v[25:26]
	v_mul_f64_e32 v[25:26], v[11:12], v[25:26]
	s_wait_dscnt 0x0
	v_cmp_ngt_f64_e64 s38, |v[19:20]|, |v[21:22]|
	s_delay_alu instid0(VALU_DEP_3) | instskip(NEXT) | instid1(VALU_DEP_3)
	v_fma_f64 v[42:43], v[11:12], v[23:24], -v[42:43]
	v_fma_f64 v[25:26], v[13:14], v[23:24], v[25:26]
	s_and_b32 vcc_lo, exec_lo, s38
	s_mov_b32 s38, -1
	s_delay_alu instid0(VALU_DEP_2) | instskip(NEXT) | instid1(VALU_DEP_2)
	v_add_f64_e64 v[23:24], v[15:16], -v[42:43]
	v_add_f64_e64 v[25:26], v[17:18], -v[25:26]
                                        ; implicit-def: $vgpr17_vgpr18
	s_wait_alu 0xfffe
	s_cbranch_vccz .LBB228_57
; %bb.56:                               ;   in Loop: Header=BB228_48 Depth=2
	v_div_scale_f64 v[15:16], null, v[21:22], v[21:22], v[19:20]
	v_div_scale_f64 v[43:44], vcc_lo, v[19:20], v[21:22], v[19:20]
	s_mov_b32 s38, 0
	v_rcp_f64_e32 v[17:18], v[15:16]
	s_delay_alu instid0(TRANS32_DEP_1) | instskip(NEXT) | instid1(VALU_DEP_1)
	v_fma_f64 v[41:42], -v[15:16], v[17:18], 1.0
	v_fma_f64 v[17:18], v[17:18], v[41:42], v[17:18]
	s_delay_alu instid0(VALU_DEP_1) | instskip(NEXT) | instid1(VALU_DEP_1)
	v_fma_f64 v[41:42], -v[15:16], v[17:18], 1.0
	v_fma_f64 v[17:18], v[17:18], v[41:42], v[17:18]
	s_delay_alu instid0(VALU_DEP_1) | instskip(NEXT) | instid1(VALU_DEP_1)
	v_mul_f64_e32 v[41:42], v[43:44], v[17:18]
	v_fma_f64 v[15:16], -v[15:16], v[41:42], v[43:44]
	s_wait_alu 0xfffd
	s_delay_alu instid0(VALU_DEP_1) | instskip(NEXT) | instid1(VALU_DEP_1)
	v_div_fmas_f64 v[15:16], v[15:16], v[17:18], v[41:42]
	v_div_fixup_f64 v[15:16], v[15:16], v[21:22], v[19:20]
	s_delay_alu instid0(VALU_DEP_1) | instskip(NEXT) | instid1(VALU_DEP_1)
	v_fma_f64 v[17:18], v[19:20], v[15:16], v[21:22]
	v_div_scale_f64 v[41:42], null, v[17:18], v[17:18], 1.0
	v_div_scale_f64 v[47:48], vcc_lo, 1.0, v[17:18], 1.0
	s_delay_alu instid0(VALU_DEP_2) | instskip(NEXT) | instid1(TRANS32_DEP_1)
	v_rcp_f64_e32 v[43:44], v[41:42]
	v_fma_f64 v[45:46], -v[41:42], v[43:44], 1.0
	s_delay_alu instid0(VALU_DEP_1) | instskip(NEXT) | instid1(VALU_DEP_1)
	v_fma_f64 v[43:44], v[43:44], v[45:46], v[43:44]
	v_fma_f64 v[45:46], -v[41:42], v[43:44], 1.0
	s_delay_alu instid0(VALU_DEP_1) | instskip(NEXT) | instid1(VALU_DEP_1)
	v_fma_f64 v[43:44], v[43:44], v[45:46], v[43:44]
	v_mul_f64_e32 v[45:46], v[47:48], v[43:44]
	s_delay_alu instid0(VALU_DEP_1) | instskip(SKIP_1) | instid1(VALU_DEP_1)
	v_fma_f64 v[41:42], -v[41:42], v[45:46], v[47:48]
	s_wait_alu 0xfffd
	v_div_fmas_f64 v[41:42], v[41:42], v[43:44], v[45:46]
	v_fma_f64 v[43:44], v[15:16], v[23:24], v[25:26]
	s_delay_alu instid0(VALU_DEP_2) | instskip(SKIP_1) | instid1(VALU_DEP_2)
	v_div_fixup_f64 v[17:18], v[41:42], v[17:18], 1.0
	v_fma_f64 v[41:42], v[15:16], v[25:26], -v[23:24]
	v_mul_f64_e32 v[15:16], v[43:44], v[17:18]
	s_delay_alu instid0(VALU_DEP_2)
	v_mul_f64_e32 v[17:18], v[41:42], v[17:18]
.LBB228_57:                             ;   in Loop: Header=BB228_48 Depth=2
	s_wait_alu 0xfffe
	s_and_not1_b32 vcc_lo, exec_lo, s38
	s_wait_alu 0xfffe
	s_cbranch_vccnz .LBB228_59
; %bb.58:                               ;   in Loop: Header=BB228_48 Depth=2
	v_div_scale_f64 v[15:16], null, v[19:20], v[19:20], v[21:22]
	v_div_scale_f64 v[43:44], vcc_lo, v[21:22], v[19:20], v[21:22]
	s_delay_alu instid0(VALU_DEP_2) | instskip(NEXT) | instid1(TRANS32_DEP_1)
	v_rcp_f64_e32 v[17:18], v[15:16]
	v_fma_f64 v[41:42], -v[15:16], v[17:18], 1.0
	s_delay_alu instid0(VALU_DEP_1) | instskip(NEXT) | instid1(VALU_DEP_1)
	v_fma_f64 v[17:18], v[17:18], v[41:42], v[17:18]
	v_fma_f64 v[41:42], -v[15:16], v[17:18], 1.0
	s_delay_alu instid0(VALU_DEP_1) | instskip(NEXT) | instid1(VALU_DEP_1)
	v_fma_f64 v[17:18], v[17:18], v[41:42], v[17:18]
	v_mul_f64_e32 v[41:42], v[43:44], v[17:18]
	s_delay_alu instid0(VALU_DEP_1) | instskip(SKIP_1) | instid1(VALU_DEP_1)
	v_fma_f64 v[15:16], -v[15:16], v[41:42], v[43:44]
	s_wait_alu 0xfffd
	v_div_fmas_f64 v[15:16], v[15:16], v[17:18], v[41:42]
	s_delay_alu instid0(VALU_DEP_1) | instskip(NEXT) | instid1(VALU_DEP_1)
	v_div_fixup_f64 v[15:16], v[15:16], v[19:20], v[21:22]
	v_fma_f64 v[17:18], v[21:22], v[15:16], v[19:20]
	s_delay_alu instid0(VALU_DEP_1) | instskip(SKIP_1) | instid1(VALU_DEP_2)
	v_div_scale_f64 v[19:20], null, v[17:18], v[17:18], 1.0
	v_div_scale_f64 v[43:44], vcc_lo, 1.0, v[17:18], 1.0
	v_rcp_f64_e32 v[21:22], v[19:20]
	s_delay_alu instid0(TRANS32_DEP_1) | instskip(NEXT) | instid1(VALU_DEP_1)
	v_fma_f64 v[41:42], -v[19:20], v[21:22], 1.0
	v_fma_f64 v[21:22], v[21:22], v[41:42], v[21:22]
	s_delay_alu instid0(VALU_DEP_1) | instskip(NEXT) | instid1(VALU_DEP_1)
	v_fma_f64 v[41:42], -v[19:20], v[21:22], 1.0
	v_fma_f64 v[21:22], v[21:22], v[41:42], v[21:22]
	s_delay_alu instid0(VALU_DEP_1) | instskip(NEXT) | instid1(VALU_DEP_1)
	v_mul_f64_e32 v[41:42], v[43:44], v[21:22]
	v_fma_f64 v[19:20], -v[19:20], v[41:42], v[43:44]
	s_wait_alu 0xfffd
	s_delay_alu instid0(VALU_DEP_1) | instskip(SKIP_1) | instid1(VALU_DEP_2)
	v_div_fmas_f64 v[19:20], v[19:20], v[21:22], v[41:42]
	v_fma_f64 v[21:22], v[15:16], v[25:26], v[23:24]
	v_div_fixup_f64 v[17:18], v[19:20], v[17:18], 1.0
	v_fma_f64 v[19:20], -v[15:16], v[23:24], v[25:26]
	s_delay_alu instid0(VALU_DEP_2) | instskip(NEXT) | instid1(VALU_DEP_2)
	v_mul_f64_e32 v[15:16], v[21:22], v[17:18]
	v_mul_f64_e32 v[17:18], v[19:20], v[17:18]
.LBB228_59:                             ;   in Loop: Header=BB228_48 Depth=2
	s_sub_co_i32 s38, s37, 32
	s_add_co_i32 s40, s21, -2
	s_wait_alu 0xfffe
	v_mov_b32_e32 v19, s38
	s_add_co_i32 s38, s21, -1
	ds_store_b128 v40, v[15:18]
	s_wait_alu 0xfffe
	s_lshl_b32 s41, s38, 4
	s_lshl_b32 s38, s40, 4
	ds_load_b128 v[19:22], v19
	s_sub_co_i32 s40, s39, s41
	s_wait_alu 0xfffe
	s_add_co_i32 s39, s40, s38
	s_wait_alu 0xfffe
	v_mov_b32_e32 v23, s39
	s_add_co_i32 s39, s37, 0xfffffce0
	ds_load_b128 v[23:26], v23
	s_wait_dscnt 0x1
	v_mul_f64_e32 v[41:42], v[13:14], v[21:22]
	v_mul_f64_e32 v[21:22], v[11:12], v[21:22]
	s_wait_dscnt 0x0
	v_mul_f64_e32 v[43:44], v[17:18], v[25:26]
	v_mul_f64_e32 v[25:26], v[15:16], v[25:26]
	s_delay_alu instid0(VALU_DEP_4) | instskip(NEXT) | instid1(VALU_DEP_4)
	v_fma_f64 v[41:42], v[11:12], v[19:20], -v[41:42]
	v_fma_f64 v[19:20], v[13:14], v[19:20], v[21:22]
	s_delay_alu instid0(VALU_DEP_4) | instskip(NEXT) | instid1(VALU_DEP_4)
	v_fma_f64 v[43:44], v[15:16], v[23:24], -v[43:44]
	v_fma_f64 v[25:26], v[17:18], v[23:24], v[25:26]
	s_delay_alu instid0(VALU_DEP_4) | instskip(NEXT) | instid1(VALU_DEP_4)
	v_add_f64_e64 v[7:8], v[7:8], -v[41:42]
	v_add_f64_e64 v[9:10], v[9:10], -v[19:20]
	s_wait_alu 0xfffe
	v_mov_b32_e32 v19, s39
	ds_load_b128 v[19:22], v19
	s_wait_dscnt 0x0
	v_cmp_ngt_f64_e64 s41, |v[19:20]|, |v[21:22]|
	v_add_f64_e64 v[23:24], v[7:8], -v[43:44]
	v_add_f64_e64 v[25:26], v[9:10], -v[25:26]
                                        ; implicit-def: $vgpr9_vgpr10
	s_and_b32 vcc_lo, exec_lo, s41
	s_mov_b32 s41, -1
	s_wait_alu 0xfffe
	s_cbranch_vccz .LBB228_61
; %bb.60:                               ;   in Loop: Header=BB228_48 Depth=2
	v_div_scale_f64 v[7:8], null, v[21:22], v[21:22], v[19:20]
	v_div_scale_f64 v[42:43], vcc_lo, v[19:20], v[21:22], v[19:20]
	s_mov_b32 s41, 0
	v_rcp_f64_e32 v[9:10], v[7:8]
	s_delay_alu instid0(TRANS32_DEP_1) | instskip(NEXT) | instid1(VALU_DEP_1)
	v_fma_f64 v[40:41], -v[7:8], v[9:10], 1.0
	v_fma_f64 v[9:10], v[9:10], v[40:41], v[9:10]
	s_delay_alu instid0(VALU_DEP_1) | instskip(NEXT) | instid1(VALU_DEP_1)
	v_fma_f64 v[40:41], -v[7:8], v[9:10], 1.0
	v_fma_f64 v[9:10], v[9:10], v[40:41], v[9:10]
	s_delay_alu instid0(VALU_DEP_1) | instskip(NEXT) | instid1(VALU_DEP_1)
	v_mul_f64_e32 v[40:41], v[42:43], v[9:10]
	v_fma_f64 v[7:8], -v[7:8], v[40:41], v[42:43]
	s_wait_alu 0xfffd
	s_delay_alu instid0(VALU_DEP_1) | instskip(NEXT) | instid1(VALU_DEP_1)
	v_div_fmas_f64 v[7:8], v[7:8], v[9:10], v[40:41]
	v_div_fixup_f64 v[7:8], v[7:8], v[21:22], v[19:20]
	s_delay_alu instid0(VALU_DEP_1) | instskip(NEXT) | instid1(VALU_DEP_1)
	v_fma_f64 v[9:10], v[19:20], v[7:8], v[21:22]
	v_div_scale_f64 v[40:41], null, v[9:10], v[9:10], 1.0
	v_div_scale_f64 v[46:47], vcc_lo, 1.0, v[9:10], 1.0
	s_delay_alu instid0(VALU_DEP_2) | instskip(NEXT) | instid1(TRANS32_DEP_1)
	v_rcp_f64_e32 v[42:43], v[40:41]
	v_fma_f64 v[44:45], -v[40:41], v[42:43], 1.0
	s_delay_alu instid0(VALU_DEP_1) | instskip(NEXT) | instid1(VALU_DEP_1)
	v_fma_f64 v[42:43], v[42:43], v[44:45], v[42:43]
	v_fma_f64 v[44:45], -v[40:41], v[42:43], 1.0
	s_delay_alu instid0(VALU_DEP_1) | instskip(NEXT) | instid1(VALU_DEP_1)
	v_fma_f64 v[42:43], v[42:43], v[44:45], v[42:43]
	v_mul_f64_e32 v[44:45], v[46:47], v[42:43]
	s_delay_alu instid0(VALU_DEP_1) | instskip(SKIP_1) | instid1(VALU_DEP_1)
	v_fma_f64 v[40:41], -v[40:41], v[44:45], v[46:47]
	s_wait_alu 0xfffd
	v_div_fmas_f64 v[40:41], v[40:41], v[42:43], v[44:45]
	v_fma_f64 v[42:43], v[7:8], v[23:24], v[25:26]
	s_delay_alu instid0(VALU_DEP_2) | instskip(SKIP_1) | instid1(VALU_DEP_2)
	v_div_fixup_f64 v[9:10], v[40:41], v[9:10], 1.0
	v_fma_f64 v[40:41], v[7:8], v[25:26], -v[23:24]
	v_mul_f64_e32 v[7:8], v[42:43], v[9:10]
	s_delay_alu instid0(VALU_DEP_2)
	v_mul_f64_e32 v[9:10], v[40:41], v[9:10]
.LBB228_61:                             ;   in Loop: Header=BB228_48 Depth=2
	s_and_not1_b32 vcc_lo, exec_lo, s41
	s_wait_alu 0xfffe
	s_cbranch_vccnz .LBB228_63
; %bb.62:                               ;   in Loop: Header=BB228_48 Depth=2
	v_div_scale_f64 v[7:8], null, v[19:20], v[19:20], v[21:22]
	v_div_scale_f64 v[42:43], vcc_lo, v[21:22], v[19:20], v[21:22]
	s_delay_alu instid0(VALU_DEP_2) | instskip(NEXT) | instid1(TRANS32_DEP_1)
	v_rcp_f64_e32 v[9:10], v[7:8]
	v_fma_f64 v[40:41], -v[7:8], v[9:10], 1.0
	s_delay_alu instid0(VALU_DEP_1) | instskip(NEXT) | instid1(VALU_DEP_1)
	v_fma_f64 v[9:10], v[9:10], v[40:41], v[9:10]
	v_fma_f64 v[40:41], -v[7:8], v[9:10], 1.0
	s_delay_alu instid0(VALU_DEP_1) | instskip(NEXT) | instid1(VALU_DEP_1)
	v_fma_f64 v[9:10], v[9:10], v[40:41], v[9:10]
	v_mul_f64_e32 v[40:41], v[42:43], v[9:10]
	s_delay_alu instid0(VALU_DEP_1) | instskip(SKIP_1) | instid1(VALU_DEP_1)
	v_fma_f64 v[7:8], -v[7:8], v[40:41], v[42:43]
	s_wait_alu 0xfffd
	v_div_fmas_f64 v[7:8], v[7:8], v[9:10], v[40:41]
	s_delay_alu instid0(VALU_DEP_1) | instskip(NEXT) | instid1(VALU_DEP_1)
	v_div_fixup_f64 v[7:8], v[7:8], v[19:20], v[21:22]
	v_fma_f64 v[9:10], v[21:22], v[7:8], v[19:20]
	s_delay_alu instid0(VALU_DEP_1) | instskip(SKIP_1) | instid1(VALU_DEP_2)
	v_div_scale_f64 v[19:20], null, v[9:10], v[9:10], 1.0
	v_div_scale_f64 v[42:43], vcc_lo, 1.0, v[9:10], 1.0
	v_rcp_f64_e32 v[21:22], v[19:20]
	s_delay_alu instid0(TRANS32_DEP_1) | instskip(NEXT) | instid1(VALU_DEP_1)
	v_fma_f64 v[40:41], -v[19:20], v[21:22], 1.0
	v_fma_f64 v[21:22], v[21:22], v[40:41], v[21:22]
	s_delay_alu instid0(VALU_DEP_1) | instskip(NEXT) | instid1(VALU_DEP_1)
	v_fma_f64 v[40:41], -v[19:20], v[21:22], 1.0
	v_fma_f64 v[21:22], v[21:22], v[40:41], v[21:22]
	s_delay_alu instid0(VALU_DEP_1) | instskip(NEXT) | instid1(VALU_DEP_1)
	v_mul_f64_e32 v[40:41], v[42:43], v[21:22]
	v_fma_f64 v[19:20], -v[19:20], v[40:41], v[42:43]
	s_wait_alu 0xfffd
	s_delay_alu instid0(VALU_DEP_1) | instskip(SKIP_1) | instid1(VALU_DEP_2)
	v_div_fmas_f64 v[19:20], v[19:20], v[21:22], v[40:41]
	v_fma_f64 v[21:22], v[7:8], v[25:26], v[23:24]
	v_div_fixup_f64 v[9:10], v[19:20], v[9:10], 1.0
	v_fma_f64 v[19:20], -v[7:8], v[23:24], v[25:26]
	s_delay_alu instid0(VALU_DEP_2) | instskip(NEXT) | instid1(VALU_DEP_2)
	v_mul_f64_e32 v[7:8], v[21:22], v[9:10]
	v_mul_f64_e32 v[9:10], v[19:20], v[9:10]
.LBB228_63:                             ;   in Loop: Header=BB228_48 Depth=2
	s_sub_co_i32 s37, s37, 48
	s_lshl_b32 s36, s36, 4
	s_wait_alu 0xfffe
	v_mov_b32_e32 v19, s37
	s_add_co_i32 s37, s40, s36
	ds_store_b128 v31, v[7:10]
	s_wait_alu 0xfffe
	v_mov_b32_e32 v23, s37
	s_sub_co_i32 s37, s39, s38
	ds_load_b128 v[19:22], v19
	s_wait_alu 0xfffe
	s_add_co_i32 s36, s37, s36
	ds_load_b128 v[23:26], v23
	s_wait_dscnt 0x1
	v_mul_f64_e32 v[40:41], v[13:14], v[21:22]
	v_mul_f64_e32 v[21:22], v[11:12], v[21:22]
	s_delay_alu instid0(VALU_DEP_2) | instskip(SKIP_2) | instid1(VALU_DEP_3)
	v_fma_f64 v[40:41], v[11:12], v[19:20], -v[40:41]
	s_wait_alu 0xfffe
	v_mov_b32_e32 v11, s36
	v_fma_f64 v[44:45], v[13:14], v[19:20], v[21:22]
	s_add_co_i32 s36, s39, 0xfffffe70
	ds_load_b128 v[19:22], v11
	s_wait_dscnt 0x1
	v_mul_f64_e32 v[42:43], v[17:18], v[25:26]
	v_mul_f64_e32 v[25:26], v[15:16], v[25:26]
	s_wait_alu 0xfffe
	v_mov_b32_e32 v11, s36
	ds_load_b128 v[11:14], v11
	s_wait_dscnt 0x1
	v_mul_f64_e32 v[46:47], v[9:10], v[21:22]
	v_mul_f64_e32 v[21:22], v[7:8], v[21:22]
	s_wait_dscnt 0x0
	v_cmp_ngt_f64_e64 s36, |v[11:12]|, |v[13:14]|
	v_add_f64_e64 v[3:4], v[3:4], -v[40:41]
	v_add_f64_e64 v[5:6], v[5:6], -v[44:45]
	v_fma_f64 v[15:16], v[15:16], v[23:24], -v[42:43]
	v_fma_f64 v[17:18], v[17:18], v[23:24], v[25:26]
	v_fma_f64 v[23:24], v[7:8], v[19:20], -v[46:47]
	v_fma_f64 v[19:20], v[9:10], v[19:20], v[21:22]
	s_and_b32 vcc_lo, exec_lo, s36
	s_mov_b32 s36, -1
	s_delay_alu instid0(VALU_DEP_4) | instskip(NEXT) | instid1(VALU_DEP_4)
	v_add_f64_e64 v[3:4], v[3:4], -v[15:16]
	v_add_f64_e64 v[5:6], v[5:6], -v[17:18]
	s_delay_alu instid0(VALU_DEP_2) | instskip(NEXT) | instid1(VALU_DEP_2)
	v_add_f64_e64 v[15:16], v[3:4], -v[23:24]
	v_add_f64_e64 v[17:18], v[5:6], -v[19:20]
                                        ; implicit-def: $vgpr5_vgpr6
	s_wait_alu 0xfffe
	s_cbranch_vccz .LBB228_65
; %bb.64:                               ;   in Loop: Header=BB228_48 Depth=2
	v_div_scale_f64 v[3:4], null, v[13:14], v[13:14], v[11:12]
	v_div_scale_f64 v[9:10], vcc_lo, v[11:12], v[13:14], v[11:12]
	s_mov_b32 s36, 0
	v_rcp_f64_e32 v[5:6], v[3:4]
	s_delay_alu instid0(TRANS32_DEP_1) | instskip(NEXT) | instid1(VALU_DEP_1)
	v_fma_f64 v[7:8], -v[3:4], v[5:6], 1.0
	v_fma_f64 v[5:6], v[5:6], v[7:8], v[5:6]
	s_delay_alu instid0(VALU_DEP_1) | instskip(NEXT) | instid1(VALU_DEP_1)
	v_fma_f64 v[7:8], -v[3:4], v[5:6], 1.0
	v_fma_f64 v[5:6], v[5:6], v[7:8], v[5:6]
	s_delay_alu instid0(VALU_DEP_1) | instskip(NEXT) | instid1(VALU_DEP_1)
	v_mul_f64_e32 v[7:8], v[9:10], v[5:6]
	v_fma_f64 v[3:4], -v[3:4], v[7:8], v[9:10]
	s_wait_alu 0xfffd
	s_delay_alu instid0(VALU_DEP_1) | instskip(NEXT) | instid1(VALU_DEP_1)
	v_div_fmas_f64 v[3:4], v[3:4], v[5:6], v[7:8]
	v_div_fixup_f64 v[3:4], v[3:4], v[13:14], v[11:12]
	s_delay_alu instid0(VALU_DEP_1) | instskip(NEXT) | instid1(VALU_DEP_1)
	v_fma_f64 v[5:6], v[11:12], v[3:4], v[13:14]
	v_div_scale_f64 v[7:8], null, v[5:6], v[5:6], 1.0
	v_div_scale_f64 v[21:22], vcc_lo, 1.0, v[5:6], 1.0
	s_delay_alu instid0(VALU_DEP_2) | instskip(NEXT) | instid1(TRANS32_DEP_1)
	v_rcp_f64_e32 v[9:10], v[7:8]
	v_fma_f64 v[19:20], -v[7:8], v[9:10], 1.0
	s_delay_alu instid0(VALU_DEP_1) | instskip(NEXT) | instid1(VALU_DEP_1)
	v_fma_f64 v[9:10], v[9:10], v[19:20], v[9:10]
	v_fma_f64 v[19:20], -v[7:8], v[9:10], 1.0
	s_delay_alu instid0(VALU_DEP_1) | instskip(NEXT) | instid1(VALU_DEP_1)
	v_fma_f64 v[9:10], v[9:10], v[19:20], v[9:10]
	v_mul_f64_e32 v[19:20], v[21:22], v[9:10]
	s_delay_alu instid0(VALU_DEP_1) | instskip(SKIP_1) | instid1(VALU_DEP_1)
	v_fma_f64 v[7:8], -v[7:8], v[19:20], v[21:22]
	s_wait_alu 0xfffd
	v_div_fmas_f64 v[7:8], v[7:8], v[9:10], v[19:20]
	v_fma_f64 v[9:10], v[3:4], v[15:16], v[17:18]
	s_delay_alu instid0(VALU_DEP_2) | instskip(SKIP_1) | instid1(VALU_DEP_2)
	v_div_fixup_f64 v[5:6], v[7:8], v[5:6], 1.0
	v_fma_f64 v[7:8], v[3:4], v[17:18], -v[15:16]
	v_mul_f64_e32 v[3:4], v[9:10], v[5:6]
	s_delay_alu instid0(VALU_DEP_2)
	v_mul_f64_e32 v[5:6], v[7:8], v[5:6]
.LBB228_65:                             ;   in Loop: Header=BB228_48 Depth=2
	s_wait_alu 0xfffe
	s_and_not1_b32 vcc_lo, exec_lo, s36
	s_wait_alu 0xfffe
	s_cbranch_vccnz .LBB228_67
; %bb.66:                               ;   in Loop: Header=BB228_48 Depth=2
	v_div_scale_f64 v[3:4], null, v[11:12], v[11:12], v[13:14]
	v_div_scale_f64 v[9:10], vcc_lo, v[13:14], v[11:12], v[13:14]
	s_delay_alu instid0(VALU_DEP_2) | instskip(NEXT) | instid1(TRANS32_DEP_1)
	v_rcp_f64_e32 v[5:6], v[3:4]
	v_fma_f64 v[7:8], -v[3:4], v[5:6], 1.0
	s_delay_alu instid0(VALU_DEP_1) | instskip(NEXT) | instid1(VALU_DEP_1)
	v_fma_f64 v[5:6], v[5:6], v[7:8], v[5:6]
	v_fma_f64 v[7:8], -v[3:4], v[5:6], 1.0
	s_delay_alu instid0(VALU_DEP_1) | instskip(NEXT) | instid1(VALU_DEP_1)
	v_fma_f64 v[5:6], v[5:6], v[7:8], v[5:6]
	v_mul_f64_e32 v[7:8], v[9:10], v[5:6]
	s_delay_alu instid0(VALU_DEP_1) | instskip(SKIP_1) | instid1(VALU_DEP_1)
	v_fma_f64 v[3:4], -v[3:4], v[7:8], v[9:10]
	s_wait_alu 0xfffd
	v_div_fmas_f64 v[3:4], v[3:4], v[5:6], v[7:8]
	s_delay_alu instid0(VALU_DEP_1) | instskip(NEXT) | instid1(VALU_DEP_1)
	v_div_fixup_f64 v[3:4], v[3:4], v[11:12], v[13:14]
	v_fma_f64 v[5:6], v[13:14], v[3:4], v[11:12]
	s_delay_alu instid0(VALU_DEP_1) | instskip(SKIP_1) | instid1(VALU_DEP_2)
	v_div_scale_f64 v[7:8], null, v[5:6], v[5:6], 1.0
	v_div_scale_f64 v[13:14], vcc_lo, 1.0, v[5:6], 1.0
	v_rcp_f64_e32 v[9:10], v[7:8]
	s_delay_alu instid0(TRANS32_DEP_1) | instskip(NEXT) | instid1(VALU_DEP_1)
	v_fma_f64 v[11:12], -v[7:8], v[9:10], 1.0
	v_fma_f64 v[9:10], v[9:10], v[11:12], v[9:10]
	s_delay_alu instid0(VALU_DEP_1) | instskip(NEXT) | instid1(VALU_DEP_1)
	v_fma_f64 v[11:12], -v[7:8], v[9:10], 1.0
	v_fma_f64 v[9:10], v[9:10], v[11:12], v[9:10]
	s_delay_alu instid0(VALU_DEP_1) | instskip(NEXT) | instid1(VALU_DEP_1)
	v_mul_f64_e32 v[11:12], v[13:14], v[9:10]
	v_fma_f64 v[7:8], -v[7:8], v[11:12], v[13:14]
	s_wait_alu 0xfffd
	s_delay_alu instid0(VALU_DEP_1) | instskip(SKIP_1) | instid1(VALU_DEP_2)
	v_div_fmas_f64 v[7:8], v[7:8], v[9:10], v[11:12]
	v_fma_f64 v[9:10], v[3:4], v[17:18], v[15:16]
	v_div_fixup_f64 v[5:6], v[7:8], v[5:6], 1.0
	v_fma_f64 v[7:8], -v[3:4], v[15:16], v[17:18]
	s_delay_alu instid0(VALU_DEP_2) | instskip(NEXT) | instid1(VALU_DEP_2)
	v_mul_f64_e32 v[3:4], v[9:10], v[5:6]
	v_mul_f64_e32 v[5:6], v[7:8], v[5:6]
.LBB228_67:                             ;   in Loop: Header=BB228_48 Depth=2
	s_add_co_i32 s36, s21, -4
	s_sub_co_i32 s20, s20, 64
	s_cmp_lt_i32 s21, 7
	ds_store_b128 v30, v[3:6]
	s_cbranch_scc1 .LBB228_69
; %bb.68:                               ;   in Loop: Header=BB228_48 Depth=2
	s_wait_alu 0xfffe
	s_mov_b32 s21, s36
	s_branch .LBB228_48
.LBB228_69:                             ;   in Loop: Header=BB228_3 Depth=1
	s_wait_alu 0xfffe
	s_cmp_lt_i32 s36, 0
	s_cbranch_scc1 .LBB228_78
; %bb.70:                               ;   in Loop: Header=BB228_3 Depth=1
	s_lshl_b32 s20, s36, 4
	s_wait_alu 0xfffe
	s_add_co_i32 s20, s33, s20
	s_branch .LBB228_72
.LBB228_71:                             ;   in Loop: Header=BB228_72 Depth=2
	s_add_co_i32 s21, s36, -1
	s_add_co_i32 s20, s20, -16
	s_cmp_lt_i32 s36, 1
	s_wait_alu 0xfffe
	s_mov_b32 s36, s21
	ds_store_b128 v15, v[11:14]
	s_cbranch_scc1 .LBB228_78
.LBB228_72:                             ;   Parent Loop BB228_3 Depth=1
                                        ; =>  This Loop Header: Depth=2
                                        ;       Child Loop BB228_73 Depth 3
	s_wait_alu 0xfffe
	s_mul_i32 s21, s36, 0x180
	v_mov_b32_e32 v7, v38
	s_wait_alu 0xfffe
	v_add_nc_u32_e32 v15, s21, v27
	s_cmp_le_i32 s27, s36
	s_mov_b32 s37, s20
	s_mov_b32 s38, s27
	ds_load_b128 v[3:6], v15
	s_cbranch_scc1 .LBB228_74
.LBB228_73:                             ;   Parent Loop BB228_3 Depth=1
                                        ;     Parent Loop BB228_72 Depth=2
                                        ; =>    This Inner Loop Header: Depth=3
	s_wait_alu 0xfffe
	v_mov_b32_e32 v12, s37
	s_add_co_i32 s38, s38, -1
	s_addk_co_i32 s37, 0xfe80
	s_wait_alu 0xfffe
	s_cmp_le_i32 s38, s36
	ds_load_b128 v[8:11], v7
	ds_load_b128 v[16:19], v12
	v_add_nc_u32_e32 v7, 0xfffffe80, v7
	s_wait_dscnt 0x0
	v_mul_f64_e32 v[12:13], v[18:19], v[10:11]
	v_mul_f64_e32 v[10:11], v[16:17], v[10:11]
	s_delay_alu instid0(VALU_DEP_2) | instskip(NEXT) | instid1(VALU_DEP_2)
	v_fma_f64 v[12:13], v[16:17], v[8:9], -v[12:13]
	v_fma_f64 v[8:9], v[18:19], v[8:9], v[10:11]
	s_delay_alu instid0(VALU_DEP_2) | instskip(NEXT) | instid1(VALU_DEP_2)
	v_add_f64_e64 v[3:4], v[3:4], -v[12:13]
	v_add_f64_e64 v[5:6], v[5:6], -v[8:9]
	s_cbranch_scc0 .LBB228_73
.LBB228_74:                             ;   in Loop: Header=BB228_72 Depth=2
	s_lshl_b32 s37, s36, 4
                                        ; implicit-def: $vgpr11_vgpr12
	s_wait_alu 0xfffe
	s_add_co_i32 s21, s37, s21
	s_wait_alu 0xfffe
	v_mov_b32_e32 v7, s21
	ds_load_b128 v[7:10], v7
	s_wait_dscnt 0x0
	v_cmp_ngt_f64_e64 s21, |v[7:8]|, |v[9:10]|
	s_and_b32 vcc_lo, exec_lo, s21
	s_mov_b32 s21, -1
	s_wait_alu 0xfffe
	s_cbranch_vccz .LBB228_76
; %bb.75:                               ;   in Loop: Header=BB228_72 Depth=2
	v_div_scale_f64 v[11:12], null, v[9:10], v[9:10], v[7:8]
	v_div_scale_f64 v[18:19], vcc_lo, v[7:8], v[9:10], v[7:8]
	s_mov_b32 s21, 0
	v_rcp_f64_e32 v[13:14], v[11:12]
	s_delay_alu instid0(TRANS32_DEP_1) | instskip(NEXT) | instid1(VALU_DEP_1)
	v_fma_f64 v[16:17], -v[11:12], v[13:14], 1.0
	v_fma_f64 v[13:14], v[13:14], v[16:17], v[13:14]
	s_delay_alu instid0(VALU_DEP_1) | instskip(NEXT) | instid1(VALU_DEP_1)
	v_fma_f64 v[16:17], -v[11:12], v[13:14], 1.0
	v_fma_f64 v[13:14], v[13:14], v[16:17], v[13:14]
	s_delay_alu instid0(VALU_DEP_1) | instskip(NEXT) | instid1(VALU_DEP_1)
	v_mul_f64_e32 v[16:17], v[18:19], v[13:14]
	v_fma_f64 v[11:12], -v[11:12], v[16:17], v[18:19]
	s_wait_alu 0xfffd
	s_delay_alu instid0(VALU_DEP_1) | instskip(NEXT) | instid1(VALU_DEP_1)
	v_div_fmas_f64 v[11:12], v[11:12], v[13:14], v[16:17]
	v_div_fixup_f64 v[11:12], v[11:12], v[9:10], v[7:8]
	s_delay_alu instid0(VALU_DEP_1) | instskip(NEXT) | instid1(VALU_DEP_1)
	v_fma_f64 v[13:14], v[7:8], v[11:12], v[9:10]
	v_div_scale_f64 v[16:17], null, v[13:14], v[13:14], 1.0
	v_div_scale_f64 v[22:23], vcc_lo, 1.0, v[13:14], 1.0
	s_delay_alu instid0(VALU_DEP_2) | instskip(NEXT) | instid1(TRANS32_DEP_1)
	v_rcp_f64_e32 v[18:19], v[16:17]
	v_fma_f64 v[20:21], -v[16:17], v[18:19], 1.0
	s_delay_alu instid0(VALU_DEP_1) | instskip(NEXT) | instid1(VALU_DEP_1)
	v_fma_f64 v[18:19], v[18:19], v[20:21], v[18:19]
	v_fma_f64 v[20:21], -v[16:17], v[18:19], 1.0
	s_delay_alu instid0(VALU_DEP_1) | instskip(NEXT) | instid1(VALU_DEP_1)
	v_fma_f64 v[18:19], v[18:19], v[20:21], v[18:19]
	v_mul_f64_e32 v[20:21], v[22:23], v[18:19]
	s_delay_alu instid0(VALU_DEP_1) | instskip(SKIP_1) | instid1(VALU_DEP_1)
	v_fma_f64 v[16:17], -v[16:17], v[20:21], v[22:23]
	s_wait_alu 0xfffd
	v_div_fmas_f64 v[16:17], v[16:17], v[18:19], v[20:21]
	v_fma_f64 v[18:19], v[3:4], v[11:12], v[5:6]
	s_delay_alu instid0(VALU_DEP_2) | instskip(SKIP_1) | instid1(VALU_DEP_2)
	v_div_fixup_f64 v[13:14], v[16:17], v[13:14], 1.0
	v_fma_f64 v[16:17], v[5:6], v[11:12], -v[3:4]
	v_mul_f64_e32 v[11:12], v[18:19], v[13:14]
	s_delay_alu instid0(VALU_DEP_2)
	v_mul_f64_e32 v[13:14], v[16:17], v[13:14]
.LBB228_76:                             ;   in Loop: Header=BB228_72 Depth=2
	s_wait_alu 0xfffe
	s_and_not1_b32 vcc_lo, exec_lo, s21
	s_wait_alu 0xfffe
	s_cbranch_vccnz .LBB228_71
; %bb.77:                               ;   in Loop: Header=BB228_72 Depth=2
	v_div_scale_f64 v[11:12], null, v[7:8], v[7:8], v[9:10]
	v_div_scale_f64 v[18:19], vcc_lo, v[9:10], v[7:8], v[9:10]
	s_delay_alu instid0(VALU_DEP_2) | instskip(NEXT) | instid1(TRANS32_DEP_1)
	v_rcp_f64_e32 v[13:14], v[11:12]
	v_fma_f64 v[16:17], -v[11:12], v[13:14], 1.0
	s_delay_alu instid0(VALU_DEP_1) | instskip(NEXT) | instid1(VALU_DEP_1)
	v_fma_f64 v[13:14], v[13:14], v[16:17], v[13:14]
	v_fma_f64 v[16:17], -v[11:12], v[13:14], 1.0
	s_delay_alu instid0(VALU_DEP_1) | instskip(NEXT) | instid1(VALU_DEP_1)
	v_fma_f64 v[13:14], v[13:14], v[16:17], v[13:14]
	v_mul_f64_e32 v[16:17], v[18:19], v[13:14]
	s_delay_alu instid0(VALU_DEP_1) | instskip(SKIP_1) | instid1(VALU_DEP_1)
	v_fma_f64 v[11:12], -v[11:12], v[16:17], v[18:19]
	s_wait_alu 0xfffd
	v_div_fmas_f64 v[11:12], v[11:12], v[13:14], v[16:17]
	s_delay_alu instid0(VALU_DEP_1) | instskip(NEXT) | instid1(VALU_DEP_1)
	v_div_fixup_f64 v[11:12], v[11:12], v[7:8], v[9:10]
	v_fma_f64 v[7:8], v[9:10], v[11:12], v[7:8]
	s_delay_alu instid0(VALU_DEP_1) | instskip(SKIP_1) | instid1(VALU_DEP_2)
	v_div_scale_f64 v[9:10], null, v[7:8], v[7:8], 1.0
	v_div_scale_f64 v[18:19], vcc_lo, 1.0, v[7:8], 1.0
	v_rcp_f64_e32 v[13:14], v[9:10]
	s_delay_alu instid0(TRANS32_DEP_1) | instskip(NEXT) | instid1(VALU_DEP_1)
	v_fma_f64 v[16:17], -v[9:10], v[13:14], 1.0
	v_fma_f64 v[13:14], v[13:14], v[16:17], v[13:14]
	s_delay_alu instid0(VALU_DEP_1) | instskip(NEXT) | instid1(VALU_DEP_1)
	v_fma_f64 v[16:17], -v[9:10], v[13:14], 1.0
	v_fma_f64 v[13:14], v[13:14], v[16:17], v[13:14]
	s_delay_alu instid0(VALU_DEP_1) | instskip(NEXT) | instid1(VALU_DEP_1)
	v_mul_f64_e32 v[16:17], v[18:19], v[13:14]
	v_fma_f64 v[9:10], -v[9:10], v[16:17], v[18:19]
	s_wait_alu 0xfffd
	s_delay_alu instid0(VALU_DEP_1) | instskip(SKIP_2) | instid1(VALU_DEP_3)
	v_div_fmas_f64 v[9:10], v[9:10], v[13:14], v[16:17]
	v_fma_f64 v[13:14], v[5:6], v[11:12], v[3:4]
	v_fma_f64 v[3:4], -v[3:4], v[11:12], v[5:6]
	v_div_fixup_f64 v[7:8], v[9:10], v[7:8], 1.0
	s_delay_alu instid0(VALU_DEP_1) | instskip(NEXT) | instid1(VALU_DEP_3)
	v_mul_f64_e32 v[11:12], v[13:14], v[7:8]
	v_mul_f64_e32 v[13:14], v[3:4], v[7:8]
	s_branch .LBB228_71
.LBB228_78:                             ;   in Loop: Header=BB228_3 Depth=1
	s_mov_b32 s20, 0
.LBB228_79:                             ;   in Loop: Header=BB228_3 Depth=1
	s_wait_alu 0xfffe
	s_and_not1_b32 vcc_lo, exec_lo, s20
	s_wait_alu 0xfffe
	s_cbranch_vccnz .LBB228_110
; %bb.80:                               ;   in Loop: Header=BB228_3 Depth=1
	s_mov_b32 s36, s27
	s_and_not1_b32 vcc_lo, exec_lo, s22
	s_mov_b32 s20, s34
	s_mov_b32 s21, s27
	s_wait_alu 0xfffe
	s_cbranch_vccnz .LBB228_101
.LBB228_81:                             ;   Parent Loop BB228_3 Depth=1
                                        ; =>  This Loop Header: Depth=2
                                        ;       Child Loop BB228_82 Depth 3
	s_wait_alu 0xfffe
	s_mul_i32 s36, s21, 24
	s_cmp_le_i32 s27, s21
	s_wait_alu 0xfffe
	v_lshl_add_u32 v41, s36, 4, v27
	s_mov_b32 s37, s20
	s_mov_b32 s38, s27
	s_delay_alu instid0(VALU_DEP_1)
	v_dual_mov_b32 v11, v38 :: v_dual_add_nc_u32 v40, 0xfffffe80, v41
	v_add_nc_u32_e32 v31, 0xfffffd00, v41
	v_add_nc_u32_e32 v30, 0xfffffb80, v41
	ds_load_b128 v[19:22], v41
	ds_load_b128 v[15:18], v40
	;; [unrolled: 1-line block ×4, first 2 shown]
	s_cbranch_scc1 .LBB228_83
.LBB228_82:                             ;   Parent Loop BB228_3 Depth=1
                                        ;     Parent Loop BB228_81 Depth=2
                                        ; =>    This Inner Loop Header: Depth=3
	s_wait_alu 0xfffe
	v_mov_b32_e32 v12, s37
	s_add_co_i32 s38, s38, -1
	s_add_co_i32 s37, s37, -16
	s_wait_alu 0xfffe
	s_cmp_le_i32 s38, s21
	ds_load_b128 v[23:26], v11
	ds_load_b128 v[42:45], v12 offset:1152
	ds_load_b128 v[46:49], v12 offset:768
	;; [unrolled: 1-line block ×3, first 2 shown]
	ds_load_b128 v[54:57], v12
	v_add_nc_u32_e32 v11, 0xfffffe80, v11
	s_wait_dscnt 0x3
	v_mul_f64_e32 v[12:13], v[25:26], v[44:45]
	v_mul_f64_e32 v[44:45], v[23:24], v[44:45]
	s_wait_dscnt 0x2
	v_mul_f64_e32 v[58:59], v[25:26], v[48:49]
	v_mul_f64_e32 v[48:49], v[23:24], v[48:49]
	;; [unrolled: 3-line block ×4, first 2 shown]
	v_fma_f64 v[12:13], v[23:24], v[42:43], -v[12:13]
	v_fma_f64 v[42:43], v[25:26], v[42:43], v[44:45]
	v_fma_f64 v[44:45], v[23:24], v[46:47], -v[58:59]
	v_fma_f64 v[46:47], v[25:26], v[46:47], v[48:49]
	;; [unrolled: 2-line block ×4, first 2 shown]
	v_add_f64_e64 v[19:20], v[19:20], -v[12:13]
	v_add_f64_e64 v[21:22], v[21:22], -v[42:43]
	;; [unrolled: 1-line block ×8, first 2 shown]
	s_cbranch_scc0 .LBB228_82
.LBB228_83:                             ;   in Loop: Header=BB228_81 Depth=2
	s_mul_i32 s37, s21, 0x190
	s_wait_alu 0xfffe
	v_mov_b32_e32 v11, s37
	ds_load_b128 v[23:26], v11
                                        ; implicit-def: $vgpr13_vgpr14
	s_wait_dscnt 0x0
	v_cmp_ngt_f64_e64 s37, |v[23:24]|, |v[25:26]|
	s_and_b32 vcc_lo, exec_lo, s37
	s_mov_b32 s37, -1
	s_wait_alu 0xfffe
	s_cbranch_vccz .LBB228_85
; %bb.84:                               ;   in Loop: Header=BB228_81 Depth=2
	v_div_scale_f64 v[11:12], null, v[25:26], v[25:26], v[23:24]
	v_div_scale_f64 v[44:45], vcc_lo, v[23:24], v[25:26], v[23:24]
	s_mov_b32 s37, 0
	v_rcp_f64_e32 v[13:14], v[11:12]
	s_delay_alu instid0(TRANS32_DEP_1) | instskip(NEXT) | instid1(VALU_DEP_1)
	v_fma_f64 v[42:43], -v[11:12], v[13:14], 1.0
	v_fma_f64 v[13:14], v[13:14], v[42:43], v[13:14]
	s_delay_alu instid0(VALU_DEP_1) | instskip(NEXT) | instid1(VALU_DEP_1)
	v_fma_f64 v[42:43], -v[11:12], v[13:14], 1.0
	v_fma_f64 v[13:14], v[13:14], v[42:43], v[13:14]
	s_delay_alu instid0(VALU_DEP_1) | instskip(NEXT) | instid1(VALU_DEP_1)
	v_mul_f64_e32 v[42:43], v[44:45], v[13:14]
	v_fma_f64 v[11:12], -v[11:12], v[42:43], v[44:45]
	s_wait_alu 0xfffd
	s_delay_alu instid0(VALU_DEP_1) | instskip(NEXT) | instid1(VALU_DEP_1)
	v_div_fmas_f64 v[11:12], v[11:12], v[13:14], v[42:43]
	v_div_fixup_f64 v[11:12], v[11:12], v[25:26], v[23:24]
	s_delay_alu instid0(VALU_DEP_1) | instskip(NEXT) | instid1(VALU_DEP_1)
	v_fma_f64 v[13:14], v[23:24], v[11:12], v[25:26]
	v_div_scale_f64 v[42:43], null, v[13:14], v[13:14], 1.0
	v_div_scale_f64 v[48:49], vcc_lo, 1.0, v[13:14], 1.0
	s_delay_alu instid0(VALU_DEP_2) | instskip(NEXT) | instid1(TRANS32_DEP_1)
	v_rcp_f64_e32 v[44:45], v[42:43]
	v_fma_f64 v[46:47], -v[42:43], v[44:45], 1.0
	s_delay_alu instid0(VALU_DEP_1) | instskip(NEXT) | instid1(VALU_DEP_1)
	v_fma_f64 v[44:45], v[44:45], v[46:47], v[44:45]
	v_fma_f64 v[46:47], -v[42:43], v[44:45], 1.0
	s_delay_alu instid0(VALU_DEP_1) | instskip(NEXT) | instid1(VALU_DEP_1)
	v_fma_f64 v[44:45], v[44:45], v[46:47], v[44:45]
	v_mul_f64_e32 v[46:47], v[48:49], v[44:45]
	s_delay_alu instid0(VALU_DEP_1) | instskip(SKIP_1) | instid1(VALU_DEP_1)
	v_fma_f64 v[42:43], -v[42:43], v[46:47], v[48:49]
	s_wait_alu 0xfffd
	v_div_fmas_f64 v[42:43], v[42:43], v[44:45], v[46:47]
	v_fma_f64 v[44:45], v[19:20], v[11:12], v[21:22]
	s_delay_alu instid0(VALU_DEP_2) | instskip(SKIP_1) | instid1(VALU_DEP_2)
	v_div_fixup_f64 v[13:14], v[42:43], v[13:14], 1.0
	v_fma_f64 v[42:43], v[21:22], v[11:12], -v[19:20]
	v_mul_f64_e32 v[11:12], v[44:45], v[13:14]
	s_delay_alu instid0(VALU_DEP_2)
	v_mul_f64_e32 v[13:14], v[42:43], v[13:14]
.LBB228_85:                             ;   in Loop: Header=BB228_81 Depth=2
	s_wait_alu 0xfffe
	s_and_not1_b32 vcc_lo, exec_lo, s37
	s_wait_alu 0xfffe
	s_cbranch_vccnz .LBB228_87
; %bb.86:                               ;   in Loop: Header=BB228_81 Depth=2
	v_div_scale_f64 v[11:12], null, v[23:24], v[23:24], v[25:26]
	v_div_scale_f64 v[44:45], vcc_lo, v[25:26], v[23:24], v[25:26]
	s_delay_alu instid0(VALU_DEP_2) | instskip(NEXT) | instid1(TRANS32_DEP_1)
	v_rcp_f64_e32 v[13:14], v[11:12]
	v_fma_f64 v[42:43], -v[11:12], v[13:14], 1.0
	s_delay_alu instid0(VALU_DEP_1) | instskip(NEXT) | instid1(VALU_DEP_1)
	v_fma_f64 v[13:14], v[13:14], v[42:43], v[13:14]
	v_fma_f64 v[42:43], -v[11:12], v[13:14], 1.0
	s_delay_alu instid0(VALU_DEP_1) | instskip(NEXT) | instid1(VALU_DEP_1)
	v_fma_f64 v[13:14], v[13:14], v[42:43], v[13:14]
	v_mul_f64_e32 v[42:43], v[44:45], v[13:14]
	s_delay_alu instid0(VALU_DEP_1) | instskip(SKIP_1) | instid1(VALU_DEP_1)
	v_fma_f64 v[11:12], -v[11:12], v[42:43], v[44:45]
	s_wait_alu 0xfffd
	v_div_fmas_f64 v[11:12], v[11:12], v[13:14], v[42:43]
	s_delay_alu instid0(VALU_DEP_1) | instskip(NEXT) | instid1(VALU_DEP_1)
	v_div_fixup_f64 v[11:12], v[11:12], v[23:24], v[25:26]
	v_fma_f64 v[13:14], v[25:26], v[11:12], v[23:24]
	s_delay_alu instid0(VALU_DEP_1) | instskip(SKIP_1) | instid1(VALU_DEP_2)
	v_div_scale_f64 v[23:24], null, v[13:14], v[13:14], 1.0
	v_div_scale_f64 v[44:45], vcc_lo, 1.0, v[13:14], 1.0
	v_rcp_f64_e32 v[25:26], v[23:24]
	s_delay_alu instid0(TRANS32_DEP_1) | instskip(NEXT) | instid1(VALU_DEP_1)
	v_fma_f64 v[42:43], -v[23:24], v[25:26], 1.0
	v_fma_f64 v[25:26], v[25:26], v[42:43], v[25:26]
	s_delay_alu instid0(VALU_DEP_1) | instskip(NEXT) | instid1(VALU_DEP_1)
	v_fma_f64 v[42:43], -v[23:24], v[25:26], 1.0
	v_fma_f64 v[25:26], v[25:26], v[42:43], v[25:26]
	s_delay_alu instid0(VALU_DEP_1) | instskip(NEXT) | instid1(VALU_DEP_1)
	v_mul_f64_e32 v[42:43], v[44:45], v[25:26]
	v_fma_f64 v[23:24], -v[23:24], v[42:43], v[44:45]
	s_wait_alu 0xfffd
	s_delay_alu instid0(VALU_DEP_1) | instskip(SKIP_2) | instid1(VALU_DEP_3)
	v_div_fmas_f64 v[23:24], v[23:24], v[25:26], v[42:43]
	v_fma_f64 v[25:26], v[21:22], v[11:12], v[19:20]
	v_fma_f64 v[19:20], -v[19:20], v[11:12], v[21:22]
	v_div_fixup_f64 v[13:14], v[23:24], v[13:14], 1.0
	s_delay_alu instid0(VALU_DEP_1) | instskip(NEXT) | instid1(VALU_DEP_3)
	v_mul_f64_e32 v[11:12], v[25:26], v[13:14]
	v_mul_f64_e32 v[13:14], v[19:20], v[13:14]
.LBB228_87:                             ;   in Loop: Header=BB228_81 Depth=2
	s_lshl_b32 s37, s36, 4
	s_lshl_b32 s36, s21, 4
	s_wait_alu 0xfffe
	s_addk_co_i32 s37, 0xfe80
	ds_store_b128 v41, v[11:14]
	s_wait_alu 0xfffe
	s_add_co_i32 s38, s37, s36
	s_wait_alu 0xfffe
	v_mov_b32_e32 v19, s38
	s_add_co_i32 s38, s38, -16
	ds_load_b128 v[23:26], v19
	s_wait_alu 0xfffe
	v_mov_b32_e32 v19, s38
	ds_load_b128 v[19:22], v19
	s_wait_dscnt 0x1
	v_mul_f64_e32 v[42:43], v[13:14], v[25:26]
	v_mul_f64_e32 v[25:26], v[11:12], v[25:26]
	s_wait_dscnt 0x0
	v_cmp_ngt_f64_e64 s38, |v[19:20]|, |v[21:22]|
	s_delay_alu instid0(VALU_DEP_3) | instskip(NEXT) | instid1(VALU_DEP_3)
	v_fma_f64 v[42:43], v[11:12], v[23:24], -v[42:43]
	v_fma_f64 v[25:26], v[13:14], v[23:24], v[25:26]
	s_and_b32 vcc_lo, exec_lo, s38
	s_mov_b32 s38, -1
	s_delay_alu instid0(VALU_DEP_2) | instskip(NEXT) | instid1(VALU_DEP_2)
	v_add_f64_e64 v[23:24], v[15:16], -v[42:43]
	v_add_f64_e64 v[25:26], v[17:18], -v[25:26]
                                        ; implicit-def: $vgpr17_vgpr18
	s_wait_alu 0xfffe
	s_cbranch_vccz .LBB228_89
; %bb.88:                               ;   in Loop: Header=BB228_81 Depth=2
	v_div_scale_f64 v[15:16], null, v[21:22], v[21:22], v[19:20]
	v_div_scale_f64 v[43:44], vcc_lo, v[19:20], v[21:22], v[19:20]
	s_mov_b32 s38, 0
	v_rcp_f64_e32 v[17:18], v[15:16]
	s_delay_alu instid0(TRANS32_DEP_1) | instskip(NEXT) | instid1(VALU_DEP_1)
	v_fma_f64 v[41:42], -v[15:16], v[17:18], 1.0
	v_fma_f64 v[17:18], v[17:18], v[41:42], v[17:18]
	s_delay_alu instid0(VALU_DEP_1) | instskip(NEXT) | instid1(VALU_DEP_1)
	v_fma_f64 v[41:42], -v[15:16], v[17:18], 1.0
	v_fma_f64 v[17:18], v[17:18], v[41:42], v[17:18]
	s_delay_alu instid0(VALU_DEP_1) | instskip(NEXT) | instid1(VALU_DEP_1)
	v_mul_f64_e32 v[41:42], v[43:44], v[17:18]
	v_fma_f64 v[15:16], -v[15:16], v[41:42], v[43:44]
	s_wait_alu 0xfffd
	s_delay_alu instid0(VALU_DEP_1) | instskip(NEXT) | instid1(VALU_DEP_1)
	v_div_fmas_f64 v[15:16], v[15:16], v[17:18], v[41:42]
	v_div_fixup_f64 v[15:16], v[15:16], v[21:22], v[19:20]
	s_delay_alu instid0(VALU_DEP_1) | instskip(NEXT) | instid1(VALU_DEP_1)
	v_fma_f64 v[17:18], v[19:20], v[15:16], v[21:22]
	v_div_scale_f64 v[41:42], null, v[17:18], v[17:18], 1.0
	v_div_scale_f64 v[47:48], vcc_lo, 1.0, v[17:18], 1.0
	s_delay_alu instid0(VALU_DEP_2) | instskip(NEXT) | instid1(TRANS32_DEP_1)
	v_rcp_f64_e32 v[43:44], v[41:42]
	v_fma_f64 v[45:46], -v[41:42], v[43:44], 1.0
	s_delay_alu instid0(VALU_DEP_1) | instskip(NEXT) | instid1(VALU_DEP_1)
	v_fma_f64 v[43:44], v[43:44], v[45:46], v[43:44]
	v_fma_f64 v[45:46], -v[41:42], v[43:44], 1.0
	s_delay_alu instid0(VALU_DEP_1) | instskip(NEXT) | instid1(VALU_DEP_1)
	v_fma_f64 v[43:44], v[43:44], v[45:46], v[43:44]
	v_mul_f64_e32 v[45:46], v[47:48], v[43:44]
	s_delay_alu instid0(VALU_DEP_1) | instskip(SKIP_1) | instid1(VALU_DEP_1)
	v_fma_f64 v[41:42], -v[41:42], v[45:46], v[47:48]
	s_wait_alu 0xfffd
	v_div_fmas_f64 v[41:42], v[41:42], v[43:44], v[45:46]
	v_fma_f64 v[43:44], v[15:16], v[23:24], v[25:26]
	s_delay_alu instid0(VALU_DEP_2) | instskip(SKIP_1) | instid1(VALU_DEP_2)
	v_div_fixup_f64 v[17:18], v[41:42], v[17:18], 1.0
	v_fma_f64 v[41:42], v[15:16], v[25:26], -v[23:24]
	v_mul_f64_e32 v[15:16], v[43:44], v[17:18]
	s_delay_alu instid0(VALU_DEP_2)
	v_mul_f64_e32 v[17:18], v[41:42], v[17:18]
.LBB228_89:                             ;   in Loop: Header=BB228_81 Depth=2
	s_wait_alu 0xfffe
	s_and_not1_b32 vcc_lo, exec_lo, s38
	s_wait_alu 0xfffe
	s_cbranch_vccnz .LBB228_91
; %bb.90:                               ;   in Loop: Header=BB228_81 Depth=2
	v_div_scale_f64 v[15:16], null, v[19:20], v[19:20], v[21:22]
	v_div_scale_f64 v[43:44], vcc_lo, v[21:22], v[19:20], v[21:22]
	s_delay_alu instid0(VALU_DEP_2) | instskip(NEXT) | instid1(TRANS32_DEP_1)
	v_rcp_f64_e32 v[17:18], v[15:16]
	v_fma_f64 v[41:42], -v[15:16], v[17:18], 1.0
	s_delay_alu instid0(VALU_DEP_1) | instskip(NEXT) | instid1(VALU_DEP_1)
	v_fma_f64 v[17:18], v[17:18], v[41:42], v[17:18]
	v_fma_f64 v[41:42], -v[15:16], v[17:18], 1.0
	s_delay_alu instid0(VALU_DEP_1) | instskip(NEXT) | instid1(VALU_DEP_1)
	v_fma_f64 v[17:18], v[17:18], v[41:42], v[17:18]
	v_mul_f64_e32 v[41:42], v[43:44], v[17:18]
	s_delay_alu instid0(VALU_DEP_1) | instskip(SKIP_1) | instid1(VALU_DEP_1)
	v_fma_f64 v[15:16], -v[15:16], v[41:42], v[43:44]
	s_wait_alu 0xfffd
	v_div_fmas_f64 v[15:16], v[15:16], v[17:18], v[41:42]
	s_delay_alu instid0(VALU_DEP_1) | instskip(NEXT) | instid1(VALU_DEP_1)
	v_div_fixup_f64 v[15:16], v[15:16], v[19:20], v[21:22]
	v_fma_f64 v[17:18], v[21:22], v[15:16], v[19:20]
	s_delay_alu instid0(VALU_DEP_1) | instskip(SKIP_1) | instid1(VALU_DEP_2)
	v_div_scale_f64 v[19:20], null, v[17:18], v[17:18], 1.0
	v_div_scale_f64 v[43:44], vcc_lo, 1.0, v[17:18], 1.0
	v_rcp_f64_e32 v[21:22], v[19:20]
	s_delay_alu instid0(TRANS32_DEP_1) | instskip(NEXT) | instid1(VALU_DEP_1)
	v_fma_f64 v[41:42], -v[19:20], v[21:22], 1.0
	v_fma_f64 v[21:22], v[21:22], v[41:42], v[21:22]
	s_delay_alu instid0(VALU_DEP_1) | instskip(NEXT) | instid1(VALU_DEP_1)
	v_fma_f64 v[41:42], -v[19:20], v[21:22], 1.0
	v_fma_f64 v[21:22], v[21:22], v[41:42], v[21:22]
	s_delay_alu instid0(VALU_DEP_1) | instskip(NEXT) | instid1(VALU_DEP_1)
	v_mul_f64_e32 v[41:42], v[43:44], v[21:22]
	v_fma_f64 v[19:20], -v[19:20], v[41:42], v[43:44]
	s_wait_alu 0xfffd
	s_delay_alu instid0(VALU_DEP_1) | instskip(SKIP_1) | instid1(VALU_DEP_2)
	v_div_fmas_f64 v[19:20], v[19:20], v[21:22], v[41:42]
	v_fma_f64 v[21:22], v[15:16], v[25:26], v[23:24]
	v_div_fixup_f64 v[17:18], v[19:20], v[17:18], 1.0
	v_fma_f64 v[19:20], -v[15:16], v[23:24], v[25:26]
	s_delay_alu instid0(VALU_DEP_2) | instskip(NEXT) | instid1(VALU_DEP_2)
	v_mul_f64_e32 v[15:16], v[21:22], v[17:18]
	v_mul_f64_e32 v[17:18], v[19:20], v[17:18]
.LBB228_91:                             ;   in Loop: Header=BB228_81 Depth=2
	s_addk_co_i32 s37, 0xfe80
	ds_store_b128 v40, v[15:18]
	s_wait_alu 0xfffe
	s_add_co_i32 s36, s37, s36
	s_wait_alu 0xfffe
	v_mov_b32_e32 v19, s36
	s_add_co_i32 s37, s36, -16
	s_wait_alu 0xfffe
	v_mov_b32_e32 v23, s37
	s_sub_co_i32 s37, s36, 32
	ds_load_b128 v[19:22], v19
	ds_load_b128 v[23:26], v23
	s_wait_dscnt 0x1
	v_mul_f64_e32 v[41:42], v[13:14], v[21:22]
	v_mul_f64_e32 v[21:22], v[11:12], v[21:22]
	s_wait_dscnt 0x0
	v_mul_f64_e32 v[43:44], v[17:18], v[25:26]
	v_mul_f64_e32 v[25:26], v[15:16], v[25:26]
	s_delay_alu instid0(VALU_DEP_4) | instskip(NEXT) | instid1(VALU_DEP_4)
	v_fma_f64 v[41:42], v[11:12], v[19:20], -v[41:42]
	v_fma_f64 v[19:20], v[13:14], v[19:20], v[21:22]
	s_delay_alu instid0(VALU_DEP_4) | instskip(NEXT) | instid1(VALU_DEP_4)
	v_fma_f64 v[43:44], v[15:16], v[23:24], -v[43:44]
	v_fma_f64 v[25:26], v[17:18], v[23:24], v[25:26]
	s_delay_alu instid0(VALU_DEP_4) | instskip(NEXT) | instid1(VALU_DEP_4)
	v_add_f64_e64 v[7:8], v[7:8], -v[41:42]
	v_add_f64_e64 v[9:10], v[9:10], -v[19:20]
	s_wait_alu 0xfffe
	v_mov_b32_e32 v19, s37
	ds_load_b128 v[19:22], v19
	s_wait_dscnt 0x0
	v_cmp_ngt_f64_e64 s37, |v[19:20]|, |v[21:22]|
	v_add_f64_e64 v[23:24], v[7:8], -v[43:44]
	v_add_f64_e64 v[25:26], v[9:10], -v[25:26]
                                        ; implicit-def: $vgpr9_vgpr10
	s_and_b32 vcc_lo, exec_lo, s37
	s_mov_b32 s37, -1
	s_wait_alu 0xfffe
	s_cbranch_vccz .LBB228_93
; %bb.92:                               ;   in Loop: Header=BB228_81 Depth=2
	v_div_scale_f64 v[7:8], null, v[21:22], v[21:22], v[19:20]
	v_div_scale_f64 v[42:43], vcc_lo, v[19:20], v[21:22], v[19:20]
	s_mov_b32 s37, 0
	v_rcp_f64_e32 v[9:10], v[7:8]
	s_delay_alu instid0(TRANS32_DEP_1) | instskip(NEXT) | instid1(VALU_DEP_1)
	v_fma_f64 v[40:41], -v[7:8], v[9:10], 1.0
	v_fma_f64 v[9:10], v[9:10], v[40:41], v[9:10]
	s_delay_alu instid0(VALU_DEP_1) | instskip(NEXT) | instid1(VALU_DEP_1)
	v_fma_f64 v[40:41], -v[7:8], v[9:10], 1.0
	v_fma_f64 v[9:10], v[9:10], v[40:41], v[9:10]
	s_delay_alu instid0(VALU_DEP_1) | instskip(NEXT) | instid1(VALU_DEP_1)
	v_mul_f64_e32 v[40:41], v[42:43], v[9:10]
	v_fma_f64 v[7:8], -v[7:8], v[40:41], v[42:43]
	s_wait_alu 0xfffd
	s_delay_alu instid0(VALU_DEP_1) | instskip(NEXT) | instid1(VALU_DEP_1)
	v_div_fmas_f64 v[7:8], v[7:8], v[9:10], v[40:41]
	v_div_fixup_f64 v[7:8], v[7:8], v[21:22], v[19:20]
	s_delay_alu instid0(VALU_DEP_1) | instskip(NEXT) | instid1(VALU_DEP_1)
	v_fma_f64 v[9:10], v[19:20], v[7:8], v[21:22]
	v_div_scale_f64 v[40:41], null, v[9:10], v[9:10], 1.0
	v_div_scale_f64 v[46:47], vcc_lo, 1.0, v[9:10], 1.0
	s_delay_alu instid0(VALU_DEP_2) | instskip(NEXT) | instid1(TRANS32_DEP_1)
	v_rcp_f64_e32 v[42:43], v[40:41]
	v_fma_f64 v[44:45], -v[40:41], v[42:43], 1.0
	s_delay_alu instid0(VALU_DEP_1) | instskip(NEXT) | instid1(VALU_DEP_1)
	v_fma_f64 v[42:43], v[42:43], v[44:45], v[42:43]
	v_fma_f64 v[44:45], -v[40:41], v[42:43], 1.0
	s_delay_alu instid0(VALU_DEP_1) | instskip(NEXT) | instid1(VALU_DEP_1)
	v_fma_f64 v[42:43], v[42:43], v[44:45], v[42:43]
	v_mul_f64_e32 v[44:45], v[46:47], v[42:43]
	s_delay_alu instid0(VALU_DEP_1) | instskip(SKIP_1) | instid1(VALU_DEP_1)
	v_fma_f64 v[40:41], -v[40:41], v[44:45], v[46:47]
	s_wait_alu 0xfffd
	v_div_fmas_f64 v[40:41], v[40:41], v[42:43], v[44:45]
	v_fma_f64 v[42:43], v[7:8], v[23:24], v[25:26]
	s_delay_alu instid0(VALU_DEP_2) | instskip(SKIP_1) | instid1(VALU_DEP_2)
	v_div_fixup_f64 v[9:10], v[40:41], v[9:10], 1.0
	v_fma_f64 v[40:41], v[7:8], v[25:26], -v[23:24]
	v_mul_f64_e32 v[7:8], v[42:43], v[9:10]
	s_delay_alu instid0(VALU_DEP_2)
	v_mul_f64_e32 v[9:10], v[40:41], v[9:10]
.LBB228_93:                             ;   in Loop: Header=BB228_81 Depth=2
	s_wait_alu 0xfffe
	s_and_not1_b32 vcc_lo, exec_lo, s37
	s_wait_alu 0xfffe
	s_cbranch_vccnz .LBB228_95
; %bb.94:                               ;   in Loop: Header=BB228_81 Depth=2
	v_div_scale_f64 v[7:8], null, v[19:20], v[19:20], v[21:22]
	v_div_scale_f64 v[42:43], vcc_lo, v[21:22], v[19:20], v[21:22]
	s_delay_alu instid0(VALU_DEP_2) | instskip(NEXT) | instid1(TRANS32_DEP_1)
	v_rcp_f64_e32 v[9:10], v[7:8]
	v_fma_f64 v[40:41], -v[7:8], v[9:10], 1.0
	s_delay_alu instid0(VALU_DEP_1) | instskip(NEXT) | instid1(VALU_DEP_1)
	v_fma_f64 v[9:10], v[9:10], v[40:41], v[9:10]
	v_fma_f64 v[40:41], -v[7:8], v[9:10], 1.0
	s_delay_alu instid0(VALU_DEP_1) | instskip(NEXT) | instid1(VALU_DEP_1)
	v_fma_f64 v[9:10], v[9:10], v[40:41], v[9:10]
	v_mul_f64_e32 v[40:41], v[42:43], v[9:10]
	s_delay_alu instid0(VALU_DEP_1) | instskip(SKIP_1) | instid1(VALU_DEP_1)
	v_fma_f64 v[7:8], -v[7:8], v[40:41], v[42:43]
	s_wait_alu 0xfffd
	v_div_fmas_f64 v[7:8], v[7:8], v[9:10], v[40:41]
	s_delay_alu instid0(VALU_DEP_1) | instskip(NEXT) | instid1(VALU_DEP_1)
	v_div_fixup_f64 v[7:8], v[7:8], v[19:20], v[21:22]
	v_fma_f64 v[9:10], v[21:22], v[7:8], v[19:20]
	s_delay_alu instid0(VALU_DEP_1) | instskip(SKIP_1) | instid1(VALU_DEP_2)
	v_div_scale_f64 v[19:20], null, v[9:10], v[9:10], 1.0
	v_div_scale_f64 v[42:43], vcc_lo, 1.0, v[9:10], 1.0
	v_rcp_f64_e32 v[21:22], v[19:20]
	s_delay_alu instid0(TRANS32_DEP_1) | instskip(NEXT) | instid1(VALU_DEP_1)
	v_fma_f64 v[40:41], -v[19:20], v[21:22], 1.0
	v_fma_f64 v[21:22], v[21:22], v[40:41], v[21:22]
	s_delay_alu instid0(VALU_DEP_1) | instskip(NEXT) | instid1(VALU_DEP_1)
	v_fma_f64 v[40:41], -v[19:20], v[21:22], 1.0
	v_fma_f64 v[21:22], v[21:22], v[40:41], v[21:22]
	s_delay_alu instid0(VALU_DEP_1) | instskip(NEXT) | instid1(VALU_DEP_1)
	v_mul_f64_e32 v[40:41], v[42:43], v[21:22]
	v_fma_f64 v[19:20], -v[19:20], v[40:41], v[42:43]
	s_wait_alu 0xfffd
	s_delay_alu instid0(VALU_DEP_1) | instskip(SKIP_1) | instid1(VALU_DEP_2)
	v_div_fmas_f64 v[19:20], v[19:20], v[21:22], v[40:41]
	v_fma_f64 v[21:22], v[7:8], v[25:26], v[23:24]
	v_div_fixup_f64 v[9:10], v[19:20], v[9:10], 1.0
	v_fma_f64 v[19:20], -v[7:8], v[23:24], v[25:26]
	s_delay_alu instid0(VALU_DEP_2) | instskip(NEXT) | instid1(VALU_DEP_2)
	v_mul_f64_e32 v[7:8], v[21:22], v[9:10]
	v_mul_f64_e32 v[9:10], v[19:20], v[9:10]
.LBB228_95:                             ;   in Loop: Header=BB228_81 Depth=2
	s_add_co_i32 s37, s36, 0xfffffe80
	ds_store_b128 v31, v[7:10]
	s_wait_alu 0xfffe
	v_mov_b32_e32 v19, s37
	s_add_co_i32 s37, s36, 0xfffffe70
	s_wait_alu 0xfffe
	v_mov_b32_e32 v23, s37
	s_add_co_i32 s37, s36, 0xfffffe60
	ds_load_b128 v[19:22], v19
	s_addk_co_i32 s36, 0xfe50
	ds_load_b128 v[23:26], v23
	s_wait_dscnt 0x1
	v_mul_f64_e32 v[40:41], v[13:14], v[21:22]
	v_mul_f64_e32 v[21:22], v[11:12], v[21:22]
	s_delay_alu instid0(VALU_DEP_2) | instskip(SKIP_2) | instid1(VALU_DEP_3)
	v_fma_f64 v[40:41], v[11:12], v[19:20], -v[40:41]
	s_wait_alu 0xfffe
	v_mov_b32_e32 v11, s37
	v_fma_f64 v[44:45], v[13:14], v[19:20], v[21:22]
	ds_load_b128 v[19:22], v11
	s_wait_dscnt 0x1
	v_mul_f64_e32 v[42:43], v[17:18], v[25:26]
	v_mul_f64_e32 v[25:26], v[15:16], v[25:26]
	v_mov_b32_e32 v11, s36
	ds_load_b128 v[11:14], v11
	s_wait_dscnt 0x1
	v_mul_f64_e32 v[46:47], v[9:10], v[21:22]
	v_mul_f64_e32 v[21:22], v[7:8], v[21:22]
	s_wait_dscnt 0x0
	v_cmp_ngt_f64_e64 s36, |v[11:12]|, |v[13:14]|
	v_add_f64_e64 v[3:4], v[3:4], -v[40:41]
	v_add_f64_e64 v[5:6], v[5:6], -v[44:45]
	v_fma_f64 v[15:16], v[15:16], v[23:24], -v[42:43]
	v_fma_f64 v[17:18], v[17:18], v[23:24], v[25:26]
	v_fma_f64 v[23:24], v[7:8], v[19:20], -v[46:47]
	v_fma_f64 v[19:20], v[9:10], v[19:20], v[21:22]
	s_and_b32 vcc_lo, exec_lo, s36
	s_mov_b32 s36, -1
	s_delay_alu instid0(VALU_DEP_4) | instskip(NEXT) | instid1(VALU_DEP_4)
	v_add_f64_e64 v[3:4], v[3:4], -v[15:16]
	v_add_f64_e64 v[5:6], v[5:6], -v[17:18]
	s_delay_alu instid0(VALU_DEP_2) | instskip(NEXT) | instid1(VALU_DEP_2)
	v_add_f64_e64 v[15:16], v[3:4], -v[23:24]
	v_add_f64_e64 v[17:18], v[5:6], -v[19:20]
                                        ; implicit-def: $vgpr5_vgpr6
	s_wait_alu 0xfffe
	s_cbranch_vccz .LBB228_97
; %bb.96:                               ;   in Loop: Header=BB228_81 Depth=2
	v_div_scale_f64 v[3:4], null, v[13:14], v[13:14], v[11:12]
	v_div_scale_f64 v[9:10], vcc_lo, v[11:12], v[13:14], v[11:12]
	s_mov_b32 s36, 0
	v_rcp_f64_e32 v[5:6], v[3:4]
	s_delay_alu instid0(TRANS32_DEP_1) | instskip(NEXT) | instid1(VALU_DEP_1)
	v_fma_f64 v[7:8], -v[3:4], v[5:6], 1.0
	v_fma_f64 v[5:6], v[5:6], v[7:8], v[5:6]
	s_delay_alu instid0(VALU_DEP_1) | instskip(NEXT) | instid1(VALU_DEP_1)
	v_fma_f64 v[7:8], -v[3:4], v[5:6], 1.0
	v_fma_f64 v[5:6], v[5:6], v[7:8], v[5:6]
	s_delay_alu instid0(VALU_DEP_1) | instskip(NEXT) | instid1(VALU_DEP_1)
	v_mul_f64_e32 v[7:8], v[9:10], v[5:6]
	v_fma_f64 v[3:4], -v[3:4], v[7:8], v[9:10]
	s_wait_alu 0xfffd
	s_delay_alu instid0(VALU_DEP_1) | instskip(NEXT) | instid1(VALU_DEP_1)
	v_div_fmas_f64 v[3:4], v[3:4], v[5:6], v[7:8]
	v_div_fixup_f64 v[3:4], v[3:4], v[13:14], v[11:12]
	s_delay_alu instid0(VALU_DEP_1) | instskip(NEXT) | instid1(VALU_DEP_1)
	v_fma_f64 v[5:6], v[11:12], v[3:4], v[13:14]
	v_div_scale_f64 v[7:8], null, v[5:6], v[5:6], 1.0
	v_div_scale_f64 v[21:22], vcc_lo, 1.0, v[5:6], 1.0
	s_delay_alu instid0(VALU_DEP_2) | instskip(NEXT) | instid1(TRANS32_DEP_1)
	v_rcp_f64_e32 v[9:10], v[7:8]
	v_fma_f64 v[19:20], -v[7:8], v[9:10], 1.0
	s_delay_alu instid0(VALU_DEP_1) | instskip(NEXT) | instid1(VALU_DEP_1)
	v_fma_f64 v[9:10], v[9:10], v[19:20], v[9:10]
	v_fma_f64 v[19:20], -v[7:8], v[9:10], 1.0
	s_delay_alu instid0(VALU_DEP_1) | instskip(NEXT) | instid1(VALU_DEP_1)
	v_fma_f64 v[9:10], v[9:10], v[19:20], v[9:10]
	v_mul_f64_e32 v[19:20], v[21:22], v[9:10]
	s_delay_alu instid0(VALU_DEP_1) | instskip(SKIP_1) | instid1(VALU_DEP_1)
	v_fma_f64 v[7:8], -v[7:8], v[19:20], v[21:22]
	s_wait_alu 0xfffd
	v_div_fmas_f64 v[7:8], v[7:8], v[9:10], v[19:20]
	v_fma_f64 v[9:10], v[3:4], v[15:16], v[17:18]
	s_delay_alu instid0(VALU_DEP_2) | instskip(SKIP_1) | instid1(VALU_DEP_2)
	v_div_fixup_f64 v[5:6], v[7:8], v[5:6], 1.0
	v_fma_f64 v[7:8], v[3:4], v[17:18], -v[15:16]
	v_mul_f64_e32 v[3:4], v[9:10], v[5:6]
	s_delay_alu instid0(VALU_DEP_2)
	v_mul_f64_e32 v[5:6], v[7:8], v[5:6]
.LBB228_97:                             ;   in Loop: Header=BB228_81 Depth=2
	s_wait_alu 0xfffe
	s_and_not1_b32 vcc_lo, exec_lo, s36
	s_wait_alu 0xfffe
	s_cbranch_vccnz .LBB228_99
; %bb.98:                               ;   in Loop: Header=BB228_81 Depth=2
	v_div_scale_f64 v[3:4], null, v[11:12], v[11:12], v[13:14]
	v_div_scale_f64 v[9:10], vcc_lo, v[13:14], v[11:12], v[13:14]
	s_delay_alu instid0(VALU_DEP_2) | instskip(NEXT) | instid1(TRANS32_DEP_1)
	v_rcp_f64_e32 v[5:6], v[3:4]
	v_fma_f64 v[7:8], -v[3:4], v[5:6], 1.0
	s_delay_alu instid0(VALU_DEP_1) | instskip(NEXT) | instid1(VALU_DEP_1)
	v_fma_f64 v[5:6], v[5:6], v[7:8], v[5:6]
	v_fma_f64 v[7:8], -v[3:4], v[5:6], 1.0
	s_delay_alu instid0(VALU_DEP_1) | instskip(NEXT) | instid1(VALU_DEP_1)
	v_fma_f64 v[5:6], v[5:6], v[7:8], v[5:6]
	v_mul_f64_e32 v[7:8], v[9:10], v[5:6]
	s_delay_alu instid0(VALU_DEP_1) | instskip(SKIP_1) | instid1(VALU_DEP_1)
	v_fma_f64 v[3:4], -v[3:4], v[7:8], v[9:10]
	s_wait_alu 0xfffd
	v_div_fmas_f64 v[3:4], v[3:4], v[5:6], v[7:8]
	s_delay_alu instid0(VALU_DEP_1) | instskip(NEXT) | instid1(VALU_DEP_1)
	v_div_fixup_f64 v[3:4], v[3:4], v[11:12], v[13:14]
	v_fma_f64 v[5:6], v[13:14], v[3:4], v[11:12]
	s_delay_alu instid0(VALU_DEP_1) | instskip(SKIP_1) | instid1(VALU_DEP_2)
	v_div_scale_f64 v[7:8], null, v[5:6], v[5:6], 1.0
	v_div_scale_f64 v[13:14], vcc_lo, 1.0, v[5:6], 1.0
	v_rcp_f64_e32 v[9:10], v[7:8]
	s_delay_alu instid0(TRANS32_DEP_1) | instskip(NEXT) | instid1(VALU_DEP_1)
	v_fma_f64 v[11:12], -v[7:8], v[9:10], 1.0
	v_fma_f64 v[9:10], v[9:10], v[11:12], v[9:10]
	s_delay_alu instid0(VALU_DEP_1) | instskip(NEXT) | instid1(VALU_DEP_1)
	v_fma_f64 v[11:12], -v[7:8], v[9:10], 1.0
	v_fma_f64 v[9:10], v[9:10], v[11:12], v[9:10]
	s_delay_alu instid0(VALU_DEP_1) | instskip(NEXT) | instid1(VALU_DEP_1)
	v_mul_f64_e32 v[11:12], v[13:14], v[9:10]
	v_fma_f64 v[7:8], -v[7:8], v[11:12], v[13:14]
	s_wait_alu 0xfffd
	s_delay_alu instid0(VALU_DEP_1) | instskip(SKIP_1) | instid1(VALU_DEP_2)
	v_div_fmas_f64 v[7:8], v[7:8], v[9:10], v[11:12]
	v_fma_f64 v[9:10], v[3:4], v[17:18], v[15:16]
	v_div_fixup_f64 v[5:6], v[7:8], v[5:6], 1.0
	v_fma_f64 v[7:8], -v[3:4], v[15:16], v[17:18]
	s_delay_alu instid0(VALU_DEP_2) | instskip(NEXT) | instid1(VALU_DEP_2)
	v_mul_f64_e32 v[3:4], v[9:10], v[5:6]
	v_mul_f64_e32 v[5:6], v[7:8], v[5:6]
.LBB228_99:                             ;   in Loop: Header=BB228_81 Depth=2
	s_add_co_i32 s36, s21, -4
	s_addk_co_i32 s20, 0xfa00
	s_cmp_lt_i32 s21, 7
	ds_store_b128 v30, v[3:6]
	s_cbranch_scc1 .LBB228_101
; %bb.100:                              ;   in Loop: Header=BB228_81 Depth=2
	s_wait_alu 0xfffe
	s_mov_b32 s21, s36
	s_branch .LBB228_81
.LBB228_101:                            ;   in Loop: Header=BB228_3 Depth=1
	s_wait_alu 0xfffe
	s_cmp_lt_i32 s36, 0
	s_cbranch_scc1 .LBB228_110
; %bb.102:                              ;   in Loop: Header=BB228_3 Depth=1
	s_mul_i32 s20, s36, 0x180
	s_wait_alu 0xfffe
	s_add_co_i32 s20, s35, s20
	s_branch .LBB228_104
.LBB228_103:                            ;   in Loop: Header=BB228_104 Depth=2
	v_sub_co_u32 v3, s21, s36, 1
	s_and_b32 vcc_lo, exec_lo, s21
	s_addk_co_i32 s20, 0xfe80
	ds_store_b128 v15, v[11:14]
	v_readfirstlane_b32 s36, v3
	s_wait_alu 0xfffe
	s_cbranch_vccnz .LBB228_110
.LBB228_104:                            ;   Parent Loop BB228_3 Depth=1
                                        ; =>  This Loop Header: Depth=2
                                        ;       Child Loop BB228_105 Depth 3
	s_wait_alu 0xf1ff
	v_mad_co_u64_u32 v[15:16], null, 0x180, s36, v[27:28]
	v_mov_b32_e32 v7, v38
	s_cmp_le_i32 s27, s36
	s_wait_alu 0xfffe
	s_mov_b32 s21, s20
	s_mov_b32 s37, s27
	ds_load_b128 v[3:6], v15
	s_cbranch_scc1 .LBB228_106
.LBB228_105:                            ;   Parent Loop BB228_3 Depth=1
                                        ;     Parent Loop BB228_104 Depth=2
                                        ; =>    This Inner Loop Header: Depth=3
	s_wait_alu 0xfffe
	v_mov_b32_e32 v12, s21
	s_add_co_i32 s37, s37, -1
	s_add_co_i32 s21, s21, -16
	s_wait_alu 0xfffe
	s_cmp_le_u32 s37, s36
	ds_load_b128 v[8:11], v7
	ds_load_b128 v[16:19], v12
	v_add_nc_u32_e32 v7, 0xfffffe80, v7
	s_wait_dscnt 0x0
	v_mul_f64_e32 v[12:13], v[18:19], v[10:11]
	v_mul_f64_e32 v[10:11], v[16:17], v[10:11]
	s_delay_alu instid0(VALU_DEP_2) | instskip(NEXT) | instid1(VALU_DEP_2)
	v_fma_f64 v[12:13], v[16:17], v[8:9], -v[12:13]
	v_fma_f64 v[8:9], v[18:19], v[8:9], v[10:11]
	s_delay_alu instid0(VALU_DEP_2) | instskip(NEXT) | instid1(VALU_DEP_2)
	v_add_f64_e64 v[3:4], v[3:4], -v[12:13]
	v_add_f64_e64 v[5:6], v[5:6], -v[8:9]
	s_cbranch_scc0 .LBB228_105
.LBB228_106:                            ;   in Loop: Header=BB228_104 Depth=2
	s_mul_i32 s21, s36, 0x190
                                        ; implicit-def: $vgpr11_vgpr12
	s_wait_alu 0xfffe
	v_mov_b32_e32 v7, s21
	ds_load_b128 v[7:10], v7
	s_wait_dscnt 0x0
	v_cmp_ngt_f64_e64 s21, |v[7:8]|, |v[9:10]|
	s_and_b32 vcc_lo, exec_lo, s21
	s_mov_b32 s21, -1
	s_wait_alu 0xfffe
	s_cbranch_vccz .LBB228_108
; %bb.107:                              ;   in Loop: Header=BB228_104 Depth=2
	v_div_scale_f64 v[11:12], null, v[9:10], v[9:10], v[7:8]
	v_div_scale_f64 v[18:19], vcc_lo, v[7:8], v[9:10], v[7:8]
	s_mov_b32 s21, 0
	v_rcp_f64_e32 v[13:14], v[11:12]
	s_delay_alu instid0(TRANS32_DEP_1) | instskip(NEXT) | instid1(VALU_DEP_1)
	v_fma_f64 v[16:17], -v[11:12], v[13:14], 1.0
	v_fma_f64 v[13:14], v[13:14], v[16:17], v[13:14]
	s_delay_alu instid0(VALU_DEP_1) | instskip(NEXT) | instid1(VALU_DEP_1)
	v_fma_f64 v[16:17], -v[11:12], v[13:14], 1.0
	v_fma_f64 v[13:14], v[13:14], v[16:17], v[13:14]
	s_delay_alu instid0(VALU_DEP_1) | instskip(NEXT) | instid1(VALU_DEP_1)
	v_mul_f64_e32 v[16:17], v[18:19], v[13:14]
	v_fma_f64 v[11:12], -v[11:12], v[16:17], v[18:19]
	s_wait_alu 0xfffd
	s_delay_alu instid0(VALU_DEP_1) | instskip(NEXT) | instid1(VALU_DEP_1)
	v_div_fmas_f64 v[11:12], v[11:12], v[13:14], v[16:17]
	v_div_fixup_f64 v[11:12], v[11:12], v[9:10], v[7:8]
	s_delay_alu instid0(VALU_DEP_1) | instskip(NEXT) | instid1(VALU_DEP_1)
	v_fma_f64 v[13:14], v[7:8], v[11:12], v[9:10]
	v_div_scale_f64 v[16:17], null, v[13:14], v[13:14], 1.0
	v_div_scale_f64 v[22:23], vcc_lo, 1.0, v[13:14], 1.0
	s_delay_alu instid0(VALU_DEP_2) | instskip(NEXT) | instid1(TRANS32_DEP_1)
	v_rcp_f64_e32 v[18:19], v[16:17]
	v_fma_f64 v[20:21], -v[16:17], v[18:19], 1.0
	s_delay_alu instid0(VALU_DEP_1) | instskip(NEXT) | instid1(VALU_DEP_1)
	v_fma_f64 v[18:19], v[18:19], v[20:21], v[18:19]
	v_fma_f64 v[20:21], -v[16:17], v[18:19], 1.0
	s_delay_alu instid0(VALU_DEP_1) | instskip(NEXT) | instid1(VALU_DEP_1)
	v_fma_f64 v[18:19], v[18:19], v[20:21], v[18:19]
	v_mul_f64_e32 v[20:21], v[22:23], v[18:19]
	s_delay_alu instid0(VALU_DEP_1) | instskip(SKIP_1) | instid1(VALU_DEP_1)
	v_fma_f64 v[16:17], -v[16:17], v[20:21], v[22:23]
	s_wait_alu 0xfffd
	v_div_fmas_f64 v[16:17], v[16:17], v[18:19], v[20:21]
	v_fma_f64 v[18:19], v[3:4], v[11:12], v[5:6]
	s_delay_alu instid0(VALU_DEP_2) | instskip(SKIP_1) | instid1(VALU_DEP_2)
	v_div_fixup_f64 v[13:14], v[16:17], v[13:14], 1.0
	v_fma_f64 v[16:17], v[5:6], v[11:12], -v[3:4]
	v_mul_f64_e32 v[11:12], v[18:19], v[13:14]
	s_delay_alu instid0(VALU_DEP_2)
	v_mul_f64_e32 v[13:14], v[16:17], v[13:14]
.LBB228_108:                            ;   in Loop: Header=BB228_104 Depth=2
	s_wait_alu 0xfffe
	s_and_not1_b32 vcc_lo, exec_lo, s21
	s_wait_alu 0xfffe
	s_cbranch_vccnz .LBB228_103
; %bb.109:                              ;   in Loop: Header=BB228_104 Depth=2
	v_div_scale_f64 v[11:12], null, v[7:8], v[7:8], v[9:10]
	v_div_scale_f64 v[18:19], vcc_lo, v[9:10], v[7:8], v[9:10]
	s_delay_alu instid0(VALU_DEP_2) | instskip(NEXT) | instid1(TRANS32_DEP_1)
	v_rcp_f64_e32 v[13:14], v[11:12]
	v_fma_f64 v[16:17], -v[11:12], v[13:14], 1.0
	s_delay_alu instid0(VALU_DEP_1) | instskip(NEXT) | instid1(VALU_DEP_1)
	v_fma_f64 v[13:14], v[13:14], v[16:17], v[13:14]
	v_fma_f64 v[16:17], -v[11:12], v[13:14], 1.0
	s_delay_alu instid0(VALU_DEP_1) | instskip(NEXT) | instid1(VALU_DEP_1)
	v_fma_f64 v[13:14], v[13:14], v[16:17], v[13:14]
	v_mul_f64_e32 v[16:17], v[18:19], v[13:14]
	s_delay_alu instid0(VALU_DEP_1) | instskip(SKIP_1) | instid1(VALU_DEP_1)
	v_fma_f64 v[11:12], -v[11:12], v[16:17], v[18:19]
	s_wait_alu 0xfffd
	v_div_fmas_f64 v[11:12], v[11:12], v[13:14], v[16:17]
	s_delay_alu instid0(VALU_DEP_1) | instskip(NEXT) | instid1(VALU_DEP_1)
	v_div_fixup_f64 v[11:12], v[11:12], v[7:8], v[9:10]
	v_fma_f64 v[7:8], v[9:10], v[11:12], v[7:8]
	s_delay_alu instid0(VALU_DEP_1) | instskip(SKIP_1) | instid1(VALU_DEP_2)
	v_div_scale_f64 v[9:10], null, v[7:8], v[7:8], 1.0
	v_div_scale_f64 v[18:19], vcc_lo, 1.0, v[7:8], 1.0
	v_rcp_f64_e32 v[13:14], v[9:10]
	s_delay_alu instid0(TRANS32_DEP_1) | instskip(NEXT) | instid1(VALU_DEP_1)
	v_fma_f64 v[16:17], -v[9:10], v[13:14], 1.0
	v_fma_f64 v[13:14], v[13:14], v[16:17], v[13:14]
	s_delay_alu instid0(VALU_DEP_1) | instskip(NEXT) | instid1(VALU_DEP_1)
	v_fma_f64 v[16:17], -v[9:10], v[13:14], 1.0
	v_fma_f64 v[13:14], v[13:14], v[16:17], v[13:14]
	s_delay_alu instid0(VALU_DEP_1) | instskip(NEXT) | instid1(VALU_DEP_1)
	v_mul_f64_e32 v[16:17], v[18:19], v[13:14]
	v_fma_f64 v[9:10], -v[9:10], v[16:17], v[18:19]
	s_wait_alu 0xfffd
	s_delay_alu instid0(VALU_DEP_1) | instskip(SKIP_2) | instid1(VALU_DEP_3)
	v_div_fmas_f64 v[9:10], v[9:10], v[13:14], v[16:17]
	v_fma_f64 v[13:14], v[5:6], v[11:12], v[3:4]
	v_fma_f64 v[3:4], -v[3:4], v[11:12], v[5:6]
	v_div_fixup_f64 v[7:8], v[9:10], v[7:8], 1.0
	s_delay_alu instid0(VALU_DEP_1) | instskip(NEXT) | instid1(VALU_DEP_3)
	v_mul_f64_e32 v[11:12], v[13:14], v[7:8]
	v_mul_f64_e32 v[13:14], v[3:4], v[7:8]
	s_branch .LBB228_103
.LBB228_110:                            ;   in Loop: Header=BB228_3 Depth=1
	s_mov_b32 s20, 0
.LBB228_111:                            ;   in Loop: Header=BB228_3 Depth=1
	s_wait_alu 0xfffe
	s_and_not1_b32 vcc_lo, exec_lo, s20
	s_wait_alu 0xfffe
	s_cbranch_vccnz .LBB228_143
; %bb.112:                              ;   in Loop: Header=BB228_3 Depth=1
	s_and_not1_b32 vcc_lo, exec_lo, s22
	s_mov_b32 s36, 0
	s_wait_alu 0xfffe
	s_cbranch_vccnz .LBB228_134
; %bb.113:                              ;   in Loop: Header=BB228_3 Depth=1
	s_mov_b32 s20, 0
	s_mov_b32 s21, 0
.LBB228_114:                            ;   Parent Loop BB228_3 Depth=1
                                        ; =>  This Loop Header: Depth=2
                                        ;       Child Loop BB228_115 Depth 3
	s_wait_alu 0xfffe
	s_mul_i32 s36, s21, 24
	v_mov_b32_e32 v11, v27
	s_wait_alu 0xfffe
	v_lshl_add_u32 v30, s36, 4, v27
	s_cmp_eq_u32 s21, 0
	s_mov_b32 s37, s20
	s_mov_b32 s38, s21
	ds_load_b128 v[19:22], v30
	ds_load_b128 v[15:18], v30 offset:384
	ds_load_b128 v[7:10], v30 offset:768
	;; [unrolled: 1-line block ×3, first 2 shown]
	s_cbranch_scc1 .LBB228_116
.LBB228_115:                            ;   Parent Loop BB228_3 Depth=1
                                        ;     Parent Loop BB228_114 Depth=2
                                        ; =>    This Inner Loop Header: Depth=3
	s_wait_alu 0xfffe
	v_mov_b32_e32 v12, s37
	s_add_co_i32 s38, s38, -1
	s_add_co_i32 s37, s37, 16
	s_wait_alu 0xfffe
	s_cmp_eq_u32 s38, 0
	ds_load_b128 v[23:26], v11
	ds_load_b128 v[40:43], v12
	ds_load_b128 v[44:47], v12 offset:384
	ds_load_b128 v[48:51], v12 offset:768
	;; [unrolled: 1-line block ×3, first 2 shown]
	v_add_nc_u32_e32 v11, 0x180, v11
	s_wait_dscnt 0x3
	v_mul_f64_e32 v[12:13], v[25:26], v[42:43]
	v_mul_f64_e32 v[42:43], v[23:24], v[42:43]
	s_wait_dscnt 0x2
	v_mul_f64_e32 v[56:57], v[25:26], v[46:47]
	v_mul_f64_e32 v[46:47], v[23:24], v[46:47]
	;; [unrolled: 3-line block ×4, first 2 shown]
	v_fma_f64 v[12:13], v[23:24], v[40:41], -v[12:13]
	v_fma_f64 v[40:41], v[25:26], v[40:41], v[42:43]
	v_fma_f64 v[42:43], v[23:24], v[44:45], -v[56:57]
	v_fma_f64 v[44:45], v[25:26], v[44:45], v[46:47]
	v_fma_f64 v[46:47], v[23:24], v[48:49], -v[58:59]
	v_fma_f64 v[48:49], v[25:26], v[48:49], v[50:51]
	v_fma_f64 v[23:24], v[23:24], v[52:53], -v[60:61]
	v_fma_f64 v[25:26], v[25:26], v[52:53], v[54:55]
	v_add_f64_e64 v[19:20], v[19:20], -v[12:13]
	v_add_f64_e64 v[21:22], v[21:22], -v[40:41]
	;; [unrolled: 1-line block ×8, first 2 shown]
	s_cbranch_scc0 .LBB228_115
.LBB228_116:                            ;   in Loop: Header=BB228_114 Depth=2
	s_mul_i32 s37, s21, 0x190
	s_wait_alu 0xfffe
	v_mov_b32_e32 v11, s37
	ds_load_b128 v[23:26], v11
                                        ; implicit-def: $vgpr13_vgpr14
	s_wait_dscnt 0x0
	v_cmp_ngt_f64_e64 s37, |v[23:24]|, |v[25:26]|
	s_and_b32 vcc_lo, exec_lo, s37
	s_mov_b32 s37, -1
	s_wait_alu 0xfffe
	s_cbranch_vccz .LBB228_118
; %bb.117:                              ;   in Loop: Header=BB228_114 Depth=2
	v_div_scale_f64 v[11:12], null, v[25:26], v[25:26], v[23:24]
	v_div_scale_f64 v[42:43], vcc_lo, v[23:24], v[25:26], v[23:24]
	s_mov_b32 s37, 0
	v_rcp_f64_e32 v[13:14], v[11:12]
	s_delay_alu instid0(TRANS32_DEP_1) | instskip(NEXT) | instid1(VALU_DEP_1)
	v_fma_f64 v[40:41], -v[11:12], v[13:14], 1.0
	v_fma_f64 v[13:14], v[13:14], v[40:41], v[13:14]
	s_delay_alu instid0(VALU_DEP_1) | instskip(NEXT) | instid1(VALU_DEP_1)
	v_fma_f64 v[40:41], -v[11:12], v[13:14], 1.0
	v_fma_f64 v[13:14], v[13:14], v[40:41], v[13:14]
	s_delay_alu instid0(VALU_DEP_1) | instskip(NEXT) | instid1(VALU_DEP_1)
	v_mul_f64_e32 v[40:41], v[42:43], v[13:14]
	v_fma_f64 v[11:12], -v[11:12], v[40:41], v[42:43]
	s_wait_alu 0xfffd
	s_delay_alu instid0(VALU_DEP_1) | instskip(NEXT) | instid1(VALU_DEP_1)
	v_div_fmas_f64 v[11:12], v[11:12], v[13:14], v[40:41]
	v_div_fixup_f64 v[11:12], v[11:12], v[25:26], v[23:24]
	s_delay_alu instid0(VALU_DEP_1) | instskip(NEXT) | instid1(VALU_DEP_1)
	v_fma_f64 v[13:14], v[23:24], v[11:12], v[25:26]
	v_div_scale_f64 v[40:41], null, v[13:14], v[13:14], 1.0
	v_div_scale_f64 v[46:47], vcc_lo, 1.0, v[13:14], 1.0
	s_delay_alu instid0(VALU_DEP_2) | instskip(NEXT) | instid1(TRANS32_DEP_1)
	v_rcp_f64_e32 v[42:43], v[40:41]
	v_fma_f64 v[44:45], -v[40:41], v[42:43], 1.0
	s_delay_alu instid0(VALU_DEP_1) | instskip(NEXT) | instid1(VALU_DEP_1)
	v_fma_f64 v[42:43], v[42:43], v[44:45], v[42:43]
	v_fma_f64 v[44:45], -v[40:41], v[42:43], 1.0
	s_delay_alu instid0(VALU_DEP_1) | instskip(NEXT) | instid1(VALU_DEP_1)
	v_fma_f64 v[42:43], v[42:43], v[44:45], v[42:43]
	v_mul_f64_e32 v[44:45], v[46:47], v[42:43]
	s_delay_alu instid0(VALU_DEP_1) | instskip(SKIP_1) | instid1(VALU_DEP_1)
	v_fma_f64 v[40:41], -v[40:41], v[44:45], v[46:47]
	s_wait_alu 0xfffd
	v_div_fmas_f64 v[40:41], v[40:41], v[42:43], v[44:45]
	v_fma_f64 v[42:43], v[19:20], v[11:12], v[21:22]
	s_delay_alu instid0(VALU_DEP_2) | instskip(SKIP_1) | instid1(VALU_DEP_2)
	v_div_fixup_f64 v[13:14], v[40:41], v[13:14], 1.0
	v_fma_f64 v[40:41], v[21:22], v[11:12], -v[19:20]
	v_mul_f64_e32 v[11:12], v[42:43], v[13:14]
	s_delay_alu instid0(VALU_DEP_2)
	v_mul_f64_e32 v[13:14], v[40:41], v[13:14]
.LBB228_118:                            ;   in Loop: Header=BB228_114 Depth=2
	s_wait_alu 0xfffe
	s_and_not1_b32 vcc_lo, exec_lo, s37
	s_wait_alu 0xfffe
	s_cbranch_vccnz .LBB228_120
; %bb.119:                              ;   in Loop: Header=BB228_114 Depth=2
	v_div_scale_f64 v[11:12], null, v[23:24], v[23:24], v[25:26]
	v_div_scale_f64 v[42:43], vcc_lo, v[25:26], v[23:24], v[25:26]
	s_delay_alu instid0(VALU_DEP_2) | instskip(NEXT) | instid1(TRANS32_DEP_1)
	v_rcp_f64_e32 v[13:14], v[11:12]
	v_fma_f64 v[40:41], -v[11:12], v[13:14], 1.0
	s_delay_alu instid0(VALU_DEP_1) | instskip(NEXT) | instid1(VALU_DEP_1)
	v_fma_f64 v[13:14], v[13:14], v[40:41], v[13:14]
	v_fma_f64 v[40:41], -v[11:12], v[13:14], 1.0
	s_delay_alu instid0(VALU_DEP_1) | instskip(NEXT) | instid1(VALU_DEP_1)
	v_fma_f64 v[13:14], v[13:14], v[40:41], v[13:14]
	v_mul_f64_e32 v[40:41], v[42:43], v[13:14]
	s_delay_alu instid0(VALU_DEP_1) | instskip(SKIP_1) | instid1(VALU_DEP_1)
	v_fma_f64 v[11:12], -v[11:12], v[40:41], v[42:43]
	s_wait_alu 0xfffd
	v_div_fmas_f64 v[11:12], v[11:12], v[13:14], v[40:41]
	s_delay_alu instid0(VALU_DEP_1) | instskip(NEXT) | instid1(VALU_DEP_1)
	v_div_fixup_f64 v[11:12], v[11:12], v[23:24], v[25:26]
	v_fma_f64 v[13:14], v[25:26], v[11:12], v[23:24]
	s_delay_alu instid0(VALU_DEP_1) | instskip(SKIP_1) | instid1(VALU_DEP_2)
	v_div_scale_f64 v[23:24], null, v[13:14], v[13:14], 1.0
	v_div_scale_f64 v[42:43], vcc_lo, 1.0, v[13:14], 1.0
	v_rcp_f64_e32 v[25:26], v[23:24]
	s_delay_alu instid0(TRANS32_DEP_1) | instskip(NEXT) | instid1(VALU_DEP_1)
	v_fma_f64 v[40:41], -v[23:24], v[25:26], 1.0
	v_fma_f64 v[25:26], v[25:26], v[40:41], v[25:26]
	s_delay_alu instid0(VALU_DEP_1) | instskip(NEXT) | instid1(VALU_DEP_1)
	v_fma_f64 v[40:41], -v[23:24], v[25:26], 1.0
	v_fma_f64 v[25:26], v[25:26], v[40:41], v[25:26]
	s_delay_alu instid0(VALU_DEP_1) | instskip(NEXT) | instid1(VALU_DEP_1)
	v_mul_f64_e32 v[40:41], v[42:43], v[25:26]
	v_fma_f64 v[23:24], -v[23:24], v[40:41], v[42:43]
	s_wait_alu 0xfffd
	s_delay_alu instid0(VALU_DEP_1) | instskip(SKIP_2) | instid1(VALU_DEP_3)
	v_div_fmas_f64 v[23:24], v[23:24], v[25:26], v[40:41]
	v_fma_f64 v[25:26], v[21:22], v[11:12], v[19:20]
	v_fma_f64 v[19:20], -v[19:20], v[11:12], v[21:22]
	v_div_fixup_f64 v[13:14], v[23:24], v[13:14], 1.0
	s_delay_alu instid0(VALU_DEP_1) | instskip(NEXT) | instid1(VALU_DEP_3)
	v_mul_f64_e32 v[11:12], v[25:26], v[13:14]
	v_mul_f64_e32 v[13:14], v[19:20], v[13:14]
.LBB228_120:                            ;   in Loop: Header=BB228_114 Depth=2
	s_lshl_b32 s37, s36, 4
	s_lshl_b32 s36, s21, 4
	s_wait_alu 0xfffe
	s_addk_co_i32 s37, 0x180
	s_wait_alu 0xfffe
	s_add_co_i32 s38, s37, s36
	s_wait_alu 0xfffe
	v_mov_b32_e32 v19, s38
	ds_load_b128 v[23:26], v19
	ds_load_b128 v[19:22], v19 offset:16
	ds_store_b128 v30, v[11:14]
	s_wait_dscnt 0x2
	v_mul_f64_e32 v[40:41], v[13:14], v[25:26]
	v_mul_f64_e32 v[25:26], v[11:12], v[25:26]
	s_wait_dscnt 0x1
	v_cmp_ngt_f64_e64 s38, |v[19:20]|, |v[21:22]|
	s_delay_alu instid0(VALU_DEP_3) | instskip(NEXT) | instid1(VALU_DEP_3)
	v_fma_f64 v[40:41], v[11:12], v[23:24], -v[40:41]
	v_fma_f64 v[25:26], v[13:14], v[23:24], v[25:26]
	s_and_b32 vcc_lo, exec_lo, s38
	s_mov_b32 s38, -1
	s_delay_alu instid0(VALU_DEP_2) | instskip(NEXT) | instid1(VALU_DEP_2)
	v_add_f64_e64 v[23:24], v[15:16], -v[40:41]
	v_add_f64_e64 v[25:26], v[17:18], -v[25:26]
                                        ; implicit-def: $vgpr17_vgpr18
	s_wait_alu 0xfffe
	s_cbranch_vccz .LBB228_122
; %bb.121:                              ;   in Loop: Header=BB228_114 Depth=2
	v_div_scale_f64 v[15:16], null, v[21:22], v[21:22], v[19:20]
	v_div_scale_f64 v[42:43], vcc_lo, v[19:20], v[21:22], v[19:20]
	s_mov_b32 s38, 0
	v_rcp_f64_e32 v[17:18], v[15:16]
	s_delay_alu instid0(TRANS32_DEP_1) | instskip(NEXT) | instid1(VALU_DEP_1)
	v_fma_f64 v[40:41], -v[15:16], v[17:18], 1.0
	v_fma_f64 v[17:18], v[17:18], v[40:41], v[17:18]
	s_delay_alu instid0(VALU_DEP_1) | instskip(NEXT) | instid1(VALU_DEP_1)
	v_fma_f64 v[40:41], -v[15:16], v[17:18], 1.0
	v_fma_f64 v[17:18], v[17:18], v[40:41], v[17:18]
	s_delay_alu instid0(VALU_DEP_1) | instskip(NEXT) | instid1(VALU_DEP_1)
	v_mul_f64_e32 v[40:41], v[42:43], v[17:18]
	v_fma_f64 v[15:16], -v[15:16], v[40:41], v[42:43]
	s_wait_alu 0xfffd
	s_delay_alu instid0(VALU_DEP_1) | instskip(NEXT) | instid1(VALU_DEP_1)
	v_div_fmas_f64 v[15:16], v[15:16], v[17:18], v[40:41]
	v_div_fixup_f64 v[15:16], v[15:16], v[21:22], v[19:20]
	s_delay_alu instid0(VALU_DEP_1) | instskip(NEXT) | instid1(VALU_DEP_1)
	v_fma_f64 v[17:18], v[19:20], v[15:16], v[21:22]
	v_div_scale_f64 v[40:41], null, v[17:18], v[17:18], 1.0
	v_div_scale_f64 v[46:47], vcc_lo, 1.0, v[17:18], 1.0
	s_delay_alu instid0(VALU_DEP_2) | instskip(NEXT) | instid1(TRANS32_DEP_1)
	v_rcp_f64_e32 v[42:43], v[40:41]
	v_fma_f64 v[44:45], -v[40:41], v[42:43], 1.0
	s_delay_alu instid0(VALU_DEP_1) | instskip(NEXT) | instid1(VALU_DEP_1)
	v_fma_f64 v[42:43], v[42:43], v[44:45], v[42:43]
	v_fma_f64 v[44:45], -v[40:41], v[42:43], 1.0
	s_delay_alu instid0(VALU_DEP_1) | instskip(NEXT) | instid1(VALU_DEP_1)
	v_fma_f64 v[42:43], v[42:43], v[44:45], v[42:43]
	v_mul_f64_e32 v[44:45], v[46:47], v[42:43]
	s_delay_alu instid0(VALU_DEP_1) | instskip(SKIP_1) | instid1(VALU_DEP_1)
	v_fma_f64 v[40:41], -v[40:41], v[44:45], v[46:47]
	s_wait_alu 0xfffd
	v_div_fmas_f64 v[40:41], v[40:41], v[42:43], v[44:45]
	v_fma_f64 v[42:43], v[15:16], v[23:24], v[25:26]
	s_delay_alu instid0(VALU_DEP_2) | instskip(SKIP_1) | instid1(VALU_DEP_2)
	v_div_fixup_f64 v[17:18], v[40:41], v[17:18], 1.0
	v_fma_f64 v[40:41], v[15:16], v[25:26], -v[23:24]
	v_mul_f64_e32 v[15:16], v[42:43], v[17:18]
	s_delay_alu instid0(VALU_DEP_2)
	v_mul_f64_e32 v[17:18], v[40:41], v[17:18]
.LBB228_122:                            ;   in Loop: Header=BB228_114 Depth=2
	s_wait_alu 0xfffe
	s_and_not1_b32 vcc_lo, exec_lo, s38
	s_wait_alu 0xfffe
	s_cbranch_vccnz .LBB228_124
; %bb.123:                              ;   in Loop: Header=BB228_114 Depth=2
	v_div_scale_f64 v[15:16], null, v[19:20], v[19:20], v[21:22]
	v_div_scale_f64 v[42:43], vcc_lo, v[21:22], v[19:20], v[21:22]
	s_delay_alu instid0(VALU_DEP_2) | instskip(NEXT) | instid1(TRANS32_DEP_1)
	v_rcp_f64_e32 v[17:18], v[15:16]
	v_fma_f64 v[40:41], -v[15:16], v[17:18], 1.0
	s_delay_alu instid0(VALU_DEP_1) | instskip(NEXT) | instid1(VALU_DEP_1)
	v_fma_f64 v[17:18], v[17:18], v[40:41], v[17:18]
	v_fma_f64 v[40:41], -v[15:16], v[17:18], 1.0
	s_delay_alu instid0(VALU_DEP_1) | instskip(NEXT) | instid1(VALU_DEP_1)
	v_fma_f64 v[17:18], v[17:18], v[40:41], v[17:18]
	v_mul_f64_e32 v[40:41], v[42:43], v[17:18]
	s_delay_alu instid0(VALU_DEP_1) | instskip(SKIP_1) | instid1(VALU_DEP_1)
	v_fma_f64 v[15:16], -v[15:16], v[40:41], v[42:43]
	s_wait_alu 0xfffd
	v_div_fmas_f64 v[15:16], v[15:16], v[17:18], v[40:41]
	s_delay_alu instid0(VALU_DEP_1) | instskip(NEXT) | instid1(VALU_DEP_1)
	v_div_fixup_f64 v[15:16], v[15:16], v[19:20], v[21:22]
	v_fma_f64 v[17:18], v[21:22], v[15:16], v[19:20]
	s_delay_alu instid0(VALU_DEP_1) | instskip(SKIP_1) | instid1(VALU_DEP_2)
	v_div_scale_f64 v[19:20], null, v[17:18], v[17:18], 1.0
	v_div_scale_f64 v[42:43], vcc_lo, 1.0, v[17:18], 1.0
	v_rcp_f64_e32 v[21:22], v[19:20]
	s_delay_alu instid0(TRANS32_DEP_1) | instskip(NEXT) | instid1(VALU_DEP_1)
	v_fma_f64 v[40:41], -v[19:20], v[21:22], 1.0
	v_fma_f64 v[21:22], v[21:22], v[40:41], v[21:22]
	s_delay_alu instid0(VALU_DEP_1) | instskip(NEXT) | instid1(VALU_DEP_1)
	v_fma_f64 v[40:41], -v[19:20], v[21:22], 1.0
	v_fma_f64 v[21:22], v[21:22], v[40:41], v[21:22]
	s_delay_alu instid0(VALU_DEP_1) | instskip(NEXT) | instid1(VALU_DEP_1)
	v_mul_f64_e32 v[40:41], v[42:43], v[21:22]
	v_fma_f64 v[19:20], -v[19:20], v[40:41], v[42:43]
	s_wait_alu 0xfffd
	s_delay_alu instid0(VALU_DEP_1) | instskip(SKIP_1) | instid1(VALU_DEP_2)
	v_div_fmas_f64 v[19:20], v[19:20], v[21:22], v[40:41]
	v_fma_f64 v[21:22], v[15:16], v[25:26], v[23:24]
	v_div_fixup_f64 v[17:18], v[19:20], v[17:18], 1.0
	v_fma_f64 v[19:20], -v[15:16], v[23:24], v[25:26]
	s_delay_alu instid0(VALU_DEP_2) | instskip(NEXT) | instid1(VALU_DEP_2)
	v_mul_f64_e32 v[15:16], v[21:22], v[17:18]
	v_mul_f64_e32 v[17:18], v[19:20], v[17:18]
.LBB228_124:                            ;   in Loop: Header=BB228_114 Depth=2
	s_addk_co_i32 s37, 0x180
	s_wait_alu 0xfffe
	s_add_co_i32 s36, s37, s36
	s_wait_alu 0xfffe
	v_mov_b32_e32 v31, s36
	ds_load_b128 v[19:22], v31
	ds_load_b128 v[23:26], v31 offset:16
	ds_store_b128 v30, v[15:18] offset:384
	s_wait_dscnt 0x2
	v_mul_f64_e32 v[40:41], v[13:14], v[21:22]
	v_mul_f64_e32 v[21:22], v[11:12], v[21:22]
	s_wait_dscnt 0x1
	v_mul_f64_e32 v[42:43], v[17:18], v[25:26]
	v_mul_f64_e32 v[25:26], v[15:16], v[25:26]
	s_delay_alu instid0(VALU_DEP_4) | instskip(NEXT) | instid1(VALU_DEP_4)
	v_fma_f64 v[40:41], v[11:12], v[19:20], -v[40:41]
	v_fma_f64 v[19:20], v[13:14], v[19:20], v[21:22]
	s_delay_alu instid0(VALU_DEP_4) | instskip(NEXT) | instid1(VALU_DEP_4)
	v_fma_f64 v[21:22], v[15:16], v[23:24], -v[42:43]
	v_fma_f64 v[25:26], v[17:18], v[23:24], v[25:26]
	s_delay_alu instid0(VALU_DEP_4) | instskip(NEXT) | instid1(VALU_DEP_4)
	v_add_f64_e64 v[23:24], v[7:8], -v[40:41]
	v_add_f64_e64 v[19:20], v[9:10], -v[19:20]
	ds_load_b128 v[7:10], v31 offset:32
	s_wait_dscnt 0x0
	v_cmp_ngt_f64_e64 s37, |v[7:8]|, |v[9:10]|
	v_add_f64_e64 v[23:24], v[23:24], -v[21:22]
	v_add_f64_e64 v[25:26], v[19:20], -v[25:26]
                                        ; implicit-def: $vgpr21_vgpr22
	s_and_b32 vcc_lo, exec_lo, s37
	s_mov_b32 s37, -1
	s_wait_alu 0xfffe
	s_cbranch_vccz .LBB228_126
; %bb.125:                              ;   in Loop: Header=BB228_114 Depth=2
	v_div_scale_f64 v[19:20], null, v[9:10], v[9:10], v[7:8]
	v_div_scale_f64 v[42:43], vcc_lo, v[7:8], v[9:10], v[7:8]
	s_mov_b32 s37, 0
	v_rcp_f64_e32 v[21:22], v[19:20]
	s_delay_alu instid0(TRANS32_DEP_1) | instskip(NEXT) | instid1(VALU_DEP_1)
	v_fma_f64 v[40:41], -v[19:20], v[21:22], 1.0
	v_fma_f64 v[21:22], v[21:22], v[40:41], v[21:22]
	s_delay_alu instid0(VALU_DEP_1) | instskip(NEXT) | instid1(VALU_DEP_1)
	v_fma_f64 v[40:41], -v[19:20], v[21:22], 1.0
	v_fma_f64 v[21:22], v[21:22], v[40:41], v[21:22]
	s_delay_alu instid0(VALU_DEP_1) | instskip(NEXT) | instid1(VALU_DEP_1)
	v_mul_f64_e32 v[40:41], v[42:43], v[21:22]
	v_fma_f64 v[19:20], -v[19:20], v[40:41], v[42:43]
	s_wait_alu 0xfffd
	s_delay_alu instid0(VALU_DEP_1) | instskip(NEXT) | instid1(VALU_DEP_1)
	v_div_fmas_f64 v[19:20], v[19:20], v[21:22], v[40:41]
	v_div_fixup_f64 v[19:20], v[19:20], v[9:10], v[7:8]
	s_delay_alu instid0(VALU_DEP_1) | instskip(NEXT) | instid1(VALU_DEP_1)
	v_fma_f64 v[21:22], v[7:8], v[19:20], v[9:10]
	v_div_scale_f64 v[40:41], null, v[21:22], v[21:22], 1.0
	v_div_scale_f64 v[46:47], vcc_lo, 1.0, v[21:22], 1.0
	s_delay_alu instid0(VALU_DEP_2) | instskip(NEXT) | instid1(TRANS32_DEP_1)
	v_rcp_f64_e32 v[42:43], v[40:41]
	v_fma_f64 v[44:45], -v[40:41], v[42:43], 1.0
	s_delay_alu instid0(VALU_DEP_1) | instskip(NEXT) | instid1(VALU_DEP_1)
	v_fma_f64 v[42:43], v[42:43], v[44:45], v[42:43]
	v_fma_f64 v[44:45], -v[40:41], v[42:43], 1.0
	s_delay_alu instid0(VALU_DEP_1) | instskip(NEXT) | instid1(VALU_DEP_1)
	v_fma_f64 v[42:43], v[42:43], v[44:45], v[42:43]
	v_mul_f64_e32 v[44:45], v[46:47], v[42:43]
	s_delay_alu instid0(VALU_DEP_1) | instskip(SKIP_1) | instid1(VALU_DEP_1)
	v_fma_f64 v[40:41], -v[40:41], v[44:45], v[46:47]
	s_wait_alu 0xfffd
	v_div_fmas_f64 v[40:41], v[40:41], v[42:43], v[44:45]
	v_fma_f64 v[42:43], v[19:20], v[23:24], v[25:26]
	s_delay_alu instid0(VALU_DEP_2) | instskip(SKIP_1) | instid1(VALU_DEP_2)
	v_div_fixup_f64 v[21:22], v[40:41], v[21:22], 1.0
	v_fma_f64 v[40:41], v[19:20], v[25:26], -v[23:24]
	v_mul_f64_e32 v[19:20], v[42:43], v[21:22]
	s_delay_alu instid0(VALU_DEP_2)
	v_mul_f64_e32 v[21:22], v[40:41], v[21:22]
.LBB228_126:                            ;   in Loop: Header=BB228_114 Depth=2
	s_wait_alu 0xfffe
	s_and_not1_b32 vcc_lo, exec_lo, s37
	s_wait_alu 0xfffe
	s_cbranch_vccnz .LBB228_128
; %bb.127:                              ;   in Loop: Header=BB228_114 Depth=2
	v_div_scale_f64 v[19:20], null, v[7:8], v[7:8], v[9:10]
	v_div_scale_f64 v[42:43], vcc_lo, v[9:10], v[7:8], v[9:10]
	s_delay_alu instid0(VALU_DEP_2) | instskip(NEXT) | instid1(TRANS32_DEP_1)
	v_rcp_f64_e32 v[21:22], v[19:20]
	v_fma_f64 v[40:41], -v[19:20], v[21:22], 1.0
	s_delay_alu instid0(VALU_DEP_1) | instskip(NEXT) | instid1(VALU_DEP_1)
	v_fma_f64 v[21:22], v[21:22], v[40:41], v[21:22]
	v_fma_f64 v[40:41], -v[19:20], v[21:22], 1.0
	s_delay_alu instid0(VALU_DEP_1) | instskip(NEXT) | instid1(VALU_DEP_1)
	v_fma_f64 v[21:22], v[21:22], v[40:41], v[21:22]
	v_mul_f64_e32 v[40:41], v[42:43], v[21:22]
	s_delay_alu instid0(VALU_DEP_1) | instskip(SKIP_1) | instid1(VALU_DEP_1)
	v_fma_f64 v[19:20], -v[19:20], v[40:41], v[42:43]
	s_wait_alu 0xfffd
	v_div_fmas_f64 v[19:20], v[19:20], v[21:22], v[40:41]
	s_delay_alu instid0(VALU_DEP_1) | instskip(NEXT) | instid1(VALU_DEP_1)
	v_div_fixup_f64 v[19:20], v[19:20], v[7:8], v[9:10]
	v_fma_f64 v[7:8], v[9:10], v[19:20], v[7:8]
	s_delay_alu instid0(VALU_DEP_1) | instskip(SKIP_1) | instid1(VALU_DEP_2)
	v_div_scale_f64 v[9:10], null, v[7:8], v[7:8], 1.0
	v_div_scale_f64 v[42:43], vcc_lo, 1.0, v[7:8], 1.0
	v_rcp_f64_e32 v[21:22], v[9:10]
	s_delay_alu instid0(TRANS32_DEP_1) | instskip(NEXT) | instid1(VALU_DEP_1)
	v_fma_f64 v[40:41], -v[9:10], v[21:22], 1.0
	v_fma_f64 v[21:22], v[21:22], v[40:41], v[21:22]
	s_delay_alu instid0(VALU_DEP_1) | instskip(NEXT) | instid1(VALU_DEP_1)
	v_fma_f64 v[40:41], -v[9:10], v[21:22], 1.0
	v_fma_f64 v[21:22], v[21:22], v[40:41], v[21:22]
	s_delay_alu instid0(VALU_DEP_1) | instskip(NEXT) | instid1(VALU_DEP_1)
	v_mul_f64_e32 v[40:41], v[42:43], v[21:22]
	v_fma_f64 v[9:10], -v[9:10], v[40:41], v[42:43]
	s_wait_alu 0xfffd
	s_delay_alu instid0(VALU_DEP_1) | instskip(SKIP_1) | instid1(VALU_DEP_2)
	v_div_fmas_f64 v[9:10], v[9:10], v[21:22], v[40:41]
	v_fma_f64 v[21:22], v[19:20], v[25:26], v[23:24]
	v_div_fixup_f64 v[7:8], v[9:10], v[7:8], 1.0
	v_fma_f64 v[9:10], -v[19:20], v[23:24], v[25:26]
	s_delay_alu instid0(VALU_DEP_2) | instskip(NEXT) | instid1(VALU_DEP_2)
	v_mul_f64_e32 v[19:20], v[21:22], v[7:8]
	v_mul_f64_e32 v[21:22], v[9:10], v[7:8]
.LBB228_128:                            ;   in Loop: Header=BB228_114 Depth=2
	v_mov_b32_e32 v31, s36
	ds_load_b128 v[7:10], v31 offset:384
	ds_load_b128 v[23:26], v31 offset:400
	s_wait_dscnt 0x1
	v_mul_f64_e32 v[40:41], v[13:14], v[9:10]
	v_mul_f64_e32 v[9:10], v[11:12], v[9:10]
	s_wait_dscnt 0x0
	v_mul_f64_e32 v[42:43], v[17:18], v[25:26]
	v_mul_f64_e32 v[25:26], v[15:16], v[25:26]
	s_delay_alu instid0(VALU_DEP_4) | instskip(NEXT) | instid1(VALU_DEP_4)
	v_fma_f64 v[40:41], v[11:12], v[7:8], -v[40:41]
	v_fma_f64 v[44:45], v[13:14], v[7:8], v[9:10]
	ds_load_b128 v[11:14], v31 offset:416
	ds_load_b128 v[7:10], v31 offset:432
	v_fma_f64 v[15:16], v[15:16], v[23:24], -v[42:43]
	v_fma_f64 v[17:18], v[17:18], v[23:24], v[25:26]
	ds_store_b128 v30, v[19:22] offset:768
	s_wait_dscnt 0x2
	v_mul_f64_e32 v[46:47], v[21:22], v[13:14]
	v_mul_f64_e32 v[13:14], v[19:20], v[13:14]
	s_wait_dscnt 0x1
	v_cmp_ngt_f64_e64 s36, |v[7:8]|, |v[9:10]|
	v_add_f64_e64 v[3:4], v[3:4], -v[40:41]
	v_add_f64_e64 v[5:6], v[5:6], -v[44:45]
	v_fma_f64 v[23:24], v[19:20], v[11:12], -v[46:47]
	v_fma_f64 v[13:14], v[21:22], v[11:12], v[13:14]
	s_and_b32 vcc_lo, exec_lo, s36
	s_mov_b32 s36, -1
	s_delay_alu instid0(VALU_DEP_4) | instskip(NEXT) | instid1(VALU_DEP_4)
	v_add_f64_e64 v[3:4], v[3:4], -v[15:16]
	v_add_f64_e64 v[5:6], v[5:6], -v[17:18]
	s_delay_alu instid0(VALU_DEP_2) | instskip(NEXT) | instid1(VALU_DEP_2)
	v_add_f64_e64 v[11:12], v[3:4], -v[23:24]
	v_add_f64_e64 v[13:14], v[5:6], -v[13:14]
                                        ; implicit-def: $vgpr5_vgpr6
	s_wait_alu 0xfffe
	s_cbranch_vccz .LBB228_130
; %bb.129:                              ;   in Loop: Header=BB228_114 Depth=2
	v_div_scale_f64 v[3:4], null, v[9:10], v[9:10], v[7:8]
	v_div_scale_f64 v[17:18], vcc_lo, v[7:8], v[9:10], v[7:8]
	s_mov_b32 s36, 0
	v_rcp_f64_e32 v[5:6], v[3:4]
	s_delay_alu instid0(TRANS32_DEP_1) | instskip(NEXT) | instid1(VALU_DEP_1)
	v_fma_f64 v[15:16], -v[3:4], v[5:6], 1.0
	v_fma_f64 v[5:6], v[5:6], v[15:16], v[5:6]
	s_delay_alu instid0(VALU_DEP_1) | instskip(NEXT) | instid1(VALU_DEP_1)
	v_fma_f64 v[15:16], -v[3:4], v[5:6], 1.0
	v_fma_f64 v[5:6], v[5:6], v[15:16], v[5:6]
	s_delay_alu instid0(VALU_DEP_1) | instskip(NEXT) | instid1(VALU_DEP_1)
	v_mul_f64_e32 v[15:16], v[17:18], v[5:6]
	v_fma_f64 v[3:4], -v[3:4], v[15:16], v[17:18]
	s_wait_alu 0xfffd
	s_delay_alu instid0(VALU_DEP_1) | instskip(NEXT) | instid1(VALU_DEP_1)
	v_div_fmas_f64 v[3:4], v[3:4], v[5:6], v[15:16]
	v_div_fixup_f64 v[3:4], v[3:4], v[9:10], v[7:8]
	s_delay_alu instid0(VALU_DEP_1) | instskip(NEXT) | instid1(VALU_DEP_1)
	v_fma_f64 v[5:6], v[7:8], v[3:4], v[9:10]
	v_div_scale_f64 v[15:16], null, v[5:6], v[5:6], 1.0
	v_div_scale_f64 v[21:22], vcc_lo, 1.0, v[5:6], 1.0
	s_delay_alu instid0(VALU_DEP_2) | instskip(NEXT) | instid1(TRANS32_DEP_1)
	v_rcp_f64_e32 v[17:18], v[15:16]
	v_fma_f64 v[19:20], -v[15:16], v[17:18], 1.0
	s_delay_alu instid0(VALU_DEP_1) | instskip(NEXT) | instid1(VALU_DEP_1)
	v_fma_f64 v[17:18], v[17:18], v[19:20], v[17:18]
	v_fma_f64 v[19:20], -v[15:16], v[17:18], 1.0
	s_delay_alu instid0(VALU_DEP_1) | instskip(NEXT) | instid1(VALU_DEP_1)
	v_fma_f64 v[17:18], v[17:18], v[19:20], v[17:18]
	v_mul_f64_e32 v[19:20], v[21:22], v[17:18]
	s_delay_alu instid0(VALU_DEP_1) | instskip(SKIP_1) | instid1(VALU_DEP_1)
	v_fma_f64 v[15:16], -v[15:16], v[19:20], v[21:22]
	s_wait_alu 0xfffd
	v_div_fmas_f64 v[15:16], v[15:16], v[17:18], v[19:20]
	v_fma_f64 v[17:18], v[3:4], v[11:12], v[13:14]
	s_delay_alu instid0(VALU_DEP_2) | instskip(SKIP_1) | instid1(VALU_DEP_2)
	v_div_fixup_f64 v[5:6], v[15:16], v[5:6], 1.0
	v_fma_f64 v[15:16], v[3:4], v[13:14], -v[11:12]
	v_mul_f64_e32 v[3:4], v[17:18], v[5:6]
	s_delay_alu instid0(VALU_DEP_2)
	v_mul_f64_e32 v[5:6], v[15:16], v[5:6]
.LBB228_130:                            ;   in Loop: Header=BB228_114 Depth=2
	s_wait_alu 0xfffe
	s_and_not1_b32 vcc_lo, exec_lo, s36
	s_wait_alu 0xfffe
	s_cbranch_vccnz .LBB228_132
; %bb.131:                              ;   in Loop: Header=BB228_114 Depth=2
	v_div_scale_f64 v[3:4], null, v[7:8], v[7:8], v[9:10]
	v_div_scale_f64 v[17:18], vcc_lo, v[9:10], v[7:8], v[9:10]
	s_delay_alu instid0(VALU_DEP_2) | instskip(NEXT) | instid1(TRANS32_DEP_1)
	v_rcp_f64_e32 v[5:6], v[3:4]
	v_fma_f64 v[15:16], -v[3:4], v[5:6], 1.0
	s_delay_alu instid0(VALU_DEP_1) | instskip(NEXT) | instid1(VALU_DEP_1)
	v_fma_f64 v[5:6], v[5:6], v[15:16], v[5:6]
	v_fma_f64 v[15:16], -v[3:4], v[5:6], 1.0
	s_delay_alu instid0(VALU_DEP_1) | instskip(NEXT) | instid1(VALU_DEP_1)
	v_fma_f64 v[5:6], v[5:6], v[15:16], v[5:6]
	v_mul_f64_e32 v[15:16], v[17:18], v[5:6]
	s_delay_alu instid0(VALU_DEP_1) | instskip(SKIP_1) | instid1(VALU_DEP_1)
	v_fma_f64 v[3:4], -v[3:4], v[15:16], v[17:18]
	s_wait_alu 0xfffd
	v_div_fmas_f64 v[3:4], v[3:4], v[5:6], v[15:16]
	s_delay_alu instid0(VALU_DEP_1) | instskip(NEXT) | instid1(VALU_DEP_1)
	v_div_fixup_f64 v[3:4], v[3:4], v[7:8], v[9:10]
	v_fma_f64 v[5:6], v[9:10], v[3:4], v[7:8]
	s_delay_alu instid0(VALU_DEP_1) | instskip(SKIP_1) | instid1(VALU_DEP_2)
	v_div_scale_f64 v[7:8], null, v[5:6], v[5:6], 1.0
	v_div_scale_f64 v[17:18], vcc_lo, 1.0, v[5:6], 1.0
	v_rcp_f64_e32 v[9:10], v[7:8]
	s_delay_alu instid0(TRANS32_DEP_1) | instskip(NEXT) | instid1(VALU_DEP_1)
	v_fma_f64 v[15:16], -v[7:8], v[9:10], 1.0
	v_fma_f64 v[9:10], v[9:10], v[15:16], v[9:10]
	s_delay_alu instid0(VALU_DEP_1) | instskip(NEXT) | instid1(VALU_DEP_1)
	v_fma_f64 v[15:16], -v[7:8], v[9:10], 1.0
	v_fma_f64 v[9:10], v[9:10], v[15:16], v[9:10]
	s_delay_alu instid0(VALU_DEP_1) | instskip(NEXT) | instid1(VALU_DEP_1)
	v_mul_f64_e32 v[15:16], v[17:18], v[9:10]
	v_fma_f64 v[7:8], -v[7:8], v[15:16], v[17:18]
	s_wait_alu 0xfffd
	s_delay_alu instid0(VALU_DEP_1) | instskip(SKIP_1) | instid1(VALU_DEP_2)
	v_div_fmas_f64 v[7:8], v[7:8], v[9:10], v[15:16]
	v_fma_f64 v[9:10], v[3:4], v[13:14], v[11:12]
	v_div_fixup_f64 v[5:6], v[7:8], v[5:6], 1.0
	v_fma_f64 v[7:8], -v[3:4], v[11:12], v[13:14]
	s_delay_alu instid0(VALU_DEP_2) | instskip(NEXT) | instid1(VALU_DEP_2)
	v_mul_f64_e32 v[3:4], v[9:10], v[5:6]
	v_mul_f64_e32 v[5:6], v[7:8], v[5:6]
.LBB228_132:                            ;   in Loop: Header=BB228_114 Depth=2
	s_add_co_i32 s36, s21, 4
	s_add_co_i32 s21, s21, 7
	s_addk_co_i32 s20, 0x600
	s_wait_alu 0xfffe
	s_cmp_ge_i32 s21, s26
	ds_store_b128 v30, v[3:6] offset:1152
	s_cbranch_scc1 .LBB228_134
; %bb.133:                              ;   in Loop: Header=BB228_114 Depth=2
	s_mov_b32 s21, s36
	s_branch .LBB228_114
.LBB228_134:                            ;   in Loop: Header=BB228_3 Depth=1
	s_cmp_ge_i32 s36, s26
	s_cbranch_scc1 .LBB228_143
; %bb.135:                              ;   in Loop: Header=BB228_3 Depth=1
	s_mul_i32 s20, s36, 0x180
	s_branch .LBB228_137
.LBB228_136:                            ;   in Loop: Header=BB228_137 Depth=2
	s_add_co_i32 s36, s36, 1
	s_addk_co_i32 s20, 0x180
	s_wait_alu 0xfffe
	s_cmp_ge_i32 s36, s26
	ds_store_b128 v15, v[11:14]
	s_cbranch_scc1 .LBB228_143
.LBB228_137:                            ;   Parent Loop BB228_3 Depth=1
                                        ; =>  This Loop Header: Depth=2
                                        ;       Child Loop BB228_138 Depth 3
	v_mad_co_u64_u32 v[15:16], null, 0x180, s36, v[27:28]
	v_mov_b32_e32 v7, v27
	s_cmp_eq_u32 s36, 0
	s_wait_alu 0xfffe
	s_mov_b32 s21, s20
	s_mov_b32 s37, s36
	ds_load_b128 v[3:6], v15
	s_cbranch_scc1 .LBB228_139
.LBB228_138:                            ;   Parent Loop BB228_3 Depth=1
                                        ;     Parent Loop BB228_137 Depth=2
                                        ; =>    This Inner Loop Header: Depth=3
	s_wait_alu 0xfffe
	v_mov_b32_e32 v12, s21
	s_add_co_i32 s37, s37, -1
	s_add_co_i32 s21, s21, 16
	s_wait_alu 0xfffe
	s_cmp_eq_u32 s37, 0
	ds_load_b128 v[8:11], v7
	ds_load_b128 v[16:19], v12
	v_add_nc_u32_e32 v7, 0x180, v7
	s_wait_dscnt 0x0
	v_mul_f64_e32 v[12:13], v[18:19], v[10:11]
	v_mul_f64_e32 v[10:11], v[16:17], v[10:11]
	s_delay_alu instid0(VALU_DEP_2) | instskip(NEXT) | instid1(VALU_DEP_2)
	v_fma_f64 v[12:13], v[16:17], v[8:9], -v[12:13]
	v_fma_f64 v[8:9], v[18:19], v[8:9], v[10:11]
	s_delay_alu instid0(VALU_DEP_2) | instskip(NEXT) | instid1(VALU_DEP_2)
	v_add_f64_e64 v[3:4], v[3:4], -v[12:13]
	v_add_f64_e64 v[5:6], v[5:6], -v[8:9]
	s_cbranch_scc0 .LBB228_138
.LBB228_139:                            ;   in Loop: Header=BB228_137 Depth=2
	s_mul_i32 s21, s36, 0x190
                                        ; implicit-def: $vgpr11_vgpr12
	s_wait_alu 0xfffe
	v_mov_b32_e32 v7, s21
	ds_load_b128 v[7:10], v7
	s_wait_dscnt 0x0
	v_cmp_ngt_f64_e64 s21, |v[7:8]|, |v[9:10]|
	s_and_b32 vcc_lo, exec_lo, s21
	s_mov_b32 s21, -1
	s_wait_alu 0xfffe
	s_cbranch_vccz .LBB228_141
; %bb.140:                              ;   in Loop: Header=BB228_137 Depth=2
	v_div_scale_f64 v[11:12], null, v[9:10], v[9:10], v[7:8]
	v_div_scale_f64 v[18:19], vcc_lo, v[7:8], v[9:10], v[7:8]
	s_mov_b32 s21, 0
	v_rcp_f64_e32 v[13:14], v[11:12]
	s_delay_alu instid0(TRANS32_DEP_1) | instskip(NEXT) | instid1(VALU_DEP_1)
	v_fma_f64 v[16:17], -v[11:12], v[13:14], 1.0
	v_fma_f64 v[13:14], v[13:14], v[16:17], v[13:14]
	s_delay_alu instid0(VALU_DEP_1) | instskip(NEXT) | instid1(VALU_DEP_1)
	v_fma_f64 v[16:17], -v[11:12], v[13:14], 1.0
	v_fma_f64 v[13:14], v[13:14], v[16:17], v[13:14]
	s_delay_alu instid0(VALU_DEP_1) | instskip(NEXT) | instid1(VALU_DEP_1)
	v_mul_f64_e32 v[16:17], v[18:19], v[13:14]
	v_fma_f64 v[11:12], -v[11:12], v[16:17], v[18:19]
	s_wait_alu 0xfffd
	s_delay_alu instid0(VALU_DEP_1) | instskip(NEXT) | instid1(VALU_DEP_1)
	v_div_fmas_f64 v[11:12], v[11:12], v[13:14], v[16:17]
	v_div_fixup_f64 v[11:12], v[11:12], v[9:10], v[7:8]
	s_delay_alu instid0(VALU_DEP_1) | instskip(NEXT) | instid1(VALU_DEP_1)
	v_fma_f64 v[13:14], v[7:8], v[11:12], v[9:10]
	v_div_scale_f64 v[16:17], null, v[13:14], v[13:14], 1.0
	v_div_scale_f64 v[22:23], vcc_lo, 1.0, v[13:14], 1.0
	s_delay_alu instid0(VALU_DEP_2) | instskip(NEXT) | instid1(TRANS32_DEP_1)
	v_rcp_f64_e32 v[18:19], v[16:17]
	v_fma_f64 v[20:21], -v[16:17], v[18:19], 1.0
	s_delay_alu instid0(VALU_DEP_1) | instskip(NEXT) | instid1(VALU_DEP_1)
	v_fma_f64 v[18:19], v[18:19], v[20:21], v[18:19]
	v_fma_f64 v[20:21], -v[16:17], v[18:19], 1.0
	s_delay_alu instid0(VALU_DEP_1) | instskip(NEXT) | instid1(VALU_DEP_1)
	v_fma_f64 v[18:19], v[18:19], v[20:21], v[18:19]
	v_mul_f64_e32 v[20:21], v[22:23], v[18:19]
	s_delay_alu instid0(VALU_DEP_1) | instskip(SKIP_1) | instid1(VALU_DEP_1)
	v_fma_f64 v[16:17], -v[16:17], v[20:21], v[22:23]
	s_wait_alu 0xfffd
	v_div_fmas_f64 v[16:17], v[16:17], v[18:19], v[20:21]
	v_fma_f64 v[18:19], v[3:4], v[11:12], v[5:6]
	s_delay_alu instid0(VALU_DEP_2) | instskip(SKIP_1) | instid1(VALU_DEP_2)
	v_div_fixup_f64 v[13:14], v[16:17], v[13:14], 1.0
	v_fma_f64 v[16:17], v[5:6], v[11:12], -v[3:4]
	v_mul_f64_e32 v[11:12], v[18:19], v[13:14]
	s_delay_alu instid0(VALU_DEP_2)
	v_mul_f64_e32 v[13:14], v[16:17], v[13:14]
.LBB228_141:                            ;   in Loop: Header=BB228_137 Depth=2
	s_wait_alu 0xfffe
	s_and_not1_b32 vcc_lo, exec_lo, s21
	s_wait_alu 0xfffe
	s_cbranch_vccnz .LBB228_136
; %bb.142:                              ;   in Loop: Header=BB228_137 Depth=2
	v_div_scale_f64 v[11:12], null, v[7:8], v[7:8], v[9:10]
	v_div_scale_f64 v[18:19], vcc_lo, v[9:10], v[7:8], v[9:10]
	s_delay_alu instid0(VALU_DEP_2) | instskip(NEXT) | instid1(TRANS32_DEP_1)
	v_rcp_f64_e32 v[13:14], v[11:12]
	v_fma_f64 v[16:17], -v[11:12], v[13:14], 1.0
	s_delay_alu instid0(VALU_DEP_1) | instskip(NEXT) | instid1(VALU_DEP_1)
	v_fma_f64 v[13:14], v[13:14], v[16:17], v[13:14]
	v_fma_f64 v[16:17], -v[11:12], v[13:14], 1.0
	s_delay_alu instid0(VALU_DEP_1) | instskip(NEXT) | instid1(VALU_DEP_1)
	v_fma_f64 v[13:14], v[13:14], v[16:17], v[13:14]
	v_mul_f64_e32 v[16:17], v[18:19], v[13:14]
	s_delay_alu instid0(VALU_DEP_1) | instskip(SKIP_1) | instid1(VALU_DEP_1)
	v_fma_f64 v[11:12], -v[11:12], v[16:17], v[18:19]
	s_wait_alu 0xfffd
	v_div_fmas_f64 v[11:12], v[11:12], v[13:14], v[16:17]
	s_delay_alu instid0(VALU_DEP_1) | instskip(NEXT) | instid1(VALU_DEP_1)
	v_div_fixup_f64 v[11:12], v[11:12], v[7:8], v[9:10]
	v_fma_f64 v[7:8], v[9:10], v[11:12], v[7:8]
	s_delay_alu instid0(VALU_DEP_1) | instskip(SKIP_1) | instid1(VALU_DEP_2)
	v_div_scale_f64 v[9:10], null, v[7:8], v[7:8], 1.0
	v_div_scale_f64 v[18:19], vcc_lo, 1.0, v[7:8], 1.0
	v_rcp_f64_e32 v[13:14], v[9:10]
	s_delay_alu instid0(TRANS32_DEP_1) | instskip(NEXT) | instid1(VALU_DEP_1)
	v_fma_f64 v[16:17], -v[9:10], v[13:14], 1.0
	v_fma_f64 v[13:14], v[13:14], v[16:17], v[13:14]
	s_delay_alu instid0(VALU_DEP_1) | instskip(NEXT) | instid1(VALU_DEP_1)
	v_fma_f64 v[16:17], -v[9:10], v[13:14], 1.0
	v_fma_f64 v[13:14], v[13:14], v[16:17], v[13:14]
	s_delay_alu instid0(VALU_DEP_1) | instskip(NEXT) | instid1(VALU_DEP_1)
	v_mul_f64_e32 v[16:17], v[18:19], v[13:14]
	v_fma_f64 v[9:10], -v[9:10], v[16:17], v[18:19]
	s_wait_alu 0xfffd
	s_delay_alu instid0(VALU_DEP_1) | instskip(SKIP_2) | instid1(VALU_DEP_3)
	v_div_fmas_f64 v[9:10], v[9:10], v[13:14], v[16:17]
	v_fma_f64 v[13:14], v[5:6], v[11:12], v[3:4]
	v_fma_f64 v[3:4], -v[3:4], v[11:12], v[5:6]
	v_div_fixup_f64 v[7:8], v[9:10], v[7:8], 1.0
	s_delay_alu instid0(VALU_DEP_1) | instskip(NEXT) | instid1(VALU_DEP_3)
	v_mul_f64_e32 v[11:12], v[13:14], v[7:8]
	v_mul_f64_e32 v[13:14], v[3:4], v[7:8]
	s_branch .LBB228_136
.LBB228_143:                            ;   in Loop: Header=BB228_3 Depth=1
	s_and_saveexec_b32 s20, s23
	s_cbranch_execz .LBB228_2
; %bb.144:                              ;   in Loop: Header=BB228_3 Depth=1
	v_add_co_u32 v3, vcc_lo, v28, s10
	s_wait_alu 0xfffd
	v_add_co_ci_u32_e64 v4, null, s11, v29, vcc_lo
	v_mov_b32_e32 v5, v27
	s_delay_alu instid0(VALU_DEP_3) | instskip(SKIP_1) | instid1(VALU_DEP_3)
	v_add_co_u32 v3, vcc_lo, v3, s16
	s_wait_alu 0xfffd
	v_add_co_ci_u32_e64 v4, null, s17, v4, vcc_lo
	s_mov_b32 s21, s25
	v_add_co_u32 v3, vcc_lo, v3, v0
	s_wait_alu 0xfffd
	v_add_co_ci_u32_e64 v4, null, 0, v4, vcc_lo
.LBB228_145:                            ;   Parent Loop BB228_3 Depth=1
                                        ; =>  This Inner Loop Header: Depth=2
	ds_load_2addr_b64 v[6:9], v5 offset1:1
	v_add_nc_u32_e32 v5, 0x180, v5
	s_wait_alu 0xfffe
	s_add_co_i32 s21, s21, -1
	s_wait_alu 0xfffe
	s_cmp_lg_u32 s21, 0
	s_wait_dscnt 0x0
	flat_store_b128 v[3:4], v[6:9]
	v_add_co_u32 v3, vcc_lo, v3, s18
	s_wait_alu 0xfffd
	v_add_co_ci_u32_e64 v4, null, s19, v4, vcc_lo
	s_cbranch_scc1 .LBB228_145
	s_branch .LBB228_2
.LBB228_146:
	s_endpgm
	.section	.rodata,"a",@progbits
	.p2align	6, 0x0
	.amdhsa_kernel _ZL31rocblas_trsm_small_right_deviceI19rocblas_complex_numIdES1_PKPKS1_PKPS1_Li24EEv13rocblas_fill_18rocblas_operation_17rocblas_diagonal_iiT0_T1_lilT2_lili
		.amdhsa_group_segment_fixed_size 18432
		.amdhsa_private_segment_fixed_size 0
		.amdhsa_kernarg_size 368
		.amdhsa_user_sgpr_count 2
		.amdhsa_user_sgpr_dispatch_ptr 0
		.amdhsa_user_sgpr_queue_ptr 0
		.amdhsa_user_sgpr_kernarg_segment_ptr 1
		.amdhsa_user_sgpr_dispatch_id 0
		.amdhsa_user_sgpr_private_segment_size 0
		.amdhsa_wavefront_size32 1
		.amdhsa_uses_dynamic_stack 0
		.amdhsa_enable_private_segment 0
		.amdhsa_system_sgpr_workgroup_id_x 1
		.amdhsa_system_sgpr_workgroup_id_y 0
		.amdhsa_system_sgpr_workgroup_id_z 1
		.amdhsa_system_sgpr_workgroup_info 0
		.amdhsa_system_vgpr_workitem_id 0
		.amdhsa_next_free_vgpr 241
		.amdhsa_next_free_sgpr 42
		.amdhsa_reserve_vcc 1
		.amdhsa_float_round_mode_32 0
		.amdhsa_float_round_mode_16_64 0
		.amdhsa_float_denorm_mode_32 3
		.amdhsa_float_denorm_mode_16_64 3
		.amdhsa_fp16_overflow 0
		.amdhsa_workgroup_processor_mode 1
		.amdhsa_memory_ordered 1
		.amdhsa_forward_progress 1
		.amdhsa_inst_pref_size 129
		.amdhsa_round_robin_scheduling 0
		.amdhsa_exception_fp_ieee_invalid_op 0
		.amdhsa_exception_fp_denorm_src 0
		.amdhsa_exception_fp_ieee_div_zero 0
		.amdhsa_exception_fp_ieee_overflow 0
		.amdhsa_exception_fp_ieee_underflow 0
		.amdhsa_exception_fp_ieee_inexact 0
		.amdhsa_exception_int_div_zero 0
	.end_amdhsa_kernel
	.section	.text._ZL31rocblas_trsm_small_right_deviceI19rocblas_complex_numIdES1_PKPKS1_PKPS1_Li24EEv13rocblas_fill_18rocblas_operation_17rocblas_diagonal_iiT0_T1_lilT2_lili,"axG",@progbits,_ZL31rocblas_trsm_small_right_deviceI19rocblas_complex_numIdES1_PKPKS1_PKPS1_Li24EEv13rocblas_fill_18rocblas_operation_17rocblas_diagonal_iiT0_T1_lilT2_lili,comdat
.Lfunc_end228:
	.size	_ZL31rocblas_trsm_small_right_deviceI19rocblas_complex_numIdES1_PKPKS1_PKPS1_Li24EEv13rocblas_fill_18rocblas_operation_17rocblas_diagonal_iiT0_T1_lilT2_lili, .Lfunc_end228-_ZL31rocblas_trsm_small_right_deviceI19rocblas_complex_numIdES1_PKPKS1_PKPS1_Li24EEv13rocblas_fill_18rocblas_operation_17rocblas_diagonal_iiT0_T1_lilT2_lili
                                        ; -- End function
	.set _ZL31rocblas_trsm_small_right_deviceI19rocblas_complex_numIdES1_PKPKS1_PKPS1_Li24EEv13rocblas_fill_18rocblas_operation_17rocblas_diagonal_iiT0_T1_lilT2_lili.num_vgpr, 64
	.set _ZL31rocblas_trsm_small_right_deviceI19rocblas_complex_numIdES1_PKPKS1_PKPS1_Li24EEv13rocblas_fill_18rocblas_operation_17rocblas_diagonal_iiT0_T1_lilT2_lili.num_agpr, 0
	.set _ZL31rocblas_trsm_small_right_deviceI19rocblas_complex_numIdES1_PKPKS1_PKPS1_Li24EEv13rocblas_fill_18rocblas_operation_17rocblas_diagonal_iiT0_T1_lilT2_lili.numbered_sgpr, 42
	.set _ZL31rocblas_trsm_small_right_deviceI19rocblas_complex_numIdES1_PKPKS1_PKPS1_Li24EEv13rocblas_fill_18rocblas_operation_17rocblas_diagonal_iiT0_T1_lilT2_lili.num_named_barrier, 0
	.set _ZL31rocblas_trsm_small_right_deviceI19rocblas_complex_numIdES1_PKPKS1_PKPS1_Li24EEv13rocblas_fill_18rocblas_operation_17rocblas_diagonal_iiT0_T1_lilT2_lili.private_seg_size, 0
	.set _ZL31rocblas_trsm_small_right_deviceI19rocblas_complex_numIdES1_PKPKS1_PKPS1_Li24EEv13rocblas_fill_18rocblas_operation_17rocblas_diagonal_iiT0_T1_lilT2_lili.uses_vcc, 1
	.set _ZL31rocblas_trsm_small_right_deviceI19rocblas_complex_numIdES1_PKPKS1_PKPS1_Li24EEv13rocblas_fill_18rocblas_operation_17rocblas_diagonal_iiT0_T1_lilT2_lili.uses_flat_scratch, 0
	.set _ZL31rocblas_trsm_small_right_deviceI19rocblas_complex_numIdES1_PKPKS1_PKPS1_Li24EEv13rocblas_fill_18rocblas_operation_17rocblas_diagonal_iiT0_T1_lilT2_lili.has_dyn_sized_stack, 0
	.set _ZL31rocblas_trsm_small_right_deviceI19rocblas_complex_numIdES1_PKPKS1_PKPS1_Li24EEv13rocblas_fill_18rocblas_operation_17rocblas_diagonal_iiT0_T1_lilT2_lili.has_recursion, 0
	.set _ZL31rocblas_trsm_small_right_deviceI19rocblas_complex_numIdES1_PKPKS1_PKPS1_Li24EEv13rocblas_fill_18rocblas_operation_17rocblas_diagonal_iiT0_T1_lilT2_lili.has_indirect_call, 0
	.section	.AMDGPU.csdata,"",@progbits
; Kernel info:
; codeLenInByte = 16472
; TotalNumSgprs: 44
; NumVgprs: 64
; ScratchSize: 0
; MemoryBound: 0
; FloatMode: 240
; IeeeMode: 1
; LDSByteSize: 18432 bytes/workgroup (compile time only)
; SGPRBlocks: 0
; VGPRBlocks: 30
; NumSGPRsForWavesPerEU: 44
; NumVGPRsForWavesPerEU: 241
; Occupancy: 2
; WaveLimiterHint : 0
; COMPUTE_PGM_RSRC2:SCRATCH_EN: 0
; COMPUTE_PGM_RSRC2:USER_SGPR: 2
; COMPUTE_PGM_RSRC2:TRAP_HANDLER: 0
; COMPUTE_PGM_RSRC2:TGID_X_EN: 1
; COMPUTE_PGM_RSRC2:TGID_Y_EN: 0
; COMPUTE_PGM_RSRC2:TGID_Z_EN: 1
; COMPUTE_PGM_RSRC2:TIDIG_COMP_CNT: 0
	.section	.text._ZL38rocblas_trsm_small_left_device_sharedBILi28ELi28ELb0E19rocblas_complex_numIdES1_PKPKS1_PKPS1_Ev13rocblas_fill_18rocblas_operation_17rocblas_diagonal_iiT3_T4_lilT5_lili,"axG",@progbits,_ZL38rocblas_trsm_small_left_device_sharedBILi28ELi28ELb0E19rocblas_complex_numIdES1_PKPKS1_PKPS1_Ev13rocblas_fill_18rocblas_operation_17rocblas_diagonal_iiT3_T4_lilT5_lili,comdat
	.globl	_ZL38rocblas_trsm_small_left_device_sharedBILi28ELi28ELb0E19rocblas_complex_numIdES1_PKPKS1_PKPS1_Ev13rocblas_fill_18rocblas_operation_17rocblas_diagonal_iiT3_T4_lilT5_lili ; -- Begin function _ZL38rocblas_trsm_small_left_device_sharedBILi28ELi28ELb0E19rocblas_complex_numIdES1_PKPKS1_PKPS1_Ev13rocblas_fill_18rocblas_operation_17rocblas_diagonal_iiT3_T4_lilT5_lili
	.p2align	8
	.type	_ZL38rocblas_trsm_small_left_device_sharedBILi28ELi28ELb0E19rocblas_complex_numIdES1_PKPKS1_PKPS1_Ev13rocblas_fill_18rocblas_operation_17rocblas_diagonal_iiT3_T4_lilT5_lili,@function
_ZL38rocblas_trsm_small_left_device_sharedBILi28ELi28ELb0E19rocblas_complex_numIdES1_PKPKS1_PKPS1_Ev13rocblas_fill_18rocblas_operation_17rocblas_diagonal_iiT3_T4_lilT5_lili: ; @_ZL38rocblas_trsm_small_left_device_sharedBILi28ELi28ELb0E19rocblas_complex_numIdES1_PKPKS1_PKPS1_Ev13rocblas_fill_18rocblas_operation_17rocblas_diagonal_iiT3_T4_lilT5_lili
; %bb.0:
	s_load_b32 s24, s[0:1], 0x68
	s_lshr_b32 s2, ttmp7, 16
	s_wait_kmcnt 0x0
	s_cmp_ge_u32 s2, s24
	s_cbranch_scc1 .LBB229_62
; %bb.1:
	s_clause 0x5
	s_load_b32 s22, s[0:1], 0x38
	s_load_b32 s30, s[0:1], 0x58
	s_load_b128 s[16:19], s[0:1], 0x4
	s_load_b32 s3, s[0:1], 0x70
	s_load_b128 s[12:15], s[0:1], 0x48
	s_load_b256 s[4:11], s[0:1], 0x18
	s_mul_i32 s1, ttmp9, 0xffffffe4
	s_mul_i32 s34, ttmp9, 28
	v_dual_mov_b32 v14, 0 :: v_dual_lshlrev_b32 v13, 4, v0
	v_mul_u32_u24_e32 v5, 0x1c0, v0
	s_mov_b32 s21, 0
	s_delay_alu instid0(VALU_DEP_2) | instskip(NEXT) | instid1(VALU_DEP_2)
	v_add_nc_u32_e32 v8, 0x3100, v13
	v_add_nc_u32_e32 v19, v13, v5
	s_wait_kmcnt 0x0
	s_ashr_i32 s23, s22, 31
	s_ashr_i32 s31, s30, 31
	s_cmp_eq_u32 s16, 0x71
	v_mad_co_i64_i32 v[1:2], null, s30, v0, 0
	s_cselect_b32 s0, -1, 0
	s_min_i32 s25, s18, 28
	s_add_co_i32 s3, s3, -1
	s_add_co_i32 s1, s19, s1
	s_add_co_i32 s26, s25, -1
	s_cmp_ge_u32 ttmp9, s3
	v_lshlrev_b64_e32 v[9:10], 4, v[1:2]
	s_cselect_b32 s3, s1, 28
	s_ashr_i32 s35, s34, 31
	s_cmp_lg_u32 s17, 0x84
	v_cmp_gt_i32_e64 s1, s25, v0
	s_cselect_b32 s27, -1, 0
	s_cmp_gt_i32 s18, 0
	v_cmp_gt_i32_e32 vcc_lo, s3, v0
	s_cselect_b32 s20, -1, 0
	s_cmp_lg_u32 s16, 0x6f
	s_mul_u64 s[18:19], s[30:31], s[34:35]
	s_cselect_b32 s28, -1, 0
	s_lshl_b64 s[16:17], s[34:35], 4
	s_and_b32 s29, vcc_lo, s20
	v_add_co_u32 v0, s3, s16, v13
	s_wait_alu 0xf1ff
	v_add_co_ci_u32_e64 v3, null, s17, 0, s3
	s_lshl_b64 s[16:17], s[10:11], 4
	s_lshl_b64 s[10:11], s[14:15], 4
	v_mul_lo_u32 v6, v0, s31
	v_mul_lo_u32 v7, v3, s30
	v_mad_co_u64_u32 v[3:4], null, v0, s30, s[10:11]
	s_wait_alu 0xfffe
	v_add_co_u32 v0, s3, s16, v13
	s_wait_alu 0xf1ff
	v_add_co_ci_u32_e64 v15, null, s17, 0, s3
	s_mul_i32 s3, s25, 0x1c0
	v_or_b32_e32 v16, 8, v0
	v_add3_u32 v17, v7, v4, v6
	v_or_b32_e32 v18, 8, v3
	s_or_b32 s30, 0, 8
	s_lshl_b64 s[14:15], s[22:23], 4
	s_wait_alu 0xfffe
	s_add_co_i32 s22, s3, 0xfffffe40
	s_lshl_b64 s[16:17], s[18:19], 4
	s_branch .LBB229_3
.LBB229_2:                              ;   in Loop: Header=BB229_3 Depth=1
	s_wait_alu 0xfffe
	s_or_b32 exec_lo, exec_lo, s3
	s_add_co_i32 s2, s2, 0x10000
	s_wait_alu 0xfffe
	s_cmp_lt_u32 s2, s24
	s_cbranch_scc0 .LBB229_62
.LBB229_3:                              ; =>This Loop Header: Depth=1
                                        ;     Child Loop BB229_5 Depth 2
                                        ;     Child Loop BB229_16 Depth 2
                                        ;     Child Loop BB229_20 Depth 2
                                        ;       Child Loop BB229_23 Depth 3
                                        ;         Child Loop BB229_24 Depth 4
                                        ;         Child Loop BB229_27 Depth 4
                                        ;           Child Loop BB229_28 Depth 5
                                        ;         Child Loop BB229_32 Depth 4
                                        ;           Child Loop BB229_34 Depth 5
                                        ;     Child Loop BB229_42 Depth 2
                                        ;       Child Loop BB229_45 Depth 3
                                        ;         Child Loop BB229_46 Depth 4
                                        ;         Child Loop BB229_48 Depth 4
                                        ;           Child Loop BB229_49 Depth 5
                                        ;         Child Loop BB229_53 Depth 4
                                        ;           Child Loop BB229_55 Depth 5
                                        ;     Child Loop BB229_61 Depth 2
	s_mov_b32 s3, s21
	s_wait_alu 0xfffe
	s_lshl_b64 s[18:19], s[2:3], 3
	s_delay_alu instid0(SALU_CYCLE_1)
	s_add_nc_u64 s[34:35], s[12:13], s[18:19]
	global_load_b64 v[11:12], v14, s[34:35]
	s_and_saveexec_b32 s3, s1
	s_cbranch_execz .LBB229_14
; %bb.4:                                ;   in Loop: Header=BB229_3 Depth=1
	s_add_nc_u64 s[18:19], s[8:9], s[18:19]
	v_mov_b32_e32 v2, v13
	global_load_b64 v[0:1], v14, s[18:19]
	s_mov_b32 s18, s25
	s_wait_loadcnt 0x0
	v_add_co_u32 v0, vcc_lo, v0, v16
	s_wait_alu 0xfffd
	v_add_co_ci_u32_e64 v1, null, v1, v15, vcc_lo
.LBB229_5:                              ;   Parent Loop BB229_3 Depth=1
                                        ; =>  This Inner Loop Header: Depth=2
	flat_load_b128 v[3:6], v[0:1] offset:-8
	v_add_co_u32 v0, vcc_lo, v0, s14
	s_wait_alu 0xfffd
	v_add_co_ci_u32_e64 v1, null, s15, v1, vcc_lo
	s_add_co_i32 s18, s18, -1
	s_delay_alu instid0(SALU_CYCLE_1) | instskip(SKIP_2) | instid1(VALU_DEP_1)
	s_cmp_eq_u32 s18, 0
	s_wait_loadcnt_dscnt 0x0
	v_xor_b32_e32 v7, 0x80000000, v6
	v_cndmask_b32_e64 v6, v6, v7, s0
	ds_store_b128 v2, v[3:6]
	v_add_nc_u32_e32 v2, 0x1c0, v2
	s_cbranch_scc0 .LBB229_5
; %bb.6:                                ;   in Loop: Header=BB229_3 Depth=1
	s_and_b32 vcc_lo, exec_lo, s27
	s_wait_alu 0xfffe
	s_cbranch_vccz .LBB229_12
; %bb.7:                                ;   in Loop: Header=BB229_3 Depth=1
	ds_load_b128 v[0:3], v19
                                        ; implicit-def: $vgpr6_vgpr7
	s_wait_dscnt 0x0
	v_cmp_ngt_f64_e64 s18, |v[0:1]|, |v[2:3]|
	s_and_saveexec_b32 s19, s18
	s_delay_alu instid0(SALU_CYCLE_1)
	s_xor_b32 s18, exec_lo, s19
	s_cbranch_execz .LBB229_9
; %bb.8:                                ;   in Loop: Header=BB229_3 Depth=1
	v_div_scale_f64 v[4:5], null, v[2:3], v[2:3], v[0:1]
	v_div_scale_f64 v[22:23], vcc_lo, v[0:1], v[2:3], v[0:1]
	s_delay_alu instid0(VALU_DEP_2) | instskip(NEXT) | instid1(TRANS32_DEP_1)
	v_rcp_f64_e32 v[6:7], v[4:5]
	v_fma_f64 v[20:21], -v[4:5], v[6:7], 1.0
	s_delay_alu instid0(VALU_DEP_1) | instskip(NEXT) | instid1(VALU_DEP_1)
	v_fma_f64 v[6:7], v[6:7], v[20:21], v[6:7]
	v_fma_f64 v[20:21], -v[4:5], v[6:7], 1.0
	s_delay_alu instid0(VALU_DEP_1) | instskip(NEXT) | instid1(VALU_DEP_1)
	v_fma_f64 v[6:7], v[6:7], v[20:21], v[6:7]
	v_mul_f64_e32 v[20:21], v[22:23], v[6:7]
	s_delay_alu instid0(VALU_DEP_1) | instskip(SKIP_1) | instid1(VALU_DEP_1)
	v_fma_f64 v[4:5], -v[4:5], v[20:21], v[22:23]
	s_wait_alu 0xfffd
	v_div_fmas_f64 v[4:5], v[4:5], v[6:7], v[20:21]
	s_delay_alu instid0(VALU_DEP_1) | instskip(NEXT) | instid1(VALU_DEP_1)
	v_div_fixup_f64 v[4:5], v[4:5], v[2:3], v[0:1]
	v_fma_f64 v[0:1], v[0:1], v[4:5], v[2:3]
	s_delay_alu instid0(VALU_DEP_1) | instskip(SKIP_1) | instid1(VALU_DEP_2)
	v_div_scale_f64 v[2:3], null, v[0:1], v[0:1], 1.0
	v_div_scale_f64 v[22:23], vcc_lo, 1.0, v[0:1], 1.0
	v_rcp_f64_e32 v[6:7], v[2:3]
	s_delay_alu instid0(TRANS32_DEP_1) | instskip(NEXT) | instid1(VALU_DEP_1)
	v_fma_f64 v[20:21], -v[2:3], v[6:7], 1.0
	v_fma_f64 v[6:7], v[6:7], v[20:21], v[6:7]
	s_delay_alu instid0(VALU_DEP_1) | instskip(NEXT) | instid1(VALU_DEP_1)
	v_fma_f64 v[20:21], -v[2:3], v[6:7], 1.0
	v_fma_f64 v[6:7], v[6:7], v[20:21], v[6:7]
	s_delay_alu instid0(VALU_DEP_1) | instskip(NEXT) | instid1(VALU_DEP_1)
	v_mul_f64_e32 v[20:21], v[22:23], v[6:7]
	v_fma_f64 v[2:3], -v[2:3], v[20:21], v[22:23]
	s_wait_alu 0xfffd
	s_delay_alu instid0(VALU_DEP_1) | instskip(SKIP_1) | instid1(VALU_DEP_2)
	v_div_fmas_f64 v[2:3], v[2:3], v[6:7], v[20:21]
	v_add_f64_e32 v[6:7], 0, v[4:5]
	v_div_fixup_f64 v[0:1], v[2:3], v[0:1], 1.0
	v_fma_f64 v[2:3], v[4:5], 0, -1.0
	s_delay_alu instid0(VALU_DEP_2) | instskip(NEXT) | instid1(VALU_DEP_2)
	v_mul_f64_e32 v[4:5], v[6:7], v[0:1]
	v_mul_f64_e32 v[6:7], v[2:3], v[0:1]
                                        ; implicit-def: $vgpr0_vgpr1
.LBB229_9:                              ;   in Loop: Header=BB229_3 Depth=1
	s_and_not1_saveexec_b32 s18, s18
	s_cbranch_execz .LBB229_11
; %bb.10:                               ;   in Loop: Header=BB229_3 Depth=1
	v_div_scale_f64 v[4:5], null, v[0:1], v[0:1], v[2:3]
	v_div_scale_f64 v[22:23], vcc_lo, v[2:3], v[0:1], v[2:3]
	s_delay_alu instid0(VALU_DEP_2) | instskip(NEXT) | instid1(TRANS32_DEP_1)
	v_rcp_f64_e32 v[6:7], v[4:5]
	v_fma_f64 v[20:21], -v[4:5], v[6:7], 1.0
	s_delay_alu instid0(VALU_DEP_1) | instskip(NEXT) | instid1(VALU_DEP_1)
	v_fma_f64 v[6:7], v[6:7], v[20:21], v[6:7]
	v_fma_f64 v[20:21], -v[4:5], v[6:7], 1.0
	s_delay_alu instid0(VALU_DEP_1) | instskip(NEXT) | instid1(VALU_DEP_1)
	v_fma_f64 v[6:7], v[6:7], v[20:21], v[6:7]
	v_mul_f64_e32 v[20:21], v[22:23], v[6:7]
	s_delay_alu instid0(VALU_DEP_1) | instskip(SKIP_1) | instid1(VALU_DEP_1)
	v_fma_f64 v[4:5], -v[4:5], v[20:21], v[22:23]
	s_wait_alu 0xfffd
	v_div_fmas_f64 v[4:5], v[4:5], v[6:7], v[20:21]
	s_delay_alu instid0(VALU_DEP_1) | instskip(NEXT) | instid1(VALU_DEP_1)
	v_div_fixup_f64 v[4:5], v[4:5], v[0:1], v[2:3]
	v_fma_f64 v[0:1], v[2:3], v[4:5], v[0:1]
	s_delay_alu instid0(VALU_DEP_1) | instskip(SKIP_1) | instid1(VALU_DEP_2)
	v_div_scale_f64 v[2:3], null, v[0:1], v[0:1], 1.0
	v_div_scale_f64 v[22:23], vcc_lo, 1.0, v[0:1], 1.0
	v_rcp_f64_e32 v[6:7], v[2:3]
	s_delay_alu instid0(TRANS32_DEP_1) | instskip(NEXT) | instid1(VALU_DEP_1)
	v_fma_f64 v[20:21], -v[2:3], v[6:7], 1.0
	v_fma_f64 v[6:7], v[6:7], v[20:21], v[6:7]
	s_delay_alu instid0(VALU_DEP_1) | instskip(NEXT) | instid1(VALU_DEP_1)
	v_fma_f64 v[20:21], -v[2:3], v[6:7], 1.0
	v_fma_f64 v[6:7], v[6:7], v[20:21], v[6:7]
	s_delay_alu instid0(VALU_DEP_1) | instskip(NEXT) | instid1(VALU_DEP_1)
	v_mul_f64_e32 v[20:21], v[22:23], v[6:7]
	v_fma_f64 v[2:3], -v[2:3], v[20:21], v[22:23]
	s_wait_alu 0xfffd
	s_delay_alu instid0(VALU_DEP_1) | instskip(SKIP_1) | instid1(VALU_DEP_2)
	v_div_fmas_f64 v[2:3], v[2:3], v[6:7], v[20:21]
	v_fma_f64 v[6:7], v[4:5], 0, 1.0
	v_div_fixup_f64 v[0:1], v[2:3], v[0:1], 1.0
	v_add_f64_e64 v[2:3], -v[4:5], 0
	s_delay_alu instid0(VALU_DEP_2) | instskip(NEXT) | instid1(VALU_DEP_2)
	v_mul_f64_e32 v[4:5], v[6:7], v[0:1]
	v_mul_f64_e32 v[6:7], v[2:3], v[0:1]
.LBB229_11:                             ;   in Loop: Header=BB229_3 Depth=1
	s_or_b32 exec_lo, exec_lo, s18
	s_branch .LBB229_13
.LBB229_12:                             ;   in Loop: Header=BB229_3 Depth=1
	v_mov_b32_e32 v6, 0
	v_dual_mov_b32 v7, 0 :: v_dual_mov_b32 v4, 0
	v_mov_b32_e32 v5, 0x3ff00000
.LBB229_13:                             ;   in Loop: Header=BB229_3 Depth=1
	ds_store_b128 v19, v[4:7]
.LBB229_14:                             ;   in Loop: Header=BB229_3 Depth=1
	s_wait_alu 0xfffe
	s_or_b32 exec_lo, exec_lo, s3
	s_and_saveexec_b32 s3, s29
	s_cbranch_execz .LBB229_17
; %bb.15:                               ;   in Loop: Header=BB229_3 Depth=1
	s_wait_loadcnt 0x0
	v_add_co_u32 v0, vcc_lo, v11, v18
	s_wait_alu 0xfffd
	v_add_co_ci_u32_e64 v1, null, v12, v17, vcc_lo
	v_mov_b32_e32 v2, v8
	s_mov_b32 s18, s25
.LBB229_16:                             ;   Parent Loop BB229_3 Depth=1
                                        ; =>  This Inner Loop Header: Depth=2
	flat_load_b128 v[3:6], v[0:1] offset:-8
	v_add_co_u32 v0, vcc_lo, v0, 16
	s_wait_alu 0xfffd
	v_add_co_ci_u32_e64 v1, null, 0, v1, vcc_lo
	s_add_co_i32 s18, s18, -1
	s_delay_alu instid0(SALU_CYCLE_1) | instskip(SKIP_3) | instid1(VALU_DEP_2)
	s_cmp_lg_u32 s18, 0
	s_wait_loadcnt_dscnt 0x0
	v_mul_f64_e32 v[20:21], s[6:7], v[5:6]
	v_mul_f64_e32 v[5:6], s[4:5], v[5:6]
	v_fma_f64 v[20:21], s[4:5], v[3:4], -v[20:21]
	s_delay_alu instid0(VALU_DEP_2)
	v_fma_f64 v[22:23], s[6:7], v[3:4], v[5:6]
	ds_store_b128 v2, v[20:23]
	v_add_nc_u32_e32 v2, 0x1c0, v2
	s_cbranch_scc1 .LBB229_16
.LBB229_17:                             ;   in Loop: Header=BB229_3 Depth=1
	s_wait_alu 0xfffe
	s_or_b32 exec_lo, exec_lo, s3
	s_delay_alu instid0(SALU_CYCLE_1)
	s_and_not1_b32 vcc_lo, exec_lo, s28
	s_mov_b32 s3, -1
	; wave barrier
	s_wait_loadcnt_dscnt 0x0
	global_inv scope:SCOPE_SE
	s_wait_alu 0xfffe
	s_cbranch_vccnz .LBB229_39
; %bb.18:                               ;   in Loop: Header=BB229_3 Depth=1
	s_mov_b32 s20, 0
	s_delay_alu instid0(SALU_CYCLE_1)
	s_mov_b32 s3, s20
	s_branch .LBB229_20
.LBB229_19:                             ;   in Loop: Header=BB229_20 Depth=2
	s_cmp_lt_i32 s3, s25
	s_cselect_b32 s18, -1, 0
	s_add_co_i32 s19, s20, 1
	s_cmp_lt_u32 s20, 2
	s_cselect_b32 s20, -1, 0
	s_delay_alu instid0(SALU_CYCLE_1)
	s_and_b32 s18, s18, s20
	s_mov_b32 s20, s19
	s_and_b32 vcc_lo, exec_lo, s18
	s_wait_alu 0xfffe
	s_cbranch_vccz .LBB229_38
.LBB229_20:                             ;   Parent Loop BB229_3 Depth=1
                                        ; =>  This Loop Header: Depth=2
                                        ;       Child Loop BB229_23 Depth 3
                                        ;         Child Loop BB229_24 Depth 4
                                        ;         Child Loop BB229_27 Depth 4
                                        ;           Child Loop BB229_28 Depth 5
                                        ;         Child Loop BB229_32 Depth 4
                                        ;           Child Loop BB229_34 Depth 5
	s_getpc_b64 s[18:19]
	s_sext_i32_i16 s19, s19
	s_add_co_u32 s18, s18, __const._ZL38rocblas_trsm_small_left_device_sharedBILi28ELi28ELb0E19rocblas_complex_numIdES1_PKPKS1_PKPS1_Ev13rocblas_fill_18rocblas_operation_17rocblas_diagonal_iiT3_T4_lilT5_lili.step_sizes@rel32@lo+8
	s_add_co_ci_u32 s19, s19, __const._ZL38rocblas_trsm_small_left_device_sharedBILi28ELi28ELb0E19rocblas_complex_numIdES1_PKPKS1_PKPS1_Ev13rocblas_fill_18rocblas_operation_17rocblas_diagonal_iiT3_T4_lilT5_lili.step_sizes@rel32@hi+16
	s_lshl_b64 s[34:35], s[20:21], 2
	s_delay_alu instid0(SALU_CYCLE_1) | instskip(SKIP_3) | instid1(SALU_CYCLE_1)
	s_add_nc_u64 s[18:19], s[18:19], s[34:35]
	s_load_b32 s18, s[18:19], 0x0
	s_wait_kmcnt 0x0
	s_add_co_i32 s19, s18, -1
	s_add_co_i32 s23, s19, s3
	s_wait_alu 0xfffe
	s_cmp_ge_i32 s23, s25
	s_cbranch_scc1 .LBB229_19
; %bb.21:                               ;   in Loop: Header=BB229_20 Depth=2
	s_mul_i32 s23, s3, 0x1c0
	s_max_i32 s31, s18, 1
	s_wait_alu 0xfffe
	v_add_nc_u32_e32 v4, s23, v8
	s_mul_i32 s33, s18, 0x1c0
	s_mul_i32 s34, s3, 0x1d0
	;; [unrolled: 1-line block ×3, first 2 shown]
	s_branch .LBB229_23
.LBB229_22:                             ;   in Loop: Header=BB229_23 Depth=3
	s_add_co_i32 s3, s3, s18
	v_add_nc_u32_e32 v4, s33, v4
	s_wait_alu 0xfffe
	s_add_co_i32 s36, s19, s3
	s_add_co_i32 s23, s23, s33
	s_add_co_i32 s34, s34, s35
	s_wait_alu 0xfffe
	s_cmp_ge_i32 s36, s25
	s_cbranch_scc1 .LBB229_19
.LBB229_23:                             ;   Parent Loop BB229_3 Depth=1
                                        ;     Parent Loop BB229_20 Depth=2
                                        ; =>    This Loop Header: Depth=3
                                        ;         Child Loop BB229_24 Depth 4
                                        ;         Child Loop BB229_27 Depth 4
                                        ;           Child Loop BB229_28 Depth 5
                                        ;         Child Loop BB229_32 Depth 4
                                        ;           Child Loop BB229_34 Depth 5
	v_mov_b32_e32 v0, v4
	s_mov_b32 s36, 0
	s_wait_alu 0xfffe
	s_mov_b32 s37, s31
.LBB229_24:                             ;   Parent Loop BB229_3 Depth=1
                                        ;     Parent Loop BB229_20 Depth=2
                                        ;       Parent Loop BB229_23 Depth=3
                                        ; =>      This Inner Loop Header: Depth=4
	ds_load_b128 v[20:23], v0
	v_add_nc_u32_e32 v0, 0x1c0, v0
	s_wait_alu 0xfffe
	s_add_co_i32 s37, s37, -1
	s_wait_dscnt 0x0
	scratch_store_b128 off, v[20:23], s36
	s_add_co_i32 s36, s36, 16
	s_wait_alu 0xfffe
	s_cmp_eq_u32 s37, 0
	s_cbranch_scc0 .LBB229_24
; %bb.25:                               ;   in Loop: Header=BB229_23 Depth=3
	s_cmp_lt_i32 s3, 1
	s_cbranch_scc1 .LBB229_30
; %bb.26:                               ;   in Loop: Header=BB229_23 Depth=3
	s_mov_b32 s36, 0
	s_mov_b32 s37, s23
.LBB229_27:                             ;   Parent Loop BB229_3 Depth=1
                                        ;     Parent Loop BB229_20 Depth=2
                                        ;       Parent Loop BB229_23 Depth=3
                                        ; =>      This Loop Header: Depth=4
                                        ;           Child Loop BB229_28 Depth 5
	s_wait_alu 0xfffe
	v_mad_co_u64_u32 v[0:1], null, 0x1c0, s36, v[8:9]
	s_mov_b32 s38, s30
	s_mov_b32 s39, s37
	s_mov_b32 s40, s31
	ds_load_b128 v[0:3], v0
.LBB229_28:                             ;   Parent Loop BB229_3 Depth=1
                                        ;     Parent Loop BB229_20 Depth=2
                                        ;       Parent Loop BB229_23 Depth=3
                                        ;         Parent Loop BB229_27 Depth=4
                                        ; =>        This Inner Loop Header: Depth=5
	scratch_load_b128 v[20:23], off, s38 offset:-8
	s_wait_alu 0xfffe
	v_mov_b32_e32 v5, s39
	s_add_co_i32 s40, s40, -1
	s_addk_co_i32 s39, 0x1c0
	ds_load_b128 v[24:27], v5
	s_wait_dscnt 0x0
	v_mul_f64_e32 v[5:6], v[2:3], v[26:27]
	v_mul_f64_e32 v[26:27], v[0:1], v[26:27]
	s_delay_alu instid0(VALU_DEP_2) | instskip(NEXT) | instid1(VALU_DEP_2)
	v_fma_f64 v[5:6], v[0:1], v[24:25], -v[5:6]
	v_fma_f64 v[24:25], v[2:3], v[24:25], v[26:27]
	s_wait_loadcnt 0x0
	s_delay_alu instid0(VALU_DEP_2) | instskip(NEXT) | instid1(VALU_DEP_2)
	v_add_f64_e64 v[20:21], v[20:21], -v[5:6]
	v_add_f64_e64 v[22:23], v[22:23], -v[24:25]
	scratch_store_b128 off, v[20:23], s38 offset:-8
	s_add_co_i32 s38, s38, 16
	s_wait_alu 0xfffe
	s_cmp_eq_u32 s40, 0
	s_cbranch_scc0 .LBB229_28
; %bb.29:                               ;   in Loop: Header=BB229_27 Depth=4
	s_add_co_i32 s36, s36, 1
	s_add_co_i32 s37, s37, 16
	s_wait_alu 0xfffe
	s_cmp_eq_u32 s36, s3
	s_cbranch_scc0 .LBB229_27
.LBB229_30:                             ;   in Loop: Header=BB229_23 Depth=3
	s_mul_i32 s36, s3, 0x1c0
	s_mov_b32 s37, 0
	s_mov_b32 s38, s34
	s_branch .LBB229_32
.LBB229_31:                             ;   in Loop: Header=BB229_32 Depth=4
	s_wait_alu 0xfffe
	s_mulk_i32 s40, 0x1d0
	s_addk_co_i32 s38, 0x1c0
	s_wait_alu 0xfffe
	v_mov_b32_e32 v5, s40
	s_lshl_b32 s40, s37, 4
	s_add_co_i32 s37, s37, 1
	s_wait_alu 0xfffe
	s_cmp_eq_u32 s37, s31
	ds_load_b128 v[20:23], v5
	s_wait_loadcnt_dscnt 0x0
	v_mul_f64_e32 v[5:6], v[22:23], v[2:3]
	v_mul_f64_e32 v[2:3], v[20:21], v[2:3]
	s_delay_alu instid0(VALU_DEP_2) | instskip(NEXT) | instid1(VALU_DEP_2)
	v_fma_f64 v[20:21], v[20:21], v[0:1], -v[5:6]
	v_fma_f64 v[22:23], v[22:23], v[0:1], v[2:3]
	v_add_nc_u32_e32 v0, s39, v8
	scratch_store_b128 off, v[20:23], s40
	ds_store_b128 v0, v[20:23]
	s_cbranch_scc1 .LBB229_22
.LBB229_32:                             ;   Parent Loop BB229_3 Depth=1
                                        ;     Parent Loop BB229_20 Depth=2
                                        ;       Parent Loop BB229_23 Depth=3
                                        ; =>      This Loop Header: Depth=4
                                        ;           Child Loop BB229_34 Depth 5
	s_wait_alu 0xfffe
	s_cmp_lg_u32 s37, 0
	s_cbranch_scc0 .LBB229_36
; %bb.33:                               ;   in Loop: Header=BB229_32 Depth=4
	s_lshl_b32 s41, s37, 4
	s_add_co_i32 s40, s37, s3
	scratch_load_b128 v[0:3], off, s41
	s_wait_alu 0xfffe
	s_mul_i32 s39, s40, 0x1c0
	s_mov_b32 s42, s38
	s_mov_b32 s43, s30
	;; [unrolled: 1-line block ×3, first 2 shown]
.LBB229_34:                             ;   Parent Loop BB229_3 Depth=1
                                        ;     Parent Loop BB229_20 Depth=2
                                        ;       Parent Loop BB229_23 Depth=3
                                        ;         Parent Loop BB229_32 Depth=4
                                        ; =>        This Inner Loop Header: Depth=5
	scratch_load_b128 v[20:23], off, s43 offset:-8
	s_wait_alu 0xfffe
	v_mov_b32_e32 v5, s42
	s_add_co_i32 s44, s44, -1
	s_add_co_i32 s43, s43, 16
	s_add_co_i32 s42, s42, 16
	s_cmp_eq_u32 s44, 0
	ds_load_b128 v[24:27], v5
	s_wait_loadcnt_dscnt 0x0
	v_mul_f64_e32 v[5:6], v[26:27], v[22:23]
	v_mul_f64_e32 v[22:23], v[24:25], v[22:23]
	s_delay_alu instid0(VALU_DEP_2) | instskip(NEXT) | instid1(VALU_DEP_2)
	v_fma_f64 v[5:6], v[24:25], v[20:21], -v[5:6]
	v_fma_f64 v[20:21], v[26:27], v[20:21], v[22:23]
	s_delay_alu instid0(VALU_DEP_2) | instskip(NEXT) | instid1(VALU_DEP_2)
	v_add_f64_e64 v[0:1], v[0:1], -v[5:6]
	v_add_f64_e64 v[2:3], v[2:3], -v[20:21]
	scratch_store_b128 off, v[0:3], s41
	s_cbranch_scc0 .LBB229_34
; %bb.35:                               ;   in Loop: Header=BB229_32 Depth=4
	s_branch .LBB229_31
.LBB229_36:                             ;   in Loop: Header=BB229_32 Depth=4
                                        ; implicit-def: $vgpr0_vgpr1
                                        ; implicit-def: $sgpr40
                                        ; implicit-def: $sgpr39
	s_cbranch_execz .LBB229_31
; %bb.37:                               ;   in Loop: Header=BB229_32 Depth=4
	scratch_load_b128 v[0:3], off, off
	s_mov_b32 s39, s36
	s_mov_b32 s40, s3
	s_branch .LBB229_31
.LBB229_38:                             ;   in Loop: Header=BB229_3 Depth=1
	s_mov_b32 s3, 0
.LBB229_39:                             ;   in Loop: Header=BB229_3 Depth=1
	s_wait_alu 0xfffe
	s_and_b32 vcc_lo, exec_lo, s3
	s_wait_alu 0xfffe
	s_cbranch_vccz .LBB229_59
; %bb.40:                               ;   in Loop: Header=BB229_3 Depth=1
	s_mov_b32 s20, 0
	s_mov_b32 s3, s26
	s_branch .LBB229_42
.LBB229_41:                             ;   in Loop: Header=BB229_42 Depth=2
	s_cmp_gt_i32 s3, -1
	s_cselect_b32 s18, -1, 0
	s_add_co_i32 s19, s20, 1
	s_cmp_lt_u32 s20, 2
	s_cselect_b32 s20, -1, 0
	s_delay_alu instid0(SALU_CYCLE_1)
	s_and_b32 s18, s18, s20
	s_mov_b32 s20, s19
	s_and_not1_b32 vcc_lo, exec_lo, s18
	s_wait_alu 0xfffe
	s_cbranch_vccnz .LBB229_59
.LBB229_42:                             ;   Parent Loop BB229_3 Depth=1
                                        ; =>  This Loop Header: Depth=2
                                        ;       Child Loop BB229_45 Depth 3
                                        ;         Child Loop BB229_46 Depth 4
                                        ;         Child Loop BB229_48 Depth 4
                                        ;           Child Loop BB229_49 Depth 5
                                        ;         Child Loop BB229_53 Depth 4
                                        ;           Child Loop BB229_55 Depth 5
	s_getpc_b64 s[18:19]
	s_sext_i32_i16 s19, s19
	s_add_co_u32 s18, s18, __const._ZL38rocblas_trsm_small_left_device_sharedBILi28ELi28ELb0E19rocblas_complex_numIdES1_PKPKS1_PKPS1_Ev13rocblas_fill_18rocblas_operation_17rocblas_diagonal_iiT3_T4_lilT5_lili.step_sizes@rel32@lo+8
	s_add_co_ci_u32 s19, s19, __const._ZL38rocblas_trsm_small_left_device_sharedBILi28ELi28ELb0E19rocblas_complex_numIdES1_PKPKS1_PKPS1_Ev13rocblas_fill_18rocblas_operation_17rocblas_diagonal_iiT3_T4_lilT5_lili.step_sizes@rel32@hi+16
	s_lshl_b64 s[34:35], s[20:21], 2
	s_delay_alu instid0(SALU_CYCLE_1) | instskip(SKIP_3) | instid1(SALU_CYCLE_1)
	s_add_nc_u64 s[18:19], s[18:19], s[34:35]
	s_load_b32 s18, s[18:19], 0x0
	s_wait_kmcnt 0x0
	s_add_co_i32 s19, s18, -1
	s_cmp_lt_i32 s3, s19
	s_cbranch_scc1 .LBB229_41
; %bb.43:                               ;   in Loop: Header=BB229_42 Depth=2
	v_mad_co_u64_u32 v[4:5], null, 0x1c0, s3, v[8:9]
	s_lshl_b32 s33, s3, 4
	s_lshl_b32 s34, s18, 4
	s_max_i32 s23, s18, 1
	s_mul_i32 s31, s18, 0xfffffe40
	s_wait_alu 0xfffe
	s_add_co_i32 s33, s22, s33
	s_sub_co_i32 s34, 0, s34
	s_mul_i32 s35, s3, 0x1d0
	s_mul_i32 s36, s18, 0xfffffe30
	s_branch .LBB229_45
.LBB229_44:                             ;   in Loop: Header=BB229_45 Depth=3
	v_add_nc_u32_e32 v4, s31, v4
	s_sub_co_i32 s3, s3, s18
	s_add_co_i32 s33, s33, s34
	s_add_co_i32 s35, s35, s36
	s_wait_alu 0xfffe
	s_cmp_lt_i32 s3, s19
	s_cbranch_scc1 .LBB229_41
.LBB229_45:                             ;   Parent Loop BB229_3 Depth=1
                                        ;     Parent Loop BB229_42 Depth=2
                                        ; =>    This Loop Header: Depth=3
                                        ;         Child Loop BB229_46 Depth 4
                                        ;         Child Loop BB229_48 Depth 4
                                        ;           Child Loop BB229_49 Depth 5
                                        ;         Child Loop BB229_53 Depth 4
                                        ;           Child Loop BB229_55 Depth 5
	v_mov_b32_e32 v0, v4
	s_mov_b32 s37, 0
	s_mov_b32 s38, s23
.LBB229_46:                             ;   Parent Loop BB229_3 Depth=1
                                        ;     Parent Loop BB229_42 Depth=2
                                        ;       Parent Loop BB229_45 Depth=3
                                        ; =>      This Inner Loop Header: Depth=4
	ds_load_b128 v[20:23], v0
	v_add_nc_u32_e32 v0, 0xfffffe40, v0
	s_wait_alu 0xfffe
	s_add_co_i32 s38, s38, -1
	s_wait_dscnt 0x0
	scratch_store_b128 off, v[20:23], s37
	s_add_co_i32 s37, s37, 16
	s_wait_alu 0xfffe
	s_cmp_eq_u32 s38, 0
	s_cbranch_scc0 .LBB229_46
; %bb.47:                               ;   in Loop: Header=BB229_45 Depth=3
	s_cmp_le_i32 s26, s3
	s_mov_b32 s37, s33
	s_mov_b32 s38, s26
	s_cbranch_scc1 .LBB229_51
.LBB229_48:                             ;   Parent Loop BB229_3 Depth=1
                                        ;     Parent Loop BB229_42 Depth=2
                                        ;       Parent Loop BB229_45 Depth=3
                                        ; =>      This Loop Header: Depth=4
                                        ;           Child Loop BB229_49 Depth 5
	s_wait_alu 0xfffe
	v_mad_co_u64_u32 v[0:1], null, 0x1c0, s38, v[8:9]
	s_mov_b32 s39, s30
	s_mov_b32 s40, s37
	;; [unrolled: 1-line block ×3, first 2 shown]
	ds_load_b128 v[0:3], v0
.LBB229_49:                             ;   Parent Loop BB229_3 Depth=1
                                        ;     Parent Loop BB229_42 Depth=2
                                        ;       Parent Loop BB229_45 Depth=3
                                        ;         Parent Loop BB229_48 Depth=4
                                        ; =>        This Inner Loop Header: Depth=5
	scratch_load_b128 v[20:23], off, s39 offset:-8
	s_wait_alu 0xfffe
	v_mov_b32_e32 v5, s40
	s_add_co_i32 s41, s41, -1
	s_add_co_i32 s40, s40, -16
	ds_load_b128 v[24:27], v5
	s_wait_dscnt 0x0
	v_mul_f64_e32 v[5:6], v[2:3], v[26:27]
	v_mul_f64_e32 v[26:27], v[0:1], v[26:27]
	s_delay_alu instid0(VALU_DEP_2) | instskip(NEXT) | instid1(VALU_DEP_2)
	v_fma_f64 v[5:6], v[0:1], v[24:25], -v[5:6]
	v_fma_f64 v[24:25], v[2:3], v[24:25], v[26:27]
	s_wait_loadcnt 0x0
	s_delay_alu instid0(VALU_DEP_2) | instskip(NEXT) | instid1(VALU_DEP_2)
	v_add_f64_e64 v[20:21], v[20:21], -v[5:6]
	v_add_f64_e64 v[22:23], v[22:23], -v[24:25]
	scratch_store_b128 off, v[20:23], s39 offset:-8
	s_add_co_i32 s39, s39, 16
	s_wait_alu 0xfffe
	s_cmp_eq_u32 s41, 0
	s_cbranch_scc0 .LBB229_49
; %bb.50:                               ;   in Loop: Header=BB229_48 Depth=4
	s_add_co_i32 s38, s38, -1
	s_addk_co_i32 s37, 0xfe40
	s_wait_alu 0xfffe
	s_cmp_le_i32 s38, s3
	s_cbranch_scc0 .LBB229_48
.LBB229_51:                             ;   in Loop: Header=BB229_45 Depth=3
	s_mov_b32 s37, 0
	s_mov_b32 s38, s35
	s_branch .LBB229_53
.LBB229_52:                             ;   in Loop: Header=BB229_53 Depth=4
	s_wait_alu 0xfffe
	s_mul_i32 s40, s39, 0x1d0
	s_add_co_i32 s38, s38, -16
	s_wait_alu 0xfffe
	v_mov_b32_e32 v5, s40
	ds_load_b128 v[20:23], v5
	s_wait_loadcnt_dscnt 0x0
	v_mul_f64_e32 v[5:6], v[22:23], v[2:3]
	v_mul_f64_e32 v[2:3], v[20:21], v[2:3]
	s_delay_alu instid0(VALU_DEP_2) | instskip(NEXT) | instid1(VALU_DEP_2)
	v_fma_f64 v[20:21], v[20:21], v[0:1], -v[5:6]
	v_fma_f64 v[22:23], v[22:23], v[0:1], v[2:3]
	v_mad_co_u64_u32 v[0:1], null, 0x1c0, s39, v[8:9]
	s_lshl_b32 s39, s37, 4
	s_add_co_i32 s37, s37, 1
	s_wait_alu 0xfffe
	s_cmp_eq_u32 s37, s23
	scratch_store_b128 off, v[20:23], s39
	ds_store_b128 v0, v[20:23]
	s_cbranch_scc1 .LBB229_44
.LBB229_53:                             ;   Parent Loop BB229_3 Depth=1
                                        ;     Parent Loop BB229_42 Depth=2
                                        ;       Parent Loop BB229_45 Depth=3
                                        ; =>      This Loop Header: Depth=4
                                        ;           Child Loop BB229_55 Depth 5
	s_wait_alu 0xfffe
	s_cmp_lg_u32 s37, 0
	s_cbranch_scc0 .LBB229_57
; %bb.54:                               ;   in Loop: Header=BB229_53 Depth=4
	s_lshl_b32 s40, s37, 4
	s_sub_co_i32 s39, s3, s37
	scratch_load_b128 v[0:3], off, s40
	s_mov_b32 s41, s30
	s_mov_b32 s42, s38
	;; [unrolled: 1-line block ×3, first 2 shown]
.LBB229_55:                             ;   Parent Loop BB229_3 Depth=1
                                        ;     Parent Loop BB229_42 Depth=2
                                        ;       Parent Loop BB229_45 Depth=3
                                        ;         Parent Loop BB229_53 Depth=4
                                        ; =>        This Inner Loop Header: Depth=5
	scratch_load_b128 v[20:23], off, s41 offset:-8
	s_wait_alu 0xfffe
	v_mov_b32_e32 v5, s42
	s_add_co_i32 s43, s43, -1
	s_addk_co_i32 s42, 0xfe40
	s_add_co_i32 s41, s41, 16
	s_wait_alu 0xfffe
	s_cmp_eq_u32 s43, 0
	ds_load_b128 v[24:27], v5
	s_wait_loadcnt_dscnt 0x0
	v_mul_f64_e32 v[5:6], v[26:27], v[22:23]
	v_mul_f64_e32 v[22:23], v[24:25], v[22:23]
	s_delay_alu instid0(VALU_DEP_2) | instskip(NEXT) | instid1(VALU_DEP_2)
	v_fma_f64 v[5:6], v[24:25], v[20:21], -v[5:6]
	v_fma_f64 v[20:21], v[26:27], v[20:21], v[22:23]
	s_delay_alu instid0(VALU_DEP_2) | instskip(NEXT) | instid1(VALU_DEP_2)
	v_add_f64_e64 v[0:1], v[0:1], -v[5:6]
	v_add_f64_e64 v[2:3], v[2:3], -v[20:21]
	scratch_store_b128 off, v[0:3], s40
	s_cbranch_scc0 .LBB229_55
; %bb.56:                               ;   in Loop: Header=BB229_53 Depth=4
	s_branch .LBB229_52
.LBB229_57:                             ;   in Loop: Header=BB229_53 Depth=4
                                        ; implicit-def: $vgpr0_vgpr1
                                        ; implicit-def: $sgpr39
	s_cbranch_execz .LBB229_52
; %bb.58:                               ;   in Loop: Header=BB229_53 Depth=4
	scratch_load_b128 v[0:3], off, off
	s_mov_b32 s39, s3
	s_branch .LBB229_52
.LBB229_59:                             ;   in Loop: Header=BB229_3 Depth=1
	s_wait_storecnt 0x0
	; wave barrier
	s_wait_loadcnt_dscnt 0x0
	global_inv scope:SCOPE_SE
	s_and_saveexec_b32 s3, s29
	s_cbranch_execz .LBB229_2
; %bb.60:                               ;   in Loop: Header=BB229_3 Depth=1
	v_add_co_u32 v0, vcc_lo, v11, s10
	s_wait_alu 0xfffd
	v_add_co_ci_u32_e64 v1, null, s11, v12, vcc_lo
	v_mov_b32_e32 v2, v8
	s_delay_alu instid0(VALU_DEP_3) | instskip(SKIP_1) | instid1(VALU_DEP_3)
	v_add_co_u32 v0, vcc_lo, v0, s16
	s_wait_alu 0xfffd
	v_add_co_ci_u32_e64 v1, null, s17, v1, vcc_lo
	s_mov_b32 s18, s25
	v_add_co_u32 v0, vcc_lo, v0, v9
	s_wait_alu 0xfffd
	v_add_co_ci_u32_e64 v1, null, v1, v10, vcc_lo
.LBB229_61:                             ;   Parent Loop BB229_3 Depth=1
                                        ; =>  This Inner Loop Header: Depth=2
	ds_load_2addr_b64 v[3:6], v2 offset1:1
	v_add_nc_u32_e32 v2, 0x1c0, v2
	s_add_co_i32 s18, s18, -1
	s_delay_alu instid0(SALU_CYCLE_1)
	s_cmp_lg_u32 s18, 0
	s_wait_dscnt 0x0
	flat_store_b128 v[0:1], v[3:6]
	v_add_co_u32 v0, vcc_lo, v0, 16
	s_wait_alu 0xfffd
	v_add_co_ci_u32_e64 v1, null, 0, v1, vcc_lo
	s_cbranch_scc1 .LBB229_61
	s_branch .LBB229_2
.LBB229_62:
	s_endpgm
	.section	.rodata,"a",@progbits
	.p2align	6, 0x0
	.amdhsa_kernel _ZL38rocblas_trsm_small_left_device_sharedBILi28ELi28ELb0E19rocblas_complex_numIdES1_PKPKS1_PKPS1_Ev13rocblas_fill_18rocblas_operation_17rocblas_diagonal_iiT3_T4_lilT5_lili
		.amdhsa_group_segment_fixed_size 25088
		.amdhsa_private_segment_fixed_size 464
		.amdhsa_kernarg_size 368
		.amdhsa_user_sgpr_count 2
		.amdhsa_user_sgpr_dispatch_ptr 0
		.amdhsa_user_sgpr_queue_ptr 0
		.amdhsa_user_sgpr_kernarg_segment_ptr 1
		.amdhsa_user_sgpr_dispatch_id 0
		.amdhsa_user_sgpr_private_segment_size 0
		.amdhsa_wavefront_size32 1
		.amdhsa_uses_dynamic_stack 0
		.amdhsa_enable_private_segment 1
		.amdhsa_system_sgpr_workgroup_id_x 1
		.amdhsa_system_sgpr_workgroup_id_y 0
		.amdhsa_system_sgpr_workgroup_id_z 1
		.amdhsa_system_sgpr_workgroup_info 0
		.amdhsa_system_vgpr_workitem_id 0
		.amdhsa_next_free_vgpr 241
		.amdhsa_next_free_sgpr 45
		.amdhsa_reserve_vcc 1
		.amdhsa_float_round_mode_32 0
		.amdhsa_float_round_mode_16_64 0
		.amdhsa_float_denorm_mode_32 3
		.amdhsa_float_denorm_mode_16_64 3
		.amdhsa_fp16_overflow 0
		.amdhsa_workgroup_processor_mode 1
		.amdhsa_memory_ordered 1
		.amdhsa_forward_progress 1
		.amdhsa_inst_pref_size 25
		.amdhsa_round_robin_scheduling 0
		.amdhsa_exception_fp_ieee_invalid_op 0
		.amdhsa_exception_fp_denorm_src 0
		.amdhsa_exception_fp_ieee_div_zero 0
		.amdhsa_exception_fp_ieee_overflow 0
		.amdhsa_exception_fp_ieee_underflow 0
		.amdhsa_exception_fp_ieee_inexact 0
		.amdhsa_exception_int_div_zero 0
	.end_amdhsa_kernel
	.section	.text._ZL38rocblas_trsm_small_left_device_sharedBILi28ELi28ELb0E19rocblas_complex_numIdES1_PKPKS1_PKPS1_Ev13rocblas_fill_18rocblas_operation_17rocblas_diagonal_iiT3_T4_lilT5_lili,"axG",@progbits,_ZL38rocblas_trsm_small_left_device_sharedBILi28ELi28ELb0E19rocblas_complex_numIdES1_PKPKS1_PKPS1_Ev13rocblas_fill_18rocblas_operation_17rocblas_diagonal_iiT3_T4_lilT5_lili,comdat
.Lfunc_end229:
	.size	_ZL38rocblas_trsm_small_left_device_sharedBILi28ELi28ELb0E19rocblas_complex_numIdES1_PKPKS1_PKPS1_Ev13rocblas_fill_18rocblas_operation_17rocblas_diagonal_iiT3_T4_lilT5_lili, .Lfunc_end229-_ZL38rocblas_trsm_small_left_device_sharedBILi28ELi28ELb0E19rocblas_complex_numIdES1_PKPKS1_PKPS1_Ev13rocblas_fill_18rocblas_operation_17rocblas_diagonal_iiT3_T4_lilT5_lili
                                        ; -- End function
	.set _ZL38rocblas_trsm_small_left_device_sharedBILi28ELi28ELb0E19rocblas_complex_numIdES1_PKPKS1_PKPS1_Ev13rocblas_fill_18rocblas_operation_17rocblas_diagonal_iiT3_T4_lilT5_lili.num_vgpr, 28
	.set _ZL38rocblas_trsm_small_left_device_sharedBILi28ELi28ELb0E19rocblas_complex_numIdES1_PKPKS1_PKPS1_Ev13rocblas_fill_18rocblas_operation_17rocblas_diagonal_iiT3_T4_lilT5_lili.num_agpr, 0
	.set _ZL38rocblas_trsm_small_left_device_sharedBILi28ELi28ELb0E19rocblas_complex_numIdES1_PKPKS1_PKPS1_Ev13rocblas_fill_18rocblas_operation_17rocblas_diagonal_iiT3_T4_lilT5_lili.numbered_sgpr, 45
	.set _ZL38rocblas_trsm_small_left_device_sharedBILi28ELi28ELb0E19rocblas_complex_numIdES1_PKPKS1_PKPS1_Ev13rocblas_fill_18rocblas_operation_17rocblas_diagonal_iiT3_T4_lilT5_lili.num_named_barrier, 0
	.set _ZL38rocblas_trsm_small_left_device_sharedBILi28ELi28ELb0E19rocblas_complex_numIdES1_PKPKS1_PKPS1_Ev13rocblas_fill_18rocblas_operation_17rocblas_diagonal_iiT3_T4_lilT5_lili.private_seg_size, 464
	.set _ZL38rocblas_trsm_small_left_device_sharedBILi28ELi28ELb0E19rocblas_complex_numIdES1_PKPKS1_PKPS1_Ev13rocblas_fill_18rocblas_operation_17rocblas_diagonal_iiT3_T4_lilT5_lili.uses_vcc, 1
	.set _ZL38rocblas_trsm_small_left_device_sharedBILi28ELi28ELb0E19rocblas_complex_numIdES1_PKPKS1_PKPS1_Ev13rocblas_fill_18rocblas_operation_17rocblas_diagonal_iiT3_T4_lilT5_lili.uses_flat_scratch, 0
	.set _ZL38rocblas_trsm_small_left_device_sharedBILi28ELi28ELb0E19rocblas_complex_numIdES1_PKPKS1_PKPS1_Ev13rocblas_fill_18rocblas_operation_17rocblas_diagonal_iiT3_T4_lilT5_lili.has_dyn_sized_stack, 0
	.set _ZL38rocblas_trsm_small_left_device_sharedBILi28ELi28ELb0E19rocblas_complex_numIdES1_PKPKS1_PKPS1_Ev13rocblas_fill_18rocblas_operation_17rocblas_diagonal_iiT3_T4_lilT5_lili.has_recursion, 0
	.set _ZL38rocblas_trsm_small_left_device_sharedBILi28ELi28ELb0E19rocblas_complex_numIdES1_PKPKS1_PKPS1_Ev13rocblas_fill_18rocblas_operation_17rocblas_diagonal_iiT3_T4_lilT5_lili.has_indirect_call, 0
	.section	.AMDGPU.csdata,"",@progbits
; Kernel info:
; codeLenInByte = 3116
; TotalNumSgprs: 47
; NumVgprs: 28
; ScratchSize: 464
; MemoryBound: 0
; FloatMode: 240
; IeeeMode: 1
; LDSByteSize: 25088 bytes/workgroup (compile time only)
; SGPRBlocks: 0
; VGPRBlocks: 30
; NumSGPRsForWavesPerEU: 47
; NumVGPRsForWavesPerEU: 241
; Occupancy: 2
; WaveLimiterHint : 0
; COMPUTE_PGM_RSRC2:SCRATCH_EN: 1
; COMPUTE_PGM_RSRC2:USER_SGPR: 2
; COMPUTE_PGM_RSRC2:TRAP_HANDLER: 0
; COMPUTE_PGM_RSRC2:TGID_X_EN: 1
; COMPUTE_PGM_RSRC2:TGID_Y_EN: 0
; COMPUTE_PGM_RSRC2:TGID_Z_EN: 1
; COMPUTE_PGM_RSRC2:TIDIG_COMP_CNT: 0
	.section	.text._ZL30rocblas_trsm_small_left_deviceILi28ELi28ELb0E19rocblas_complex_numIdES1_PKPKS1_PKPS1_Ev13rocblas_fill_18rocblas_operation_17rocblas_diagonal_iiT3_T4_lilT5_lili,"axG",@progbits,_ZL30rocblas_trsm_small_left_deviceILi28ELi28ELb0E19rocblas_complex_numIdES1_PKPKS1_PKPS1_Ev13rocblas_fill_18rocblas_operation_17rocblas_diagonal_iiT3_T4_lilT5_lili,comdat
	.globl	_ZL30rocblas_trsm_small_left_deviceILi28ELi28ELb0E19rocblas_complex_numIdES1_PKPKS1_PKPS1_Ev13rocblas_fill_18rocblas_operation_17rocblas_diagonal_iiT3_T4_lilT5_lili ; -- Begin function _ZL30rocblas_trsm_small_left_deviceILi28ELi28ELb0E19rocblas_complex_numIdES1_PKPKS1_PKPS1_Ev13rocblas_fill_18rocblas_operation_17rocblas_diagonal_iiT3_T4_lilT5_lili
	.p2align	8
	.type	_ZL30rocblas_trsm_small_left_deviceILi28ELi28ELb0E19rocblas_complex_numIdES1_PKPKS1_PKPS1_Ev13rocblas_fill_18rocblas_operation_17rocblas_diagonal_iiT3_T4_lilT5_lili,@function
_ZL30rocblas_trsm_small_left_deviceILi28ELi28ELb0E19rocblas_complex_numIdES1_PKPKS1_PKPS1_Ev13rocblas_fill_18rocblas_operation_17rocblas_diagonal_iiT3_T4_lilT5_lili: ; @_ZL30rocblas_trsm_small_left_deviceILi28ELi28ELb0E19rocblas_complex_numIdES1_PKPKS1_PKPS1_Ev13rocblas_fill_18rocblas_operation_17rocblas_diagonal_iiT3_T4_lilT5_lili
; %bb.0:
	s_load_b32 s3, s[0:1], 0x68
	s_lshr_b32 s20, ttmp7, 16
	s_wait_kmcnt 0x0
	s_cmp_ge_u32 s20, s3
	s_cbranch_scc1 .LBB230_59
; %bb.1:
	s_clause 0x5
	s_load_b32 s22, s[0:1], 0x38
	s_load_b128 s[16:19], s[0:1], 0x4
	s_load_b32 s2, s[0:1], 0x58
	s_load_b32 s21, s[0:1], 0x70
	s_load_b128 s[12:15], s[0:1], 0x48
	s_load_b256 s[4:11], s[0:1], 0x18
	v_mad_co_u64_u32 v[1:2], null, ttmp9, 28, v[0:1]
	s_mul_i32 s1, ttmp9, 0xffffffe4
	v_dual_mov_b32 v13, 0 :: v_dual_lshlrev_b32 v12, 4, v0
	v_mul_u32_u24_e32 v3, 0x1c0, v0
	s_mov_b32 s37, 0
                                        ; implicit-def: $sgpr38
                                        ; implicit-def: $sgpr39
	s_delay_alu instid0(VALU_DEP_1)
	v_add_nc_u32_e32 v18, v12, v3
	s_wait_kmcnt 0x0
	s_ashr_i32 s23, s22, 31
	s_cmp_eq_u32 s16, 0x71
	v_mad_co_i64_i32 v[1:2], null, s2, v1, 0
	s_cselect_b32 s0, -1, 0
	s_min_i32 s30, s18, 28
	s_add_co_i32 s21, s21, -1
	s_wait_alu 0xfffe
	s_add_co_i32 s2, s19, s1
	s_add_co_i32 s31, s30, -1
	s_cmp_ge_u32 ttmp9, s21
	v_lshlrev_b64_e32 v[8:9], 4, v[1:2]
	s_wait_alu 0xfffe
	s_cselect_b32 s2, s2, 28
	s_cmp_lg_u32 s17, 0x84
	v_cmp_gt_i32_e64 s1, s30, v0
	s_cselect_b32 s33, -1, 0
	s_cmp_lg_u32 s16, 0x6f
	s_wait_alu 0xfffe
	v_cmp_gt_i32_e64 s2, s2, v0
	s_cselect_b32 s34, -1, 0
	s_lshl_b64 s[16:17], s[10:11], 4
	s_lshl_b64 s[10:11], s[14:15], 4
	v_add_co_u32 v0, s14, s16, v12
	v_add_co_u32 v1, vcc_lo, v8, s10
	v_add_co_ci_u32_e64 v14, null, s17, 0, s14
	s_delay_alu instid0(VALU_DEP_3) | instskip(SKIP_1) | instid1(VALU_DEP_4)
	v_or_b32_e32 v15, 8, v0
	v_add_co_ci_u32_e64 v16, null, s11, v9, vcc_lo
	v_or_b32_e32 v17, 8, v1
	s_mul_i32 s36, s30, 0x1c0
	s_or_b32 s35, 0, 8
	s_lshl_b64 s[14:15], s[22:23], 4
	s_addk_co_i32 s36, 0xfe40
	s_mov_b32 s17, 0
	s_branch .LBB230_4
.LBB230_2:                              ;   in Loop: Header=BB230_4 Depth=1
	s_add_co_i32 s20, s20, 0x10000
	s_delay_alu instid0(SALU_CYCLE_1)
	s_cmp_ge_u32 s20, s3
	s_cselect_b32 s16, -1, 0
	s_and_not1_b32 s39, s39, exec_lo
	s_wait_alu 0xfffe
	s_or_not1_b32 s16, s16, exec_lo
.LBB230_3:                              ;   in Loop: Header=BB230_4 Depth=1
	s_or_b32 exec_lo, exec_lo, s21
	s_wait_alu 0xfffe
	s_and_b32 s16, exec_lo, s16
	s_wait_alu 0xfffe
	s_or_b32 s37, s16, s37
	s_and_not1_b32 s16, s38, exec_lo
	s_and_b32 s18, s39, exec_lo
	s_wait_alu 0xfffe
	s_or_b32 s38, s16, s18
	s_and_not1_b32 exec_lo, exec_lo, s37
	s_cbranch_execz .LBB230_58
.LBB230_4:                              ; =>This Loop Header: Depth=1
                                        ;     Child Loop BB230_6 Depth 2
                                        ;     Child Loop BB230_19 Depth 2
                                        ;       Child Loop BB230_22 Depth 3
                                        ;         Child Loop BB230_23 Depth 4
                                        ;         Child Loop BB230_26 Depth 4
                                        ;           Child Loop BB230_27 Depth 5
                                        ;         Child Loop BB230_31 Depth 4
                                        ;           Child Loop BB230_33 Depth 5
                                        ;     Child Loop BB230_41 Depth 2
                                        ;       Child Loop BB230_44 Depth 3
                                        ;         Child Loop BB230_45 Depth 4
                                        ;         Child Loop BB230_47 Depth 4
                                        ;           Child Loop BB230_48 Depth 5
                                        ;         Child Loop BB230_52 Depth 4
                                        ;           Child Loop BB230_54 Depth 5
	s_wait_alu 0xfffe
	s_mov_b32 s21, s17
	s_delay_alu instid0(SALU_CYCLE_1) | instskip(NEXT) | instid1(SALU_CYCLE_1)
	s_lshl_b64 s[18:19], s[20:21], 3
	s_add_nc_u64 s[22:23], s[12:13], s[18:19]
	global_load_b64 v[10:11], v13, s[22:23]
	s_and_saveexec_b32 s16, s1
	s_cbranch_execz .LBB230_15
; %bb.5:                                ;   in Loop: Header=BB230_4 Depth=1
	s_add_nc_u64 s[18:19], s[8:9], s[18:19]
	v_mov_b32_e32 v2, v12
	global_load_b64 v[0:1], v13, s[18:19]
	s_mov_b32 s18, s30
	s_wait_loadcnt 0x0
	v_add_co_u32 v0, vcc_lo, v0, v15
	s_wait_alu 0xfffd
	v_add_co_ci_u32_e64 v1, null, v1, v14, vcc_lo
.LBB230_6:                              ;   Parent Loop BB230_4 Depth=1
                                        ; =>  This Inner Loop Header: Depth=2
	flat_load_b128 v[3:6], v[0:1] offset:-8
	v_add_co_u32 v0, vcc_lo, v0, s14
	s_wait_alu 0xfffd
	v_add_co_ci_u32_e64 v1, null, s15, v1, vcc_lo
	s_add_co_i32 s18, s18, -1
	s_delay_alu instid0(SALU_CYCLE_1) | instskip(SKIP_2) | instid1(VALU_DEP_1)
	s_cmp_eq_u32 s18, 0
	s_wait_loadcnt_dscnt 0x0
	v_xor_b32_e32 v7, 0x80000000, v6
	v_cndmask_b32_e64 v6, v6, v7, s0
	ds_store_b128 v2, v[3:6]
	v_add_nc_u32_e32 v2, 0x1c0, v2
	s_cbranch_scc0 .LBB230_6
; %bb.7:                                ;   in Loop: Header=BB230_4 Depth=1
	s_and_b32 vcc_lo, exec_lo, s33
	s_wait_alu 0xfffe
	s_cbranch_vccz .LBB230_13
; %bb.8:                                ;   in Loop: Header=BB230_4 Depth=1
	ds_load_b128 v[0:3], v18
                                        ; implicit-def: $vgpr6_vgpr7
	s_wait_dscnt 0x0
	v_cmp_ngt_f64_e64 s18, |v[0:1]|, |v[2:3]|
	s_and_saveexec_b32 s19, s18
	s_delay_alu instid0(SALU_CYCLE_1)
	s_xor_b32 s18, exec_lo, s19
	s_cbranch_execz .LBB230_10
; %bb.9:                                ;   in Loop: Header=BB230_4 Depth=1
	v_div_scale_f64 v[4:5], null, v[2:3], v[2:3], v[0:1]
	v_div_scale_f64 v[21:22], vcc_lo, v[0:1], v[2:3], v[0:1]
	s_delay_alu instid0(VALU_DEP_2) | instskip(NEXT) | instid1(TRANS32_DEP_1)
	v_rcp_f64_e32 v[6:7], v[4:5]
	v_fma_f64 v[19:20], -v[4:5], v[6:7], 1.0
	s_delay_alu instid0(VALU_DEP_1) | instskip(NEXT) | instid1(VALU_DEP_1)
	v_fma_f64 v[6:7], v[6:7], v[19:20], v[6:7]
	v_fma_f64 v[19:20], -v[4:5], v[6:7], 1.0
	s_delay_alu instid0(VALU_DEP_1) | instskip(NEXT) | instid1(VALU_DEP_1)
	v_fma_f64 v[6:7], v[6:7], v[19:20], v[6:7]
	v_mul_f64_e32 v[19:20], v[21:22], v[6:7]
	s_delay_alu instid0(VALU_DEP_1) | instskip(SKIP_1) | instid1(VALU_DEP_1)
	v_fma_f64 v[4:5], -v[4:5], v[19:20], v[21:22]
	s_wait_alu 0xfffd
	v_div_fmas_f64 v[4:5], v[4:5], v[6:7], v[19:20]
	s_delay_alu instid0(VALU_DEP_1) | instskip(NEXT) | instid1(VALU_DEP_1)
	v_div_fixup_f64 v[4:5], v[4:5], v[2:3], v[0:1]
	v_fma_f64 v[0:1], v[0:1], v[4:5], v[2:3]
	s_delay_alu instid0(VALU_DEP_1) | instskip(SKIP_1) | instid1(VALU_DEP_2)
	v_div_scale_f64 v[2:3], null, v[0:1], v[0:1], 1.0
	v_div_scale_f64 v[21:22], vcc_lo, 1.0, v[0:1], 1.0
	v_rcp_f64_e32 v[6:7], v[2:3]
	s_delay_alu instid0(TRANS32_DEP_1) | instskip(NEXT) | instid1(VALU_DEP_1)
	v_fma_f64 v[19:20], -v[2:3], v[6:7], 1.0
	v_fma_f64 v[6:7], v[6:7], v[19:20], v[6:7]
	s_delay_alu instid0(VALU_DEP_1) | instskip(NEXT) | instid1(VALU_DEP_1)
	v_fma_f64 v[19:20], -v[2:3], v[6:7], 1.0
	v_fma_f64 v[6:7], v[6:7], v[19:20], v[6:7]
	s_delay_alu instid0(VALU_DEP_1) | instskip(NEXT) | instid1(VALU_DEP_1)
	v_mul_f64_e32 v[19:20], v[21:22], v[6:7]
	v_fma_f64 v[2:3], -v[2:3], v[19:20], v[21:22]
	s_wait_alu 0xfffd
	s_delay_alu instid0(VALU_DEP_1) | instskip(SKIP_1) | instid1(VALU_DEP_2)
	v_div_fmas_f64 v[2:3], v[2:3], v[6:7], v[19:20]
	v_add_f64_e32 v[6:7], 0, v[4:5]
	v_div_fixup_f64 v[0:1], v[2:3], v[0:1], 1.0
	v_fma_f64 v[2:3], v[4:5], 0, -1.0
	s_delay_alu instid0(VALU_DEP_2) | instskip(NEXT) | instid1(VALU_DEP_2)
	v_mul_f64_e32 v[4:5], v[6:7], v[0:1]
	v_mul_f64_e32 v[6:7], v[2:3], v[0:1]
                                        ; implicit-def: $vgpr0_vgpr1
.LBB230_10:                             ;   in Loop: Header=BB230_4 Depth=1
	s_and_not1_saveexec_b32 s18, s18
	s_cbranch_execz .LBB230_12
; %bb.11:                               ;   in Loop: Header=BB230_4 Depth=1
	v_div_scale_f64 v[4:5], null, v[0:1], v[0:1], v[2:3]
	v_div_scale_f64 v[21:22], vcc_lo, v[2:3], v[0:1], v[2:3]
	s_delay_alu instid0(VALU_DEP_2) | instskip(NEXT) | instid1(TRANS32_DEP_1)
	v_rcp_f64_e32 v[6:7], v[4:5]
	v_fma_f64 v[19:20], -v[4:5], v[6:7], 1.0
	s_delay_alu instid0(VALU_DEP_1) | instskip(NEXT) | instid1(VALU_DEP_1)
	v_fma_f64 v[6:7], v[6:7], v[19:20], v[6:7]
	v_fma_f64 v[19:20], -v[4:5], v[6:7], 1.0
	s_delay_alu instid0(VALU_DEP_1) | instskip(NEXT) | instid1(VALU_DEP_1)
	v_fma_f64 v[6:7], v[6:7], v[19:20], v[6:7]
	v_mul_f64_e32 v[19:20], v[21:22], v[6:7]
	s_delay_alu instid0(VALU_DEP_1) | instskip(SKIP_1) | instid1(VALU_DEP_1)
	v_fma_f64 v[4:5], -v[4:5], v[19:20], v[21:22]
	s_wait_alu 0xfffd
	v_div_fmas_f64 v[4:5], v[4:5], v[6:7], v[19:20]
	s_delay_alu instid0(VALU_DEP_1) | instskip(NEXT) | instid1(VALU_DEP_1)
	v_div_fixup_f64 v[4:5], v[4:5], v[0:1], v[2:3]
	v_fma_f64 v[0:1], v[2:3], v[4:5], v[0:1]
	s_delay_alu instid0(VALU_DEP_1) | instskip(SKIP_1) | instid1(VALU_DEP_2)
	v_div_scale_f64 v[2:3], null, v[0:1], v[0:1], 1.0
	v_div_scale_f64 v[21:22], vcc_lo, 1.0, v[0:1], 1.0
	v_rcp_f64_e32 v[6:7], v[2:3]
	s_delay_alu instid0(TRANS32_DEP_1) | instskip(NEXT) | instid1(VALU_DEP_1)
	v_fma_f64 v[19:20], -v[2:3], v[6:7], 1.0
	v_fma_f64 v[6:7], v[6:7], v[19:20], v[6:7]
	s_delay_alu instid0(VALU_DEP_1) | instskip(NEXT) | instid1(VALU_DEP_1)
	v_fma_f64 v[19:20], -v[2:3], v[6:7], 1.0
	v_fma_f64 v[6:7], v[6:7], v[19:20], v[6:7]
	s_delay_alu instid0(VALU_DEP_1) | instskip(NEXT) | instid1(VALU_DEP_1)
	v_mul_f64_e32 v[19:20], v[21:22], v[6:7]
	v_fma_f64 v[2:3], -v[2:3], v[19:20], v[21:22]
	s_wait_alu 0xfffd
	s_delay_alu instid0(VALU_DEP_1) | instskip(SKIP_1) | instid1(VALU_DEP_2)
	v_div_fmas_f64 v[2:3], v[2:3], v[6:7], v[19:20]
	v_fma_f64 v[6:7], v[4:5], 0, 1.0
	v_div_fixup_f64 v[0:1], v[2:3], v[0:1], 1.0
	v_add_f64_e64 v[2:3], -v[4:5], 0
	s_delay_alu instid0(VALU_DEP_2) | instskip(NEXT) | instid1(VALU_DEP_2)
	v_mul_f64_e32 v[4:5], v[6:7], v[0:1]
	v_mul_f64_e32 v[6:7], v[2:3], v[0:1]
.LBB230_12:                             ;   in Loop: Header=BB230_4 Depth=1
	s_or_b32 exec_lo, exec_lo, s18
	s_branch .LBB230_14
.LBB230_13:                             ;   in Loop: Header=BB230_4 Depth=1
	v_mov_b32_e32 v6, 0
	v_dual_mov_b32 v7, 0 :: v_dual_mov_b32 v4, 0
	v_mov_b32_e32 v5, 0x3ff00000
.LBB230_14:                             ;   in Loop: Header=BB230_4 Depth=1
	ds_store_b128 v18, v[4:7]
.LBB230_15:                             ;   in Loop: Header=BB230_4 Depth=1
	s_wait_alu 0xfffe
	s_or_b32 exec_lo, exec_lo, s16
	s_mov_b32 s16, -1
	s_or_b32 s39, s39, exec_lo
	; wave barrier
	s_wait_loadcnt_dscnt 0x0
	global_inv scope:SCOPE_SE
	s_and_saveexec_b32 s21, s2
	s_cbranch_execz .LBB230_3
; %bb.16:                               ;   in Loop: Header=BB230_4 Depth=1
	v_add_co_u32 v0, vcc_lo, v10, s10
	s_wait_alu 0xfffd
	v_add_co_ci_u32_e64 v1, null, s11, v11, vcc_lo
	s_delay_alu instid0(VALU_DEP_2) | instskip(SKIP_1) | instid1(VALU_DEP_2)
	v_add_co_u32 v6, vcc_lo, v0, v8
	s_wait_alu 0xfffd
	v_add_co_ci_u32_e64 v7, null, v1, v9, vcc_lo
	s_and_not1_b32 vcc_lo, exec_lo, s34
	s_wait_alu 0xfffe
	s_cbranch_vccnz .LBB230_38
; %bb.17:                               ;   in Loop: Header=BB230_4 Depth=1
	v_add_co_u32 v19, vcc_lo, v10, v17
	s_wait_alu 0xfffd
	v_add_co_ci_u32_e64 v20, null, v11, v16, vcc_lo
	s_mov_b32 s22, 0
	s_mov_b32 s18, 0
	s_branch .LBB230_19
.LBB230_18:                             ;   in Loop: Header=BB230_19 Depth=2
	s_cmp_lt_i32 s18, s30
	s_cselect_b32 s16, -1, 0
	s_add_co_i32 s19, s22, 1
	s_cmp_lt_u32 s22, 2
	s_cselect_b32 s22, -1, 0
	s_wait_alu 0xfffe
	s_and_b32 s16, s16, s22
	s_mov_b32 s22, s19
	s_wait_alu 0xfffe
	s_and_b32 vcc_lo, exec_lo, s16
	s_wait_alu 0xfffe
	s_cbranch_vccz .LBB230_37
.LBB230_19:                             ;   Parent Loop BB230_4 Depth=1
                                        ; =>  This Loop Header: Depth=2
                                        ;       Child Loop BB230_22 Depth 3
                                        ;         Child Loop BB230_23 Depth 4
                                        ;         Child Loop BB230_26 Depth 4
                                        ;           Child Loop BB230_27 Depth 5
                                        ;         Child Loop BB230_31 Depth 4
                                        ;           Child Loop BB230_33 Depth 5
	s_mov_b32 s23, s17
	s_getpc_b64 s[24:25]
	s_wait_alu 0xfffe
	s_sext_i32_i16 s25, s25
	s_add_co_u32 s24, s24, __const._ZL30rocblas_trsm_small_left_deviceILi28ELi28ELb0E19rocblas_complex_numIdES1_PKPKS1_PKPS1_Ev13rocblas_fill_18rocblas_operation_17rocblas_diagonal_iiT3_T4_lilT5_lili.step_sizes@rel32@lo+12
	s_wait_alu 0xfffe
	s_add_co_ci_u32 s25, s25, __const._ZL30rocblas_trsm_small_left_deviceILi28ELi28ELb0E19rocblas_complex_numIdES1_PKPKS1_PKPS1_Ev13rocblas_fill_18rocblas_operation_17rocblas_diagonal_iiT3_T4_lilT5_lili.step_sizes@rel32@hi+24
	s_lshl_b64 s[26:27], s[22:23], 2
	s_wait_alu 0xfffe
	s_add_nc_u64 s[24:25], s[24:25], s[26:27]
	s_load_b32 s24, s[24:25], 0x0
	s_wait_kmcnt 0x0
	s_add_co_i32 s23, s24, -1
	s_wait_alu 0xfffe
	s_add_co_i32 s16, s23, s18
	s_wait_alu 0xfffe
	s_cmp_ge_i32 s16, s30
	s_cbranch_scc1 .LBB230_18
; %bb.20:                               ;   in Loop: Header=BB230_19 Depth=2
	s_ashr_i32 s19, s18, 31
	s_ashr_i32 s25, s24, 31
	s_lshl_b64 s[26:27], s[18:19], 4
	s_max_i32 s40, s24, 1
	s_wait_alu 0xfffe
	v_add_co_u32 v4, vcc_lo, v19, s26
	s_wait_alu 0xfffd
	v_add_co_ci_u32_e64 v5, null, s27, v20, vcc_lo
	s_lshl_b64 s[26:27], s[24:25], 4
	s_mul_i32 s19, s18, 0x1c0
	s_mul_i32 s25, s24, 0x1c0
	;; [unrolled: 1-line block ×4, first 2 shown]
	s_branch .LBB230_22
.LBB230_21:                             ;   in Loop: Header=BB230_22 Depth=3
	v_add_co_u32 v4, vcc_lo, v4, s26
	s_add_co_i32 s18, s18, s24
	s_wait_alu 0xfffd
	v_add_co_ci_u32_e64 v5, null, s27, v5, vcc_lo
	s_add_co_i32 s16, s23, s18
	s_add_co_i32 s19, s19, s25
	;; [unrolled: 1-line block ×3, first 2 shown]
	s_wait_alu 0xfffe
	s_cmp_ge_i32 s16, s30
	s_cbranch_scc1 .LBB230_18
.LBB230_22:                             ;   Parent Loop BB230_4 Depth=1
                                        ;     Parent Loop BB230_19 Depth=2
                                        ; =>    This Loop Header: Depth=3
                                        ;         Child Loop BB230_23 Depth 4
                                        ;         Child Loop BB230_26 Depth 4
                                        ;           Child Loop BB230_27 Depth 5
                                        ;         Child Loop BB230_31 Depth 4
                                        ;           Child Loop BB230_33 Depth 5
	v_dual_mov_b32 v0, v4 :: v_dual_mov_b32 v1, v5
	s_mov_b32 s16, 8
	s_mov_b32 s28, s40
.LBB230_23:                             ;   Parent Loop BB230_4 Depth=1
                                        ;     Parent Loop BB230_19 Depth=2
                                        ;       Parent Loop BB230_22 Depth=3
                                        ; =>      This Inner Loop Header: Depth=4
	flat_load_b128 v[21:24], v[0:1] offset:-8
	v_add_co_u32 v0, vcc_lo, v0, 16
	s_wait_alu 0xfffd
	v_add_co_ci_u32_e64 v1, null, 0, v1, vcc_lo
	s_wait_alu 0xfffe
	s_add_co_i32 s28, s28, -1
	s_mov_b32 s29, s16
	s_add_co_i32 s16, s16, 16
	s_wait_alu 0xfffe
	s_cmp_eq_u32 s28, 0
	s_wait_loadcnt_dscnt 0x0
	v_mul_f64_e32 v[2:3], s[6:7], v[23:24]
	v_mul_f64_e32 v[25:26], s[4:5], v[23:24]
	s_delay_alu instid0(VALU_DEP_2) | instskip(NEXT) | instid1(VALU_DEP_2)
	v_fma_f64 v[23:24], s[4:5], v[21:22], -v[2:3]
	v_fma_f64 v[25:26], s[6:7], v[21:22], v[25:26]
	scratch_store_b128 off, v[23:26], s29 offset:-8
	s_cbranch_scc0 .LBB230_23
; %bb.24:                               ;   in Loop: Header=BB230_22 Depth=3
	s_cmp_lt_i32 s18, 1
	s_cbranch_scc1 .LBB230_29
; %bb.25:                               ;   in Loop: Header=BB230_22 Depth=3
	s_mov_b32 s16, 0
	s_mov_b32 s28, s19
.LBB230_26:                             ;   Parent Loop BB230_4 Depth=1
                                        ;     Parent Loop BB230_19 Depth=2
                                        ;       Parent Loop BB230_22 Depth=3
                                        ; =>      This Loop Header: Depth=4
                                        ;           Child Loop BB230_27 Depth 5
	s_wait_alu 0xfffe
	s_lshl_b64 s[44:45], s[16:17], 4
	s_mov_b32 s29, s35
	s_wait_alu 0xfffe
	v_add_co_u32 v0, vcc_lo, v6, s44
	s_wait_alu 0xfffd
	v_add_co_ci_u32_e64 v1, null, s45, v7, vcc_lo
	s_mov_b32 s43, s28
	s_mov_b32 s44, s40
	flat_load_b128 v[0:3], v[0:1]
.LBB230_27:                             ;   Parent Loop BB230_4 Depth=1
                                        ;     Parent Loop BB230_19 Depth=2
                                        ;       Parent Loop BB230_22 Depth=3
                                        ;         Parent Loop BB230_26 Depth=4
                                        ; =>        This Inner Loop Header: Depth=5
	scratch_load_b128 v[21:24], off, s29 offset:-8
	s_wait_alu 0xfffe
	v_mov_b32_e32 v25, s43
	s_add_co_i32 s44, s44, -1
	s_addk_co_i32 s43, 0x1c0
	ds_load_b128 v[25:28], v25
	s_wait_loadcnt_dscnt 0x100
	v_mul_f64_e32 v[29:30], v[2:3], v[27:28]
	v_mul_f64_e32 v[27:28], v[0:1], v[27:28]
	s_delay_alu instid0(VALU_DEP_2) | instskip(NEXT) | instid1(VALU_DEP_2)
	v_fma_f64 v[29:30], v[0:1], v[25:26], -v[29:30]
	v_fma_f64 v[25:26], v[2:3], v[25:26], v[27:28]
	s_wait_loadcnt 0x0
	s_delay_alu instid0(VALU_DEP_2) | instskip(NEXT) | instid1(VALU_DEP_2)
	v_add_f64_e64 v[21:22], v[21:22], -v[29:30]
	v_add_f64_e64 v[23:24], v[23:24], -v[25:26]
	scratch_store_b128 off, v[21:24], s29 offset:-8
	s_add_co_i32 s29, s29, 16
	s_wait_alu 0xfffe
	s_cmp_eq_u32 s44, 0
	s_cbranch_scc0 .LBB230_27
; %bb.28:                               ;   in Loop: Header=BB230_26 Depth=4
	s_add_co_i32 s16, s16, 1
	s_add_co_i32 s28, s28, 16
	s_wait_alu 0xfffe
	s_cmp_eq_u32 s16, s18
	s_cbranch_scc0 .LBB230_26
.LBB230_29:                             ;   in Loop: Header=BB230_22 Depth=3
	s_mov_b32 s16, 0
	s_mov_b32 s43, s41
	s_branch .LBB230_31
.LBB230_30:                             ;   in Loop: Header=BB230_31 Depth=4
	s_wait_alu 0xfffe
	s_mul_i32 s29, s28, 0x1d0
	s_lshl_b32 s44, s16, 4
	s_wait_alu 0xfffe
	v_mov_b32_e32 v21, s29
	s_ashr_i32 s29, s28, 31
	s_add_co_i32 s16, s16, 1
	s_wait_alu 0xfffe
	s_lshl_b64 s[28:29], s[28:29], 4
	s_addk_co_i32 s43, 0x1c0
	ds_load_b128 v[21:24], v21
	s_cmp_eq_u32 s16, s40
	s_wait_loadcnt_dscnt 0x0
	v_mul_f64_e32 v[25:26], v[23:24], v[2:3]
	v_mul_f64_e32 v[2:3], v[21:22], v[2:3]
	s_delay_alu instid0(VALU_DEP_2) | instskip(NEXT) | instid1(VALU_DEP_2)
	v_fma_f64 v[21:22], v[21:22], v[0:1], -v[25:26]
	v_fma_f64 v[23:24], v[23:24], v[0:1], v[2:3]
	s_wait_alu 0xfffe
	v_add_co_u32 v0, vcc_lo, v6, s28
	s_wait_alu 0xfffd
	v_add_co_ci_u32_e64 v1, null, s29, v7, vcc_lo
	scratch_store_b128 off, v[21:24], s44
	flat_store_b128 v[0:1], v[21:24]
	s_cbranch_scc1 .LBB230_21
.LBB230_31:                             ;   Parent Loop BB230_4 Depth=1
                                        ;     Parent Loop BB230_19 Depth=2
                                        ;       Parent Loop BB230_22 Depth=3
                                        ; =>      This Loop Header: Depth=4
                                        ;           Child Loop BB230_33 Depth 5
	s_wait_alu 0xfffe
	s_cmp_lg_u32 s16, 0
	s_cbranch_scc0 .LBB230_35
; %bb.32:                               ;   in Loop: Header=BB230_31 Depth=4
	s_lshl_b32 s29, s16, 4
	s_add_co_i32 s28, s16, s18
	scratch_load_b128 v[0:3], off, s29
	s_mov_b32 s44, s43
	s_mov_b32 s45, s35
	;; [unrolled: 1-line block ×3, first 2 shown]
.LBB230_33:                             ;   Parent Loop BB230_4 Depth=1
                                        ;     Parent Loop BB230_19 Depth=2
                                        ;       Parent Loop BB230_22 Depth=3
                                        ;         Parent Loop BB230_31 Depth=4
                                        ; =>        This Inner Loop Header: Depth=5
	scratch_load_b128 v[21:24], off, s45 offset:-8
	s_wait_alu 0xfffe
	v_mov_b32_e32 v25, s44
	s_add_co_i32 s46, s46, -1
	s_add_co_i32 s45, s45, 16
	s_add_co_i32 s44, s44, 16
	s_cmp_eq_u32 s46, 0
	ds_load_b128 v[25:28], v25
	s_wait_loadcnt_dscnt 0x0
	v_mul_f64_e32 v[29:30], v[27:28], v[23:24]
	v_mul_f64_e32 v[23:24], v[25:26], v[23:24]
	s_delay_alu instid0(VALU_DEP_2) | instskip(NEXT) | instid1(VALU_DEP_2)
	v_fma_f64 v[25:26], v[25:26], v[21:22], -v[29:30]
	v_fma_f64 v[21:22], v[27:28], v[21:22], v[23:24]
	s_delay_alu instid0(VALU_DEP_2) | instskip(NEXT) | instid1(VALU_DEP_2)
	v_add_f64_e64 v[0:1], v[0:1], -v[25:26]
	v_add_f64_e64 v[2:3], v[2:3], -v[21:22]
	scratch_store_b128 off, v[0:3], s29
	s_cbranch_scc0 .LBB230_33
; %bb.34:                               ;   in Loop: Header=BB230_31 Depth=4
	s_branch .LBB230_30
.LBB230_35:                             ;   in Loop: Header=BB230_31 Depth=4
                                        ; implicit-def: $vgpr0_vgpr1
                                        ; implicit-def: $sgpr28
	s_cbranch_execz .LBB230_30
; %bb.36:                               ;   in Loop: Header=BB230_31 Depth=4
	scratch_load_b128 v[0:3], off, off
	s_mov_b32 s28, s18
	s_branch .LBB230_30
.LBB230_37:                             ;   in Loop: Header=BB230_4 Depth=1
	s_mov_b32 s16, 0
.LBB230_38:                             ;   in Loop: Header=BB230_4 Depth=1
	s_wait_alu 0xfffe
	s_and_b32 vcc_lo, exec_lo, s16
	s_wait_alu 0xfffe
	s_cbranch_vccz .LBB230_2
; %bb.39:                               ;   in Loop: Header=BB230_4 Depth=1
	v_add_co_u32 v4, vcc_lo, v10, v17
	s_wait_alu 0xfffd
	v_add_co_ci_u32_e64 v5, null, v11, v16, vcc_lo
	s_mov_b32 s16, 0
	s_mov_b32 s18, s31
	s_branch .LBB230_41
.LBB230_40:                             ;   in Loop: Header=BB230_41 Depth=2
	s_cmp_gt_i32 s18, -1
	s_cselect_b32 s19, -1, 0
	s_add_co_i32 s22, s16, 1
	s_cmp_lt_u32 s16, 2
	s_cselect_b32 s16, -1, 0
	s_wait_alu 0xfffe
	s_and_b32 s16, s19, s16
	s_wait_alu 0xfffe
	s_and_not1_b32 vcc_lo, exec_lo, s16
	s_mov_b32 s16, s22
	s_wait_alu 0xfffe
	s_cbranch_vccnz .LBB230_2
.LBB230_41:                             ;   Parent Loop BB230_4 Depth=1
                                        ; =>  This Loop Header: Depth=2
                                        ;       Child Loop BB230_44 Depth 3
                                        ;         Child Loop BB230_45 Depth 4
                                        ;         Child Loop BB230_47 Depth 4
                                        ;           Child Loop BB230_48 Depth 5
                                        ;         Child Loop BB230_52 Depth 4
                                        ;           Child Loop BB230_54 Depth 5
	s_getpc_b64 s[22:23]
	s_wait_alu 0xfffe
	s_sext_i32_i16 s23, s23
	s_add_co_u32 s22, s22, __const._ZL30rocblas_trsm_small_left_deviceILi28ELi28ELb0E19rocblas_complex_numIdES1_PKPKS1_PKPS1_Ev13rocblas_fill_18rocblas_operation_17rocblas_diagonal_iiT3_T4_lilT5_lili.step_sizes@rel32@lo+12
	s_wait_alu 0xfffe
	s_add_co_ci_u32 s23, s23, __const._ZL30rocblas_trsm_small_left_deviceILi28ELi28ELb0E19rocblas_complex_numIdES1_PKPKS1_PKPS1_Ev13rocblas_fill_18rocblas_operation_17rocblas_diagonal_iiT3_T4_lilT5_lili.step_sizes@rel32@hi+24
	s_lshl_b64 s[24:25], s[16:17], 2
	s_wait_alu 0xfffe
	s_add_nc_u64 s[22:23], s[22:23], s[24:25]
	s_load_b32 s26, s[22:23], 0x0
	s_wait_kmcnt 0x0
	s_add_co_i32 s27, s26, -1
	s_wait_alu 0xfffe
	s_cmp_lt_i32 s18, s27
	s_cbranch_scc1 .LBB230_40
; %bb.42:                               ;   in Loop: Header=BB230_41 Depth=2
	s_lshl_b32 s19, s18, 4
	s_lshl_b32 s22, s26, 4
	s_max_i32 s28, s26, 1
	s_add_co_i32 s29, s36, s19
	s_wait_alu 0xfffe
	s_sub_co_i32 s40, 0, s22
	s_mul_i32 s41, s18, 0x1d0
	s_mul_i32 s42, s26, 0xfffffe30
	s_branch .LBB230_44
.LBB230_43:                             ;   in Loop: Header=BB230_44 Depth=3
	s_sub_co_i32 s18, s18, s26
	s_add_co_i32 s29, s29, s40
	s_add_co_i32 s41, s41, s42
	s_cmp_lt_i32 s18, s27
	s_cbranch_scc1 .LBB230_40
.LBB230_44:                             ;   Parent Loop BB230_4 Depth=1
                                        ;     Parent Loop BB230_41 Depth=2
                                        ; =>    This Loop Header: Depth=3
                                        ;         Child Loop BB230_45 Depth 4
                                        ;         Child Loop BB230_47 Depth 4
                                        ;           Child Loop BB230_48 Depth 5
                                        ;         Child Loop BB230_52 Depth 4
                                        ;           Child Loop BB230_54 Depth 5
	s_ashr_i32 s19, s18, 31
	s_delay_alu instid0(SALU_CYCLE_1)
	s_lshl_b64 s[22:23], s[18:19], 4
	s_wait_alu 0xfffe
	v_add_co_u32 v0, vcc_lo, v4, s22
	s_wait_alu 0xfffd
	v_add_co_ci_u32_e64 v1, null, s23, v5, vcc_lo
	s_mov_b32 s22, 8
	s_mov_b32 s23, s28
.LBB230_45:                             ;   Parent Loop BB230_4 Depth=1
                                        ;     Parent Loop BB230_41 Depth=2
                                        ;       Parent Loop BB230_44 Depth=3
                                        ; =>      This Inner Loop Header: Depth=4
	flat_load_b128 v[19:22], v[0:1] offset:-8
	v_add_co_u32 v0, vcc_lo, v0, -16
	s_wait_alu 0xfffd
	v_add_co_ci_u32_e64 v1, null, -1, v1, vcc_lo
	s_wait_alu 0xfffe
	s_add_co_i32 s23, s23, -1
	s_mov_b32 s24, s22
	s_add_co_i32 s22, s22, 16
	s_wait_alu 0xfffe
	s_cmp_eq_u32 s23, 0
	s_wait_loadcnt_dscnt 0x0
	v_mul_f64_e32 v[2:3], s[6:7], v[21:22]
	v_mul_f64_e32 v[10:11], s[4:5], v[21:22]
	s_delay_alu instid0(VALU_DEP_2) | instskip(NEXT) | instid1(VALU_DEP_2)
	v_fma_f64 v[21:22], s[4:5], v[19:20], -v[2:3]
	v_fma_f64 v[23:24], s[6:7], v[19:20], v[10:11]
	scratch_store_b128 off, v[21:24], s24 offset:-8
	s_cbranch_scc0 .LBB230_45
; %bb.46:                               ;   in Loop: Header=BB230_44 Depth=3
	s_cmp_le_i32 s31, s18
	s_mov_b32 s24, s29
	s_mov_b32 s22, s31
	s_cbranch_scc1 .LBB230_50
.LBB230_47:                             ;   Parent Loop BB230_4 Depth=1
                                        ;     Parent Loop BB230_41 Depth=2
                                        ;       Parent Loop BB230_44 Depth=3
                                        ; =>      This Loop Header: Depth=4
                                        ;           Child Loop BB230_48 Depth 5
	s_wait_alu 0xfffe
	s_ashr_i32 s23, s22, 31
	s_mov_b32 s25, s24
	s_wait_alu 0xfffe
	s_lshl_b64 s[44:45], s[22:23], 4
	s_mov_b32 s23, s35
	s_wait_alu 0xfffe
	v_add_co_u32 v0, vcc_lo, v6, s44
	s_wait_alu 0xfffd
	v_add_co_ci_u32_e64 v1, null, s45, v7, vcc_lo
	s_mov_b32 s43, s28
	flat_load_b128 v[0:3], v[0:1]
.LBB230_48:                             ;   Parent Loop BB230_4 Depth=1
                                        ;     Parent Loop BB230_41 Depth=2
                                        ;       Parent Loop BB230_44 Depth=3
                                        ;         Parent Loop BB230_47 Depth=4
                                        ; =>        This Inner Loop Header: Depth=5
	scratch_load_b128 v[19:22], off, s23 offset:-8
	v_mov_b32_e32 v10, s25
	s_wait_alu 0xfffe
	s_add_co_i32 s43, s43, -1
	s_add_co_i32 s25, s25, -16
	ds_load_b128 v[23:26], v10
	s_wait_loadcnt_dscnt 0x100
	v_mul_f64_e32 v[10:11], v[2:3], v[25:26]
	v_mul_f64_e32 v[25:26], v[0:1], v[25:26]
	s_delay_alu instid0(VALU_DEP_2) | instskip(NEXT) | instid1(VALU_DEP_2)
	v_fma_f64 v[10:11], v[0:1], v[23:24], -v[10:11]
	v_fma_f64 v[23:24], v[2:3], v[23:24], v[25:26]
	s_wait_loadcnt 0x0
	s_delay_alu instid0(VALU_DEP_2) | instskip(NEXT) | instid1(VALU_DEP_2)
	v_add_f64_e64 v[19:20], v[19:20], -v[10:11]
	v_add_f64_e64 v[21:22], v[21:22], -v[23:24]
	scratch_store_b128 off, v[19:22], s23 offset:-8
	s_add_co_i32 s23, s23, 16
	s_wait_alu 0xfffe
	s_cmp_eq_u32 s43, 0
	s_cbranch_scc0 .LBB230_48
; %bb.49:                               ;   in Loop: Header=BB230_47 Depth=4
	s_add_co_i32 s22, s22, -1
	s_addk_co_i32 s24, 0xfe40
	s_wait_alu 0xfffe
	s_cmp_le_i32 s22, s18
	s_cbranch_scc0 .LBB230_47
.LBB230_50:                             ;   in Loop: Header=BB230_44 Depth=3
	s_mov_b32 s43, 0
	s_mov_b32 s44, s41
	s_branch .LBB230_52
.LBB230_51:                             ;   in Loop: Header=BB230_52 Depth=4
	s_wait_alu 0xfffe
	s_mulk_i32 s24, 0x1d0
	s_lshl_b64 s[22:23], s[22:23], 4
	s_wait_alu 0xfffe
	v_mov_b32_e32 v10, s24
	s_lshl_b32 s24, s43, 4
	s_add_co_i32 s43, s43, 1
	s_add_co_i32 s44, s44, -16
	s_wait_alu 0xfffe
	s_cmp_eq_u32 s43, s28
	ds_load_b128 v[19:22], v10
	s_wait_loadcnt_dscnt 0x0
	v_mul_f64_e32 v[10:11], v[21:22], v[2:3]
	v_mul_f64_e32 v[2:3], v[19:20], v[2:3]
	s_delay_alu instid0(VALU_DEP_2) | instskip(NEXT) | instid1(VALU_DEP_2)
	v_fma_f64 v[19:20], v[19:20], v[0:1], -v[10:11]
	v_fma_f64 v[21:22], v[21:22], v[0:1], v[2:3]
	v_add_co_u32 v0, vcc_lo, v6, s22
	s_wait_alu 0xfffd
	v_add_co_ci_u32_e64 v1, null, s23, v7, vcc_lo
	scratch_store_b128 off, v[19:22], s24
	flat_store_b128 v[0:1], v[19:22]
	s_cbranch_scc1 .LBB230_43
.LBB230_52:                             ;   Parent Loop BB230_4 Depth=1
                                        ;     Parent Loop BB230_41 Depth=2
                                        ;       Parent Loop BB230_44 Depth=3
                                        ; =>      This Loop Header: Depth=4
                                        ;           Child Loop BB230_54 Depth 5
	s_wait_alu 0xfffe
	s_cmp_lg_u32 s43, 0
	s_cbranch_scc0 .LBB230_56
; %bb.53:                               ;   in Loop: Header=BB230_52 Depth=4
	s_lshl_b32 s22, s43, 4
	s_mov_b32 s23, s35
	scratch_load_b128 v[0:3], off, s22
	s_mov_b32 s24, s44
	s_mov_b32 s25, s43
.LBB230_54:                             ;   Parent Loop BB230_4 Depth=1
                                        ;     Parent Loop BB230_41 Depth=2
                                        ;       Parent Loop BB230_44 Depth=3
                                        ;         Parent Loop BB230_52 Depth=4
                                        ; =>        This Inner Loop Header: Depth=5
	scratch_load_b128 v[19:22], off, s23 offset:-8
	s_wait_alu 0xfffe
	v_mov_b32_e32 v10, s24
	s_add_co_i32 s25, s25, -1
	s_addk_co_i32 s24, 0xfe40
	s_add_co_i32 s23, s23, 16
	s_wait_alu 0xfffe
	s_cmp_eq_u32 s25, 0
	ds_load_b128 v[23:26], v10
	s_wait_loadcnt_dscnt 0x0
	v_mul_f64_e32 v[10:11], v[25:26], v[21:22]
	v_mul_f64_e32 v[21:22], v[23:24], v[21:22]
	s_delay_alu instid0(VALU_DEP_2) | instskip(NEXT) | instid1(VALU_DEP_2)
	v_fma_f64 v[10:11], v[23:24], v[19:20], -v[10:11]
	v_fma_f64 v[19:20], v[25:26], v[19:20], v[21:22]
	s_delay_alu instid0(VALU_DEP_2) | instskip(NEXT) | instid1(VALU_DEP_2)
	v_add_f64_e64 v[0:1], v[0:1], -v[10:11]
	v_add_f64_e64 v[2:3], v[2:3], -v[19:20]
	scratch_store_b128 off, v[0:3], s22
	s_cbranch_scc0 .LBB230_54
; %bb.55:                               ;   in Loop: Header=BB230_52 Depth=4
	s_sub_co_i32 s24, s18, s43
	s_wait_alu 0xfffe
	s_ashr_i32 s25, s24, 31
	s_wait_alu 0xfffe
	s_mov_b64 s[22:23], s[24:25]
	s_branch .LBB230_51
.LBB230_56:                             ;   in Loop: Header=BB230_52 Depth=4
                                        ; implicit-def: $vgpr0_vgpr1
                                        ; implicit-def: $sgpr24
                                        ; implicit-def: $sgpr22_sgpr23
	s_cbranch_execz .LBB230_51
; %bb.57:                               ;   in Loop: Header=BB230_52 Depth=4
	scratch_load_b128 v[0:3], off, off
	s_mov_b64 s[22:23], s[18:19]
	s_mov_b32 s24, s18
	s_branch .LBB230_51
.LBB230_58:
	s_or_b32 exec_lo, exec_lo, s37
	s_and_saveexec_b32 s0, s38
	s_wait_alu 0xfffe
	s_xor_b32 s0, exec_lo, s0
.LBB230_59:
	s_endpgm
	.section	.rodata,"a",@progbits
	.p2align	6, 0x0
	.amdhsa_kernel _ZL30rocblas_trsm_small_left_deviceILi28ELi28ELb0E19rocblas_complex_numIdES1_PKPKS1_PKPS1_Ev13rocblas_fill_18rocblas_operation_17rocblas_diagonal_iiT3_T4_lilT5_lili
		.amdhsa_group_segment_fixed_size 12544
		.amdhsa_private_segment_fixed_size 464
		.amdhsa_kernarg_size 368
		.amdhsa_user_sgpr_count 2
		.amdhsa_user_sgpr_dispatch_ptr 0
		.amdhsa_user_sgpr_queue_ptr 0
		.amdhsa_user_sgpr_kernarg_segment_ptr 1
		.amdhsa_user_sgpr_dispatch_id 0
		.amdhsa_user_sgpr_private_segment_size 0
		.amdhsa_wavefront_size32 1
		.amdhsa_uses_dynamic_stack 0
		.amdhsa_enable_private_segment 1
		.amdhsa_system_sgpr_workgroup_id_x 1
		.amdhsa_system_sgpr_workgroup_id_y 0
		.amdhsa_system_sgpr_workgroup_id_z 1
		.amdhsa_system_sgpr_workgroup_info 0
		.amdhsa_system_vgpr_workitem_id 0
		.amdhsa_next_free_vgpr 241
		.amdhsa_next_free_sgpr 47
		.amdhsa_reserve_vcc 1
		.amdhsa_float_round_mode_32 0
		.amdhsa_float_round_mode_16_64 0
		.amdhsa_float_denorm_mode_32 3
		.amdhsa_float_denorm_mode_16_64 3
		.amdhsa_fp16_overflow 0
		.amdhsa_workgroup_processor_mode 1
		.amdhsa_memory_ordered 1
		.amdhsa_forward_progress 1
		.amdhsa_inst_pref_size 25
		.amdhsa_round_robin_scheduling 0
		.amdhsa_exception_fp_ieee_invalid_op 0
		.amdhsa_exception_fp_denorm_src 0
		.amdhsa_exception_fp_ieee_div_zero 0
		.amdhsa_exception_fp_ieee_overflow 0
		.amdhsa_exception_fp_ieee_underflow 0
		.amdhsa_exception_fp_ieee_inexact 0
		.amdhsa_exception_int_div_zero 0
	.end_amdhsa_kernel
	.section	.text._ZL30rocblas_trsm_small_left_deviceILi28ELi28ELb0E19rocblas_complex_numIdES1_PKPKS1_PKPS1_Ev13rocblas_fill_18rocblas_operation_17rocblas_diagonal_iiT3_T4_lilT5_lili,"axG",@progbits,_ZL30rocblas_trsm_small_left_deviceILi28ELi28ELb0E19rocblas_complex_numIdES1_PKPKS1_PKPS1_Ev13rocblas_fill_18rocblas_operation_17rocblas_diagonal_iiT3_T4_lilT5_lili,comdat
.Lfunc_end230:
	.size	_ZL30rocblas_trsm_small_left_deviceILi28ELi28ELb0E19rocblas_complex_numIdES1_PKPKS1_PKPS1_Ev13rocblas_fill_18rocblas_operation_17rocblas_diagonal_iiT3_T4_lilT5_lili, .Lfunc_end230-_ZL30rocblas_trsm_small_left_deviceILi28ELi28ELb0E19rocblas_complex_numIdES1_PKPKS1_PKPS1_Ev13rocblas_fill_18rocblas_operation_17rocblas_diagonal_iiT3_T4_lilT5_lili
                                        ; -- End function
	.set _ZL30rocblas_trsm_small_left_deviceILi28ELi28ELb0E19rocblas_complex_numIdES1_PKPKS1_PKPS1_Ev13rocblas_fill_18rocblas_operation_17rocblas_diagonal_iiT3_T4_lilT5_lili.num_vgpr, 31
	.set _ZL30rocblas_trsm_small_left_deviceILi28ELi28ELb0E19rocblas_complex_numIdES1_PKPKS1_PKPS1_Ev13rocblas_fill_18rocblas_operation_17rocblas_diagonal_iiT3_T4_lilT5_lili.num_agpr, 0
	.set _ZL30rocblas_trsm_small_left_deviceILi28ELi28ELb0E19rocblas_complex_numIdES1_PKPKS1_PKPS1_Ev13rocblas_fill_18rocblas_operation_17rocblas_diagonal_iiT3_T4_lilT5_lili.numbered_sgpr, 47
	.set _ZL30rocblas_trsm_small_left_deviceILi28ELi28ELb0E19rocblas_complex_numIdES1_PKPKS1_PKPS1_Ev13rocblas_fill_18rocblas_operation_17rocblas_diagonal_iiT3_T4_lilT5_lili.num_named_barrier, 0
	.set _ZL30rocblas_trsm_small_left_deviceILi28ELi28ELb0E19rocblas_complex_numIdES1_PKPKS1_PKPS1_Ev13rocblas_fill_18rocblas_operation_17rocblas_diagonal_iiT3_T4_lilT5_lili.private_seg_size, 464
	.set _ZL30rocblas_trsm_small_left_deviceILi28ELi28ELb0E19rocblas_complex_numIdES1_PKPKS1_PKPS1_Ev13rocblas_fill_18rocblas_operation_17rocblas_diagonal_iiT3_T4_lilT5_lili.uses_vcc, 1
	.set _ZL30rocblas_trsm_small_left_deviceILi28ELi28ELb0E19rocblas_complex_numIdES1_PKPKS1_PKPS1_Ev13rocblas_fill_18rocblas_operation_17rocblas_diagonal_iiT3_T4_lilT5_lili.uses_flat_scratch, 0
	.set _ZL30rocblas_trsm_small_left_deviceILi28ELi28ELb0E19rocblas_complex_numIdES1_PKPKS1_PKPS1_Ev13rocblas_fill_18rocblas_operation_17rocblas_diagonal_iiT3_T4_lilT5_lili.has_dyn_sized_stack, 0
	.set _ZL30rocblas_trsm_small_left_deviceILi28ELi28ELb0E19rocblas_complex_numIdES1_PKPKS1_PKPS1_Ev13rocblas_fill_18rocblas_operation_17rocblas_diagonal_iiT3_T4_lilT5_lili.has_recursion, 0
	.set _ZL30rocblas_trsm_small_left_deviceILi28ELi28ELb0E19rocblas_complex_numIdES1_PKPKS1_PKPS1_Ev13rocblas_fill_18rocblas_operation_17rocblas_diagonal_iiT3_T4_lilT5_lili.has_indirect_call, 0
	.section	.AMDGPU.csdata,"",@progbits
; Kernel info:
; codeLenInByte = 3160
; TotalNumSgprs: 49
; NumVgprs: 31
; ScratchSize: 464
; MemoryBound: 0
; FloatMode: 240
; IeeeMode: 1
; LDSByteSize: 12544 bytes/workgroup (compile time only)
; SGPRBlocks: 0
; VGPRBlocks: 30
; NumSGPRsForWavesPerEU: 49
; NumVGPRsForWavesPerEU: 241
; Occupancy: 3
; WaveLimiterHint : 1
; COMPUTE_PGM_RSRC2:SCRATCH_EN: 1
; COMPUTE_PGM_RSRC2:USER_SGPR: 2
; COMPUTE_PGM_RSRC2:TRAP_HANDLER: 0
; COMPUTE_PGM_RSRC2:TGID_X_EN: 1
; COMPUTE_PGM_RSRC2:TGID_Y_EN: 0
; COMPUTE_PGM_RSRC2:TGID_Z_EN: 1
; COMPUTE_PGM_RSRC2:TIDIG_COMP_CNT: 0
	.section	.text._ZL38rocblas_trsm_small_left_device_sharedBILi28ELi28ELb1E19rocblas_complex_numIdES1_PKPKS1_PKPS1_Ev13rocblas_fill_18rocblas_operation_17rocblas_diagonal_iiT3_T4_lilT5_lili,"axG",@progbits,_ZL38rocblas_trsm_small_left_device_sharedBILi28ELi28ELb1E19rocblas_complex_numIdES1_PKPKS1_PKPS1_Ev13rocblas_fill_18rocblas_operation_17rocblas_diagonal_iiT3_T4_lilT5_lili,comdat
	.globl	_ZL38rocblas_trsm_small_left_device_sharedBILi28ELi28ELb1E19rocblas_complex_numIdES1_PKPKS1_PKPS1_Ev13rocblas_fill_18rocblas_operation_17rocblas_diagonal_iiT3_T4_lilT5_lili ; -- Begin function _ZL38rocblas_trsm_small_left_device_sharedBILi28ELi28ELb1E19rocblas_complex_numIdES1_PKPKS1_PKPS1_Ev13rocblas_fill_18rocblas_operation_17rocblas_diagonal_iiT3_T4_lilT5_lili
	.p2align	8
	.type	_ZL38rocblas_trsm_small_left_device_sharedBILi28ELi28ELb1E19rocblas_complex_numIdES1_PKPKS1_PKPS1_Ev13rocblas_fill_18rocblas_operation_17rocblas_diagonal_iiT3_T4_lilT5_lili,@function
_ZL38rocblas_trsm_small_left_device_sharedBILi28ELi28ELb1E19rocblas_complex_numIdES1_PKPKS1_PKPS1_Ev13rocblas_fill_18rocblas_operation_17rocblas_diagonal_iiT3_T4_lilT5_lili: ; @_ZL38rocblas_trsm_small_left_device_sharedBILi28ELi28ELb1E19rocblas_complex_numIdES1_PKPKS1_PKPS1_Ev13rocblas_fill_18rocblas_operation_17rocblas_diagonal_iiT3_T4_lilT5_lili
; %bb.0:
	s_load_b32 s24, s[0:1], 0x68
	s_lshr_b32 s2, ttmp7, 16
	s_wait_kmcnt 0x0
	s_cmp_ge_u32 s2, s24
	s_cbranch_scc1 .LBB231_62
; %bb.1:
	s_clause 0x5
	s_load_b32 s22, s[0:1], 0x38
	s_load_b32 s30, s[0:1], 0x58
	s_load_b128 s[16:19], s[0:1], 0x4
	s_load_b32 s3, s[0:1], 0x70
	s_load_b128 s[12:15], s[0:1], 0x48
	s_load_b256 s[4:11], s[0:1], 0x18
	s_mul_i32 s1, ttmp9, 0xffffffe4
	s_mul_i32 s34, ttmp9, 28
	v_dual_mov_b32 v14, 0 :: v_dual_lshlrev_b32 v13, 4, v0
	v_mul_u32_u24_e32 v5, 0x1c0, v0
	s_mov_b32 s21, 0
	s_delay_alu instid0(VALU_DEP_2) | instskip(NEXT) | instid1(VALU_DEP_2)
	v_add_nc_u32_e32 v8, 0x3100, v13
	v_add_nc_u32_e32 v19, v13, v5
	s_wait_kmcnt 0x0
	s_ashr_i32 s23, s22, 31
	s_ashr_i32 s31, s30, 31
	s_cmp_eq_u32 s16, 0x71
	v_mad_co_i64_i32 v[1:2], null, s30, v0, 0
	s_cselect_b32 s0, -1, 0
	s_min_i32 s25, s18, 28
	s_add_co_i32 s3, s3, -1
	s_add_co_i32 s1, s19, s1
	s_add_co_i32 s26, s25, -1
	s_cmp_ge_u32 ttmp9, s3
	v_lshlrev_b64_e32 v[9:10], 4, v[1:2]
	s_cselect_b32 s3, s1, 28
	s_ashr_i32 s35, s34, 31
	s_cmp_lg_u32 s17, 0x84
	v_cmp_gt_i32_e64 s1, s25, v0
	s_cselect_b32 s27, -1, 0
	s_cmp_gt_i32 s18, 0
	v_cmp_gt_i32_e32 vcc_lo, s3, v0
	s_cselect_b32 s20, -1, 0
	s_cmp_lg_u32 s16, 0x6f
	s_mul_u64 s[18:19], s[30:31], s[34:35]
	s_cselect_b32 s28, -1, 0
	s_lshl_b64 s[16:17], s[34:35], 4
	s_and_b32 s29, vcc_lo, s20
	v_add_co_u32 v0, s3, s16, v13
	s_wait_alu 0xf1ff
	v_add_co_ci_u32_e64 v3, null, s17, 0, s3
	s_lshl_b64 s[16:17], s[10:11], 4
	s_lshl_b64 s[10:11], s[14:15], 4
	v_mul_lo_u32 v6, v0, s31
	v_mul_lo_u32 v7, v3, s30
	v_mad_co_u64_u32 v[3:4], null, v0, s30, s[10:11]
	s_wait_alu 0xfffe
	v_add_co_u32 v0, s3, s16, v13
	s_wait_alu 0xf1ff
	v_add_co_ci_u32_e64 v15, null, s17, 0, s3
	s_lshl_b32 s3, s25, 4
	v_or_b32_e32 v16, 8, v0
	v_add3_u32 v17, v7, v4, v6
	v_or_b32_e32 v18, 8, v3
	s_or_b32 s30, 0, 8
	s_lshl_b64 s[14:15], s[22:23], 4
	s_wait_alu 0xfffe
	s_add_co_i32 s22, s3, -16
	s_lshl_b64 s[16:17], s[18:19], 4
	s_branch .LBB231_3
.LBB231_2:                              ;   in Loop: Header=BB231_3 Depth=1
	s_wait_alu 0xfffe
	s_or_b32 exec_lo, exec_lo, s3
	s_add_co_i32 s2, s2, 0x10000
	s_wait_alu 0xfffe
	s_cmp_lt_u32 s2, s24
	s_cbranch_scc0 .LBB231_62
.LBB231_3:                              ; =>This Loop Header: Depth=1
                                        ;     Child Loop BB231_5 Depth 2
                                        ;     Child Loop BB231_16 Depth 2
	;; [unrolled: 1-line block ×3, first 2 shown]
                                        ;       Child Loop BB231_23 Depth 3
                                        ;         Child Loop BB231_24 Depth 4
                                        ;         Child Loop BB231_26 Depth 4
                                        ;           Child Loop BB231_27 Depth 5
                                        ;         Child Loop BB231_31 Depth 4
                                        ;           Child Loop BB231_33 Depth 5
                                        ;     Child Loop BB231_41 Depth 2
                                        ;       Child Loop BB231_44 Depth 3
                                        ;         Child Loop BB231_45 Depth 4
                                        ;         Child Loop BB231_48 Depth 4
                                        ;           Child Loop BB231_49 Depth 5
                                        ;         Child Loop BB231_53 Depth 4
                                        ;           Child Loop BB231_55 Depth 5
                                        ;     Child Loop BB231_61 Depth 2
	s_mov_b32 s3, s21
	s_wait_alu 0xfffe
	s_lshl_b64 s[18:19], s[2:3], 3
	s_delay_alu instid0(SALU_CYCLE_1)
	s_add_nc_u64 s[34:35], s[12:13], s[18:19]
	global_load_b64 v[11:12], v14, s[34:35]
	s_and_saveexec_b32 s3, s1
	s_cbranch_execz .LBB231_14
; %bb.4:                                ;   in Loop: Header=BB231_3 Depth=1
	s_add_nc_u64 s[18:19], s[8:9], s[18:19]
	v_mov_b32_e32 v2, v13
	global_load_b64 v[0:1], v14, s[18:19]
	s_mov_b32 s18, s25
	s_wait_loadcnt 0x0
	v_add_co_u32 v0, vcc_lo, v0, v16
	s_wait_alu 0xfffd
	v_add_co_ci_u32_e64 v1, null, v1, v15, vcc_lo
.LBB231_5:                              ;   Parent Loop BB231_3 Depth=1
                                        ; =>  This Inner Loop Header: Depth=2
	flat_load_b128 v[3:6], v[0:1] offset:-8
	v_add_co_u32 v0, vcc_lo, v0, s14
	s_wait_alu 0xfffd
	v_add_co_ci_u32_e64 v1, null, s15, v1, vcc_lo
	s_add_co_i32 s18, s18, -1
	s_delay_alu instid0(SALU_CYCLE_1) | instskip(SKIP_2) | instid1(VALU_DEP_1)
	s_cmp_eq_u32 s18, 0
	s_wait_loadcnt_dscnt 0x0
	v_xor_b32_e32 v7, 0x80000000, v6
	v_cndmask_b32_e64 v6, v6, v7, s0
	ds_store_b128 v2, v[3:6]
	v_add_nc_u32_e32 v2, 0x1c0, v2
	s_cbranch_scc0 .LBB231_5
; %bb.6:                                ;   in Loop: Header=BB231_3 Depth=1
	s_and_b32 vcc_lo, exec_lo, s27
	s_wait_alu 0xfffe
	s_cbranch_vccz .LBB231_12
; %bb.7:                                ;   in Loop: Header=BB231_3 Depth=1
	ds_load_b128 v[0:3], v19
                                        ; implicit-def: $vgpr6_vgpr7
	s_wait_dscnt 0x0
	v_cmp_ngt_f64_e64 s18, |v[0:1]|, |v[2:3]|
	s_and_saveexec_b32 s19, s18
	s_delay_alu instid0(SALU_CYCLE_1)
	s_xor_b32 s18, exec_lo, s19
	s_cbranch_execz .LBB231_9
; %bb.8:                                ;   in Loop: Header=BB231_3 Depth=1
	v_div_scale_f64 v[4:5], null, v[2:3], v[2:3], v[0:1]
	v_div_scale_f64 v[22:23], vcc_lo, v[0:1], v[2:3], v[0:1]
	s_delay_alu instid0(VALU_DEP_2) | instskip(NEXT) | instid1(TRANS32_DEP_1)
	v_rcp_f64_e32 v[6:7], v[4:5]
	v_fma_f64 v[20:21], -v[4:5], v[6:7], 1.0
	s_delay_alu instid0(VALU_DEP_1) | instskip(NEXT) | instid1(VALU_DEP_1)
	v_fma_f64 v[6:7], v[6:7], v[20:21], v[6:7]
	v_fma_f64 v[20:21], -v[4:5], v[6:7], 1.0
	s_delay_alu instid0(VALU_DEP_1) | instskip(NEXT) | instid1(VALU_DEP_1)
	v_fma_f64 v[6:7], v[6:7], v[20:21], v[6:7]
	v_mul_f64_e32 v[20:21], v[22:23], v[6:7]
	s_delay_alu instid0(VALU_DEP_1) | instskip(SKIP_1) | instid1(VALU_DEP_1)
	v_fma_f64 v[4:5], -v[4:5], v[20:21], v[22:23]
	s_wait_alu 0xfffd
	v_div_fmas_f64 v[4:5], v[4:5], v[6:7], v[20:21]
	s_delay_alu instid0(VALU_DEP_1) | instskip(NEXT) | instid1(VALU_DEP_1)
	v_div_fixup_f64 v[4:5], v[4:5], v[2:3], v[0:1]
	v_fma_f64 v[0:1], v[0:1], v[4:5], v[2:3]
	s_delay_alu instid0(VALU_DEP_1) | instskip(SKIP_1) | instid1(VALU_DEP_2)
	v_div_scale_f64 v[2:3], null, v[0:1], v[0:1], 1.0
	v_div_scale_f64 v[22:23], vcc_lo, 1.0, v[0:1], 1.0
	v_rcp_f64_e32 v[6:7], v[2:3]
	s_delay_alu instid0(TRANS32_DEP_1) | instskip(NEXT) | instid1(VALU_DEP_1)
	v_fma_f64 v[20:21], -v[2:3], v[6:7], 1.0
	v_fma_f64 v[6:7], v[6:7], v[20:21], v[6:7]
	s_delay_alu instid0(VALU_DEP_1) | instskip(NEXT) | instid1(VALU_DEP_1)
	v_fma_f64 v[20:21], -v[2:3], v[6:7], 1.0
	v_fma_f64 v[6:7], v[6:7], v[20:21], v[6:7]
	s_delay_alu instid0(VALU_DEP_1) | instskip(NEXT) | instid1(VALU_DEP_1)
	v_mul_f64_e32 v[20:21], v[22:23], v[6:7]
	v_fma_f64 v[2:3], -v[2:3], v[20:21], v[22:23]
	s_wait_alu 0xfffd
	s_delay_alu instid0(VALU_DEP_1) | instskip(SKIP_1) | instid1(VALU_DEP_2)
	v_div_fmas_f64 v[2:3], v[2:3], v[6:7], v[20:21]
	v_add_f64_e32 v[6:7], 0, v[4:5]
	v_div_fixup_f64 v[0:1], v[2:3], v[0:1], 1.0
	v_fma_f64 v[2:3], v[4:5], 0, -1.0
	s_delay_alu instid0(VALU_DEP_2) | instskip(NEXT) | instid1(VALU_DEP_2)
	v_mul_f64_e32 v[4:5], v[6:7], v[0:1]
	v_mul_f64_e32 v[6:7], v[2:3], v[0:1]
                                        ; implicit-def: $vgpr0_vgpr1
.LBB231_9:                              ;   in Loop: Header=BB231_3 Depth=1
	s_and_not1_saveexec_b32 s18, s18
	s_cbranch_execz .LBB231_11
; %bb.10:                               ;   in Loop: Header=BB231_3 Depth=1
	v_div_scale_f64 v[4:5], null, v[0:1], v[0:1], v[2:3]
	v_div_scale_f64 v[22:23], vcc_lo, v[2:3], v[0:1], v[2:3]
	s_delay_alu instid0(VALU_DEP_2) | instskip(NEXT) | instid1(TRANS32_DEP_1)
	v_rcp_f64_e32 v[6:7], v[4:5]
	v_fma_f64 v[20:21], -v[4:5], v[6:7], 1.0
	s_delay_alu instid0(VALU_DEP_1) | instskip(NEXT) | instid1(VALU_DEP_1)
	v_fma_f64 v[6:7], v[6:7], v[20:21], v[6:7]
	v_fma_f64 v[20:21], -v[4:5], v[6:7], 1.0
	s_delay_alu instid0(VALU_DEP_1) | instskip(NEXT) | instid1(VALU_DEP_1)
	v_fma_f64 v[6:7], v[6:7], v[20:21], v[6:7]
	v_mul_f64_e32 v[20:21], v[22:23], v[6:7]
	s_delay_alu instid0(VALU_DEP_1) | instskip(SKIP_1) | instid1(VALU_DEP_1)
	v_fma_f64 v[4:5], -v[4:5], v[20:21], v[22:23]
	s_wait_alu 0xfffd
	v_div_fmas_f64 v[4:5], v[4:5], v[6:7], v[20:21]
	s_delay_alu instid0(VALU_DEP_1) | instskip(NEXT) | instid1(VALU_DEP_1)
	v_div_fixup_f64 v[4:5], v[4:5], v[0:1], v[2:3]
	v_fma_f64 v[0:1], v[2:3], v[4:5], v[0:1]
	s_delay_alu instid0(VALU_DEP_1) | instskip(SKIP_1) | instid1(VALU_DEP_2)
	v_div_scale_f64 v[2:3], null, v[0:1], v[0:1], 1.0
	v_div_scale_f64 v[22:23], vcc_lo, 1.0, v[0:1], 1.0
	v_rcp_f64_e32 v[6:7], v[2:3]
	s_delay_alu instid0(TRANS32_DEP_1) | instskip(NEXT) | instid1(VALU_DEP_1)
	v_fma_f64 v[20:21], -v[2:3], v[6:7], 1.0
	v_fma_f64 v[6:7], v[6:7], v[20:21], v[6:7]
	s_delay_alu instid0(VALU_DEP_1) | instskip(NEXT) | instid1(VALU_DEP_1)
	v_fma_f64 v[20:21], -v[2:3], v[6:7], 1.0
	v_fma_f64 v[6:7], v[6:7], v[20:21], v[6:7]
	s_delay_alu instid0(VALU_DEP_1) | instskip(NEXT) | instid1(VALU_DEP_1)
	v_mul_f64_e32 v[20:21], v[22:23], v[6:7]
	v_fma_f64 v[2:3], -v[2:3], v[20:21], v[22:23]
	s_wait_alu 0xfffd
	s_delay_alu instid0(VALU_DEP_1) | instskip(SKIP_1) | instid1(VALU_DEP_2)
	v_div_fmas_f64 v[2:3], v[2:3], v[6:7], v[20:21]
	v_fma_f64 v[6:7], v[4:5], 0, 1.0
	v_div_fixup_f64 v[0:1], v[2:3], v[0:1], 1.0
	v_add_f64_e64 v[2:3], -v[4:5], 0
	s_delay_alu instid0(VALU_DEP_2) | instskip(NEXT) | instid1(VALU_DEP_2)
	v_mul_f64_e32 v[4:5], v[6:7], v[0:1]
	v_mul_f64_e32 v[6:7], v[2:3], v[0:1]
.LBB231_11:                             ;   in Loop: Header=BB231_3 Depth=1
	s_or_b32 exec_lo, exec_lo, s18
	s_branch .LBB231_13
.LBB231_12:                             ;   in Loop: Header=BB231_3 Depth=1
	v_mov_b32_e32 v6, 0
	v_dual_mov_b32 v7, 0 :: v_dual_mov_b32 v4, 0
	v_mov_b32_e32 v5, 0x3ff00000
.LBB231_13:                             ;   in Loop: Header=BB231_3 Depth=1
	ds_store_b128 v19, v[4:7]
.LBB231_14:                             ;   in Loop: Header=BB231_3 Depth=1
	s_wait_alu 0xfffe
	s_or_b32 exec_lo, exec_lo, s3
	s_and_saveexec_b32 s3, s29
	s_cbranch_execz .LBB231_17
; %bb.15:                               ;   in Loop: Header=BB231_3 Depth=1
	s_wait_loadcnt 0x0
	v_add_co_u32 v0, vcc_lo, v11, v18
	s_wait_alu 0xfffd
	v_add_co_ci_u32_e64 v1, null, v12, v17, vcc_lo
	v_mov_b32_e32 v2, v8
	s_mov_b32 s18, s25
.LBB231_16:                             ;   Parent Loop BB231_3 Depth=1
                                        ; =>  This Inner Loop Header: Depth=2
	flat_load_b128 v[3:6], v[0:1] offset:-8
	v_add_co_u32 v0, vcc_lo, v0, 16
	s_wait_alu 0xfffd
	v_add_co_ci_u32_e64 v1, null, 0, v1, vcc_lo
	s_add_co_i32 s18, s18, -1
	s_delay_alu instid0(SALU_CYCLE_1) | instskip(SKIP_3) | instid1(VALU_DEP_2)
	s_cmp_lg_u32 s18, 0
	s_wait_loadcnt_dscnt 0x0
	v_mul_f64_e32 v[20:21], s[6:7], v[5:6]
	v_mul_f64_e32 v[5:6], s[4:5], v[5:6]
	v_fma_f64 v[20:21], s[4:5], v[3:4], -v[20:21]
	s_delay_alu instid0(VALU_DEP_2)
	v_fma_f64 v[22:23], s[6:7], v[3:4], v[5:6]
	ds_store_b128 v2, v[20:23]
	v_add_nc_u32_e32 v2, 0x1c0, v2
	s_cbranch_scc1 .LBB231_16
.LBB231_17:                             ;   in Loop: Header=BB231_3 Depth=1
	s_wait_alu 0xfffe
	s_or_b32 exec_lo, exec_lo, s3
	s_delay_alu instid0(SALU_CYCLE_1)
	s_and_not1_b32 vcc_lo, exec_lo, s28
	s_mov_b32 s3, -1
	; wave barrier
	s_wait_loadcnt_dscnt 0x0
	global_inv scope:SCOPE_SE
	s_wait_alu 0xfffe
	s_cbranch_vccnz .LBB231_38
; %bb.18:                               ;   in Loop: Header=BB231_3 Depth=1
	s_mov_b32 s20, 0
	s_mov_b32 s3, s26
	s_branch .LBB231_20
.LBB231_19:                             ;   in Loop: Header=BB231_20 Depth=2
	s_cmp_gt_i32 s3, -1
	s_cselect_b32 s18, -1, 0
	s_add_co_i32 s19, s20, 1
	s_cmp_lt_u32 s20, 2
	s_cselect_b32 s20, -1, 0
	s_delay_alu instid0(SALU_CYCLE_1)
	s_and_b32 s18, s18, s20
	s_mov_b32 s20, s19
	s_and_b32 vcc_lo, exec_lo, s18
	s_wait_alu 0xfffe
	s_cbranch_vccz .LBB231_37
.LBB231_20:                             ;   Parent Loop BB231_3 Depth=1
                                        ; =>  This Loop Header: Depth=2
                                        ;       Child Loop BB231_23 Depth 3
                                        ;         Child Loop BB231_24 Depth 4
                                        ;         Child Loop BB231_26 Depth 4
                                        ;           Child Loop BB231_27 Depth 5
                                        ;         Child Loop BB231_31 Depth 4
                                        ;           Child Loop BB231_33 Depth 5
	s_getpc_b64 s[18:19]
	s_sext_i32_i16 s19, s19
	s_add_co_u32 s18, s18, __const._ZL38rocblas_trsm_small_left_device_sharedBILi28ELi28ELb1E19rocblas_complex_numIdES1_PKPKS1_PKPS1_Ev13rocblas_fill_18rocblas_operation_17rocblas_diagonal_iiT3_T4_lilT5_lili.step_sizes@rel32@lo+8
	s_add_co_ci_u32 s19, s19, __const._ZL38rocblas_trsm_small_left_device_sharedBILi28ELi28ELb1E19rocblas_complex_numIdES1_PKPKS1_PKPS1_Ev13rocblas_fill_18rocblas_operation_17rocblas_diagonal_iiT3_T4_lilT5_lili.step_sizes@rel32@hi+16
	s_lshl_b64 s[34:35], s[20:21], 2
	s_delay_alu instid0(SALU_CYCLE_1) | instskip(SKIP_3) | instid1(SALU_CYCLE_1)
	s_add_nc_u64 s[18:19], s[18:19], s[34:35]
	s_load_b32 s18, s[18:19], 0x0
	s_wait_kmcnt 0x0
	s_add_co_i32 s19, s18, -1
	s_cmp_lt_i32 s3, s19
	s_cbranch_scc1 .LBB231_19
; %bb.21:                               ;   in Loop: Header=BB231_20 Depth=2
	s_mul_i32 s33, s3, 0x1c0
	s_max_i32 s23, s18, 1
	s_wait_alu 0xfffe
	v_add_nc_u32_e32 v4, s33, v8
	s_mul_i32 s31, s18, 0xfffffe40
	s_add_co_i32 s33, s22, s33
	s_mul_i32 s34, s3, 0x1d0
	s_mul_i32 s35, s18, 0xfffffe30
	s_branch .LBB231_23
.LBB231_22:                             ;   in Loop: Header=BB231_23 Depth=3
	v_add_nc_u32_e32 v4, s31, v4
	s_sub_co_i32 s3, s3, s18
	s_add_co_i32 s33, s33, s31
	s_add_co_i32 s34, s34, s35
	s_wait_alu 0xfffe
	s_cmp_lt_i32 s3, s19
	s_cbranch_scc1 .LBB231_19
.LBB231_23:                             ;   Parent Loop BB231_3 Depth=1
                                        ;     Parent Loop BB231_20 Depth=2
                                        ; =>    This Loop Header: Depth=3
                                        ;         Child Loop BB231_24 Depth 4
                                        ;         Child Loop BB231_26 Depth 4
                                        ;           Child Loop BB231_27 Depth 5
                                        ;         Child Loop BB231_31 Depth 4
                                        ;           Child Loop BB231_33 Depth 5
	v_mov_b32_e32 v0, v4
	s_mov_b32 s36, 0
	s_mov_b32 s37, s23
.LBB231_24:                             ;   Parent Loop BB231_3 Depth=1
                                        ;     Parent Loop BB231_20 Depth=2
                                        ;       Parent Loop BB231_23 Depth=3
                                        ; =>      This Inner Loop Header: Depth=4
	ds_load_b128 v[20:23], v0
	v_add_nc_u32_e32 v0, 0xfffffe40, v0
	s_wait_alu 0xfffe
	s_add_co_i32 s37, s37, -1
	s_wait_dscnt 0x0
	scratch_store_b128 off, v[20:23], s36
	s_add_co_i32 s36, s36, 16
	s_wait_alu 0xfffe
	s_cmp_eq_u32 s37, 0
	s_cbranch_scc0 .LBB231_24
; %bb.25:                               ;   in Loop: Header=BB231_23 Depth=3
	s_cmp_le_i32 s26, s3
	s_mov_b32 s36, s33
	s_mov_b32 s37, s26
	s_cbranch_scc1 .LBB231_29
.LBB231_26:                             ;   Parent Loop BB231_3 Depth=1
                                        ;     Parent Loop BB231_20 Depth=2
                                        ;       Parent Loop BB231_23 Depth=3
                                        ; =>      This Loop Header: Depth=4
                                        ;           Child Loop BB231_27 Depth 5
	s_wait_alu 0xfffe
	v_mad_co_u64_u32 v[0:1], null, 0x1c0, s37, v[8:9]
	s_mov_b32 s38, s30
	s_mov_b32 s39, s36
	s_mov_b32 s40, s23
	ds_load_b128 v[0:3], v0
.LBB231_27:                             ;   Parent Loop BB231_3 Depth=1
                                        ;     Parent Loop BB231_20 Depth=2
                                        ;       Parent Loop BB231_23 Depth=3
                                        ;         Parent Loop BB231_26 Depth=4
                                        ; =>        This Inner Loop Header: Depth=5
	scratch_load_b128 v[20:23], off, s38 offset:-8
	s_wait_alu 0xfffe
	v_mov_b32_e32 v5, s39
	s_add_co_i32 s40, s40, -1
	s_addk_co_i32 s39, 0xfe40
	ds_load_b128 v[24:27], v5
	s_wait_dscnt 0x0
	v_mul_f64_e32 v[5:6], v[2:3], v[26:27]
	v_mul_f64_e32 v[26:27], v[0:1], v[26:27]
	s_delay_alu instid0(VALU_DEP_2) | instskip(NEXT) | instid1(VALU_DEP_2)
	v_fma_f64 v[5:6], v[0:1], v[24:25], -v[5:6]
	v_fma_f64 v[24:25], v[2:3], v[24:25], v[26:27]
	s_wait_loadcnt 0x0
	s_delay_alu instid0(VALU_DEP_2) | instskip(NEXT) | instid1(VALU_DEP_2)
	v_add_f64_e64 v[20:21], v[20:21], -v[5:6]
	v_add_f64_e64 v[22:23], v[22:23], -v[24:25]
	scratch_store_b128 off, v[20:23], s38 offset:-8
	s_add_co_i32 s38, s38, 16
	s_wait_alu 0xfffe
	s_cmp_eq_u32 s40, 0
	s_cbranch_scc0 .LBB231_27
; %bb.28:                               ;   in Loop: Header=BB231_26 Depth=4
	s_add_co_i32 s37, s37, -1
	s_add_co_i32 s36, s36, -16
	s_wait_alu 0xfffe
	s_cmp_le_i32 s37, s3
	s_cbranch_scc0 .LBB231_26
.LBB231_29:                             ;   in Loop: Header=BB231_23 Depth=3
	s_mul_i32 s36, s3, 0x1c0
	s_mov_b32 s37, 0
	s_mov_b32 s38, s34
	s_branch .LBB231_31
.LBB231_30:                             ;   in Loop: Header=BB231_31 Depth=4
	s_wait_alu 0xfffe
	s_mulk_i32 s40, 0x1d0
	s_addk_co_i32 s38, 0xfe40
	s_wait_alu 0xfffe
	v_mov_b32_e32 v5, s40
	s_lshl_b32 s40, s37, 4
	s_add_co_i32 s37, s37, 1
	s_wait_alu 0xfffe
	s_cmp_eq_u32 s37, s23
	ds_load_b128 v[20:23], v5
	s_wait_loadcnt_dscnt 0x0
	v_mul_f64_e32 v[5:6], v[22:23], v[2:3]
	v_mul_f64_e32 v[2:3], v[20:21], v[2:3]
	s_delay_alu instid0(VALU_DEP_2) | instskip(NEXT) | instid1(VALU_DEP_2)
	v_fma_f64 v[20:21], v[20:21], v[0:1], -v[5:6]
	v_fma_f64 v[22:23], v[22:23], v[0:1], v[2:3]
	v_add_nc_u32_e32 v0, s39, v8
	scratch_store_b128 off, v[20:23], s40
	ds_store_b128 v0, v[20:23]
	s_cbranch_scc1 .LBB231_22
.LBB231_31:                             ;   Parent Loop BB231_3 Depth=1
                                        ;     Parent Loop BB231_20 Depth=2
                                        ;       Parent Loop BB231_23 Depth=3
                                        ; =>      This Loop Header: Depth=4
                                        ;           Child Loop BB231_33 Depth 5
	s_wait_alu 0xfffe
	s_cmp_lg_u32 s37, 0
	s_cbranch_scc0 .LBB231_35
; %bb.32:                               ;   in Loop: Header=BB231_31 Depth=4
	s_lshl_b32 s41, s37, 4
	s_sub_co_i32 s40, s3, s37
	scratch_load_b128 v[0:3], off, s41
	s_wait_alu 0xfffe
	s_mul_i32 s39, s40, 0x1c0
	s_mov_b32 s42, s30
	s_mov_b32 s43, s38
	;; [unrolled: 1-line block ×3, first 2 shown]
.LBB231_33:                             ;   Parent Loop BB231_3 Depth=1
                                        ;     Parent Loop BB231_20 Depth=2
                                        ;       Parent Loop BB231_23 Depth=3
                                        ;         Parent Loop BB231_31 Depth=4
                                        ; =>        This Inner Loop Header: Depth=5
	scratch_load_b128 v[20:23], off, s42 offset:-8
	s_wait_alu 0xfffe
	v_mov_b32_e32 v5, s43
	s_add_co_i32 s44, s44, -1
	s_add_co_i32 s43, s43, -16
	s_add_co_i32 s42, s42, 16
	s_cmp_eq_u32 s44, 0
	ds_load_b128 v[24:27], v5
	s_wait_loadcnt_dscnt 0x0
	v_mul_f64_e32 v[5:6], v[26:27], v[22:23]
	v_mul_f64_e32 v[22:23], v[24:25], v[22:23]
	s_delay_alu instid0(VALU_DEP_2) | instskip(NEXT) | instid1(VALU_DEP_2)
	v_fma_f64 v[5:6], v[24:25], v[20:21], -v[5:6]
	v_fma_f64 v[20:21], v[26:27], v[20:21], v[22:23]
	s_delay_alu instid0(VALU_DEP_2) | instskip(NEXT) | instid1(VALU_DEP_2)
	v_add_f64_e64 v[0:1], v[0:1], -v[5:6]
	v_add_f64_e64 v[2:3], v[2:3], -v[20:21]
	scratch_store_b128 off, v[0:3], s41
	s_cbranch_scc0 .LBB231_33
; %bb.34:                               ;   in Loop: Header=BB231_31 Depth=4
	s_branch .LBB231_30
.LBB231_35:                             ;   in Loop: Header=BB231_31 Depth=4
                                        ; implicit-def: $vgpr0_vgpr1
                                        ; implicit-def: $sgpr40
                                        ; implicit-def: $sgpr39
	s_cbranch_execz .LBB231_30
; %bb.36:                               ;   in Loop: Header=BB231_31 Depth=4
	scratch_load_b128 v[0:3], off, off
	s_mov_b32 s39, s36
	s_mov_b32 s40, s3
	s_branch .LBB231_30
.LBB231_37:                             ;   in Loop: Header=BB231_3 Depth=1
	s_mov_b32 s3, 0
.LBB231_38:                             ;   in Loop: Header=BB231_3 Depth=1
	s_wait_alu 0xfffe
	s_and_b32 vcc_lo, exec_lo, s3
	s_wait_alu 0xfffe
	s_cbranch_vccz .LBB231_59
; %bb.39:                               ;   in Loop: Header=BB231_3 Depth=1
	s_mov_b32 s20, 0
	s_delay_alu instid0(SALU_CYCLE_1)
	s_mov_b32 s3, s20
	s_branch .LBB231_41
.LBB231_40:                             ;   in Loop: Header=BB231_41 Depth=2
	s_cmp_lt_i32 s3, s25
	s_cselect_b32 s18, -1, 0
	s_add_co_i32 s19, s20, 1
	s_cmp_lt_u32 s20, 2
	s_cselect_b32 s20, -1, 0
	s_delay_alu instid0(SALU_CYCLE_1)
	s_and_b32 s18, s18, s20
	s_mov_b32 s20, s19
	s_and_not1_b32 vcc_lo, exec_lo, s18
	s_wait_alu 0xfffe
	s_cbranch_vccnz .LBB231_59
.LBB231_41:                             ;   Parent Loop BB231_3 Depth=1
                                        ; =>  This Loop Header: Depth=2
                                        ;       Child Loop BB231_44 Depth 3
                                        ;         Child Loop BB231_45 Depth 4
                                        ;         Child Loop BB231_48 Depth 4
                                        ;           Child Loop BB231_49 Depth 5
                                        ;         Child Loop BB231_53 Depth 4
                                        ;           Child Loop BB231_55 Depth 5
	s_getpc_b64 s[18:19]
	s_sext_i32_i16 s19, s19
	s_add_co_u32 s18, s18, __const._ZL38rocblas_trsm_small_left_device_sharedBILi28ELi28ELb1E19rocblas_complex_numIdES1_PKPKS1_PKPS1_Ev13rocblas_fill_18rocblas_operation_17rocblas_diagonal_iiT3_T4_lilT5_lili.step_sizes@rel32@lo+8
	s_add_co_ci_u32 s19, s19, __const._ZL38rocblas_trsm_small_left_device_sharedBILi28ELi28ELb1E19rocblas_complex_numIdES1_PKPKS1_PKPS1_Ev13rocblas_fill_18rocblas_operation_17rocblas_diagonal_iiT3_T4_lilT5_lili.step_sizes@rel32@hi+16
	s_lshl_b64 s[34:35], s[20:21], 2
	s_delay_alu instid0(SALU_CYCLE_1) | instskip(SKIP_3) | instid1(SALU_CYCLE_1)
	s_add_nc_u64 s[18:19], s[18:19], s[34:35]
	s_load_b32 s18, s[18:19], 0x0
	s_wait_kmcnt 0x0
	s_add_co_i32 s19, s18, -1
	s_add_co_i32 s23, s19, s3
	s_delay_alu instid0(SALU_CYCLE_1)
	s_cmp_ge_i32 s23, s25
	s_cbranch_scc1 .LBB231_40
; %bb.42:                               ;   in Loop: Header=BB231_41 Depth=2
	v_mad_co_u64_u32 v[4:5], null, 0x1c0, s3, v[8:9]
	s_max_i32 s23, s18, 1
	s_mul_i32 s31, s18, 0x1c0
	s_lshl_b32 s33, s3, 4
	s_lshl_b32 s34, s18, 4
	s_mul_i32 s35, s3, 0x1d0
	s_mul_i32 s36, s18, 0x1d0
	s_branch .LBB231_44
.LBB231_43:                             ;   in Loop: Header=BB231_44 Depth=3
	s_add_co_i32 s3, s3, s18
	v_add_nc_u32_e32 v4, s31, v4
	s_wait_alu 0xfffe
	s_add_co_i32 s37, s19, s3
	s_add_co_i32 s33, s33, s34
	;; [unrolled: 1-line block ×3, first 2 shown]
	s_wait_alu 0xfffe
	s_cmp_ge_i32 s37, s25
	s_cbranch_scc1 .LBB231_40
.LBB231_44:                             ;   Parent Loop BB231_3 Depth=1
                                        ;     Parent Loop BB231_41 Depth=2
                                        ; =>    This Loop Header: Depth=3
                                        ;         Child Loop BB231_45 Depth 4
                                        ;         Child Loop BB231_48 Depth 4
                                        ;           Child Loop BB231_49 Depth 5
                                        ;         Child Loop BB231_53 Depth 4
                                        ;           Child Loop BB231_55 Depth 5
	v_mov_b32_e32 v0, v4
	s_mov_b32 s37, 0
	s_mov_b32 s38, s23
.LBB231_45:                             ;   Parent Loop BB231_3 Depth=1
                                        ;     Parent Loop BB231_41 Depth=2
                                        ;       Parent Loop BB231_44 Depth=3
                                        ; =>      This Inner Loop Header: Depth=4
	ds_load_b128 v[20:23], v0
	v_add_nc_u32_e32 v0, 0x1c0, v0
	s_wait_alu 0xfffe
	s_add_co_i32 s38, s38, -1
	s_wait_dscnt 0x0
	scratch_store_b128 off, v[20:23], s37
	s_add_co_i32 s37, s37, 16
	s_wait_alu 0xfffe
	s_cmp_eq_u32 s38, 0
	s_cbranch_scc0 .LBB231_45
; %bb.46:                               ;   in Loop: Header=BB231_44 Depth=3
	s_cmp_lt_i32 s3, 1
	s_cbranch_scc1 .LBB231_51
; %bb.47:                               ;   in Loop: Header=BB231_44 Depth=3
	s_mov_b32 s37, 0
	s_mov_b32 s38, s33
.LBB231_48:                             ;   Parent Loop BB231_3 Depth=1
                                        ;     Parent Loop BB231_41 Depth=2
                                        ;       Parent Loop BB231_44 Depth=3
                                        ; =>      This Loop Header: Depth=4
                                        ;           Child Loop BB231_49 Depth 5
	s_wait_alu 0xfffe
	v_mad_co_u64_u32 v[0:1], null, 0x1c0, s37, v[8:9]
	s_mov_b32 s39, s30
	s_mov_b32 s40, s38
	;; [unrolled: 1-line block ×3, first 2 shown]
	ds_load_b128 v[0:3], v0
.LBB231_49:                             ;   Parent Loop BB231_3 Depth=1
                                        ;     Parent Loop BB231_41 Depth=2
                                        ;       Parent Loop BB231_44 Depth=3
                                        ;         Parent Loop BB231_48 Depth=4
                                        ; =>        This Inner Loop Header: Depth=5
	scratch_load_b128 v[20:23], off, s39 offset:-8
	s_wait_alu 0xfffe
	v_mov_b32_e32 v5, s40
	s_add_co_i32 s41, s41, -1
	s_add_co_i32 s40, s40, 16
	ds_load_b128 v[24:27], v5
	s_wait_dscnt 0x0
	v_mul_f64_e32 v[5:6], v[2:3], v[26:27]
	v_mul_f64_e32 v[26:27], v[0:1], v[26:27]
	s_delay_alu instid0(VALU_DEP_2) | instskip(NEXT) | instid1(VALU_DEP_2)
	v_fma_f64 v[5:6], v[0:1], v[24:25], -v[5:6]
	v_fma_f64 v[24:25], v[2:3], v[24:25], v[26:27]
	s_wait_loadcnt 0x0
	s_delay_alu instid0(VALU_DEP_2) | instskip(NEXT) | instid1(VALU_DEP_2)
	v_add_f64_e64 v[20:21], v[20:21], -v[5:6]
	v_add_f64_e64 v[22:23], v[22:23], -v[24:25]
	scratch_store_b128 off, v[20:23], s39 offset:-8
	s_add_co_i32 s39, s39, 16
	s_wait_alu 0xfffe
	s_cmp_eq_u32 s41, 0
	s_cbranch_scc0 .LBB231_49
; %bb.50:                               ;   in Loop: Header=BB231_48 Depth=4
	s_add_co_i32 s37, s37, 1
	s_addk_co_i32 s38, 0x1c0
	s_wait_alu 0xfffe
	s_cmp_eq_u32 s37, s3
	s_cbranch_scc0 .LBB231_48
.LBB231_51:                             ;   in Loop: Header=BB231_44 Depth=3
	s_mov_b32 s37, 0
	s_mov_b32 s38, s35
	s_branch .LBB231_53
.LBB231_52:                             ;   in Loop: Header=BB231_53 Depth=4
	s_add_co_i32 s39, s37, s3
	s_add_co_i32 s38, s38, 16
	s_wait_alu 0xfffe
	s_mul_i32 s40, s39, 0x1d0
	s_wait_alu 0xfffe
	v_mov_b32_e32 v5, s40
	ds_load_b128 v[20:23], v5
	s_wait_loadcnt_dscnt 0x0
	v_mul_f64_e32 v[5:6], v[22:23], v[2:3]
	v_mul_f64_e32 v[2:3], v[20:21], v[2:3]
	s_delay_alu instid0(VALU_DEP_2) | instskip(NEXT) | instid1(VALU_DEP_2)
	v_fma_f64 v[20:21], v[20:21], v[0:1], -v[5:6]
	v_fma_f64 v[22:23], v[22:23], v[0:1], v[2:3]
	v_mad_co_u64_u32 v[0:1], null, 0x1c0, s39, v[8:9]
	s_lshl_b32 s39, s37, 4
	s_add_co_i32 s37, s37, 1
	s_wait_alu 0xfffe
	s_cmp_eq_u32 s37, s23
	scratch_store_b128 off, v[20:23], s39
	ds_store_b128 v0, v[20:23]
	s_cbranch_scc1 .LBB231_43
.LBB231_53:                             ;   Parent Loop BB231_3 Depth=1
                                        ;     Parent Loop BB231_41 Depth=2
                                        ;       Parent Loop BB231_44 Depth=3
                                        ; =>      This Loop Header: Depth=4
                                        ;           Child Loop BB231_55 Depth 5
	s_wait_alu 0xfffe
	s_cmp_lg_u32 s37, 0
	s_cbranch_scc0 .LBB231_57
; %bb.54:                               ;   in Loop: Header=BB231_53 Depth=4
	s_lshl_b32 s39, s37, 4
	s_mov_b32 s40, s30
	scratch_load_b128 v[0:3], off, s39
	s_mov_b32 s41, s38
	s_mov_b32 s42, s37
.LBB231_55:                             ;   Parent Loop BB231_3 Depth=1
                                        ;     Parent Loop BB231_41 Depth=2
                                        ;       Parent Loop BB231_44 Depth=3
                                        ;         Parent Loop BB231_53 Depth=4
                                        ; =>        This Inner Loop Header: Depth=5
	scratch_load_b128 v[20:23], off, s40 offset:-8
	s_wait_alu 0xfffe
	v_mov_b32_e32 v5, s41
	s_add_co_i32 s42, s42, -1
	s_addk_co_i32 s41, 0x1c0
	s_add_co_i32 s40, s40, 16
	s_wait_alu 0xfffe
	s_cmp_eq_u32 s42, 0
	ds_load_b128 v[24:27], v5
	s_wait_loadcnt_dscnt 0x0
	v_mul_f64_e32 v[5:6], v[26:27], v[22:23]
	v_mul_f64_e32 v[22:23], v[24:25], v[22:23]
	s_delay_alu instid0(VALU_DEP_2) | instskip(NEXT) | instid1(VALU_DEP_2)
	v_fma_f64 v[5:6], v[24:25], v[20:21], -v[5:6]
	v_fma_f64 v[20:21], v[26:27], v[20:21], v[22:23]
	s_delay_alu instid0(VALU_DEP_2) | instskip(NEXT) | instid1(VALU_DEP_2)
	v_add_f64_e64 v[0:1], v[0:1], -v[5:6]
	v_add_f64_e64 v[2:3], v[2:3], -v[20:21]
	scratch_store_b128 off, v[0:3], s39
	s_cbranch_scc0 .LBB231_55
; %bb.56:                               ;   in Loop: Header=BB231_53 Depth=4
	s_branch .LBB231_52
.LBB231_57:                             ;   in Loop: Header=BB231_53 Depth=4
                                        ; implicit-def: $vgpr0_vgpr1
	s_cbranch_execz .LBB231_52
; %bb.58:                               ;   in Loop: Header=BB231_53 Depth=4
	scratch_load_b128 v[0:3], off, off
	s_branch .LBB231_52
.LBB231_59:                             ;   in Loop: Header=BB231_3 Depth=1
	s_wait_storecnt 0x0
	; wave barrier
	s_wait_loadcnt_dscnt 0x0
	global_inv scope:SCOPE_SE
	s_and_saveexec_b32 s3, s29
	s_cbranch_execz .LBB231_2
; %bb.60:                               ;   in Loop: Header=BB231_3 Depth=1
	v_add_co_u32 v0, vcc_lo, v11, s10
	s_wait_alu 0xfffd
	v_add_co_ci_u32_e64 v1, null, s11, v12, vcc_lo
	v_mov_b32_e32 v2, v8
	s_delay_alu instid0(VALU_DEP_3) | instskip(SKIP_1) | instid1(VALU_DEP_3)
	v_add_co_u32 v0, vcc_lo, v0, s16
	s_wait_alu 0xfffd
	v_add_co_ci_u32_e64 v1, null, s17, v1, vcc_lo
	s_mov_b32 s18, s25
	v_add_co_u32 v0, vcc_lo, v0, v9
	s_wait_alu 0xfffd
	v_add_co_ci_u32_e64 v1, null, v1, v10, vcc_lo
.LBB231_61:                             ;   Parent Loop BB231_3 Depth=1
                                        ; =>  This Inner Loop Header: Depth=2
	ds_load_2addr_b64 v[3:6], v2 offset1:1
	v_add_nc_u32_e32 v2, 0x1c0, v2
	s_add_co_i32 s18, s18, -1
	s_delay_alu instid0(SALU_CYCLE_1)
	s_cmp_lg_u32 s18, 0
	s_wait_dscnt 0x0
	flat_store_b128 v[0:1], v[3:6]
	v_add_co_u32 v0, vcc_lo, v0, 16
	s_wait_alu 0xfffd
	v_add_co_ci_u32_e64 v1, null, 0, v1, vcc_lo
	s_cbranch_scc1 .LBB231_61
	s_branch .LBB231_2
.LBB231_62:
	s_endpgm
	.section	.rodata,"a",@progbits
	.p2align	6, 0x0
	.amdhsa_kernel _ZL38rocblas_trsm_small_left_device_sharedBILi28ELi28ELb1E19rocblas_complex_numIdES1_PKPKS1_PKPS1_Ev13rocblas_fill_18rocblas_operation_17rocblas_diagonal_iiT3_T4_lilT5_lili
		.amdhsa_group_segment_fixed_size 25088
		.amdhsa_private_segment_fixed_size 464
		.amdhsa_kernarg_size 368
		.amdhsa_user_sgpr_count 2
		.amdhsa_user_sgpr_dispatch_ptr 0
		.amdhsa_user_sgpr_queue_ptr 0
		.amdhsa_user_sgpr_kernarg_segment_ptr 1
		.amdhsa_user_sgpr_dispatch_id 0
		.amdhsa_user_sgpr_private_segment_size 0
		.amdhsa_wavefront_size32 1
		.amdhsa_uses_dynamic_stack 0
		.amdhsa_enable_private_segment 1
		.amdhsa_system_sgpr_workgroup_id_x 1
		.amdhsa_system_sgpr_workgroup_id_y 0
		.amdhsa_system_sgpr_workgroup_id_z 1
		.amdhsa_system_sgpr_workgroup_info 0
		.amdhsa_system_vgpr_workitem_id 0
		.amdhsa_next_free_vgpr 241
		.amdhsa_next_free_sgpr 45
		.amdhsa_reserve_vcc 1
		.amdhsa_float_round_mode_32 0
		.amdhsa_float_round_mode_16_64 0
		.amdhsa_float_denorm_mode_32 3
		.amdhsa_float_denorm_mode_16_64 3
		.amdhsa_fp16_overflow 0
		.amdhsa_workgroup_processor_mode 1
		.amdhsa_memory_ordered 1
		.amdhsa_forward_progress 1
		.amdhsa_inst_pref_size 25
		.amdhsa_round_robin_scheduling 0
		.amdhsa_exception_fp_ieee_invalid_op 0
		.amdhsa_exception_fp_denorm_src 0
		.amdhsa_exception_fp_ieee_div_zero 0
		.amdhsa_exception_fp_ieee_overflow 0
		.amdhsa_exception_fp_ieee_underflow 0
		.amdhsa_exception_fp_ieee_inexact 0
		.amdhsa_exception_int_div_zero 0
	.end_amdhsa_kernel
	.section	.text._ZL38rocblas_trsm_small_left_device_sharedBILi28ELi28ELb1E19rocblas_complex_numIdES1_PKPKS1_PKPS1_Ev13rocblas_fill_18rocblas_operation_17rocblas_diagonal_iiT3_T4_lilT5_lili,"axG",@progbits,_ZL38rocblas_trsm_small_left_device_sharedBILi28ELi28ELb1E19rocblas_complex_numIdES1_PKPKS1_PKPS1_Ev13rocblas_fill_18rocblas_operation_17rocblas_diagonal_iiT3_T4_lilT5_lili,comdat
.Lfunc_end231:
	.size	_ZL38rocblas_trsm_small_left_device_sharedBILi28ELi28ELb1E19rocblas_complex_numIdES1_PKPKS1_PKPS1_Ev13rocblas_fill_18rocblas_operation_17rocblas_diagonal_iiT3_T4_lilT5_lili, .Lfunc_end231-_ZL38rocblas_trsm_small_left_device_sharedBILi28ELi28ELb1E19rocblas_complex_numIdES1_PKPKS1_PKPS1_Ev13rocblas_fill_18rocblas_operation_17rocblas_diagonal_iiT3_T4_lilT5_lili
                                        ; -- End function
	.set _ZL38rocblas_trsm_small_left_device_sharedBILi28ELi28ELb1E19rocblas_complex_numIdES1_PKPKS1_PKPS1_Ev13rocblas_fill_18rocblas_operation_17rocblas_diagonal_iiT3_T4_lilT5_lili.num_vgpr, 28
	.set _ZL38rocblas_trsm_small_left_device_sharedBILi28ELi28ELb1E19rocblas_complex_numIdES1_PKPKS1_PKPS1_Ev13rocblas_fill_18rocblas_operation_17rocblas_diagonal_iiT3_T4_lilT5_lili.num_agpr, 0
	.set _ZL38rocblas_trsm_small_left_device_sharedBILi28ELi28ELb1E19rocblas_complex_numIdES1_PKPKS1_PKPS1_Ev13rocblas_fill_18rocblas_operation_17rocblas_diagonal_iiT3_T4_lilT5_lili.numbered_sgpr, 45
	.set _ZL38rocblas_trsm_small_left_device_sharedBILi28ELi28ELb1E19rocblas_complex_numIdES1_PKPKS1_PKPS1_Ev13rocblas_fill_18rocblas_operation_17rocblas_diagonal_iiT3_T4_lilT5_lili.num_named_barrier, 0
	.set _ZL38rocblas_trsm_small_left_device_sharedBILi28ELi28ELb1E19rocblas_complex_numIdES1_PKPKS1_PKPS1_Ev13rocblas_fill_18rocblas_operation_17rocblas_diagonal_iiT3_T4_lilT5_lili.private_seg_size, 464
	.set _ZL38rocblas_trsm_small_left_device_sharedBILi28ELi28ELb1E19rocblas_complex_numIdES1_PKPKS1_PKPS1_Ev13rocblas_fill_18rocblas_operation_17rocblas_diagonal_iiT3_T4_lilT5_lili.uses_vcc, 1
	.set _ZL38rocblas_trsm_small_left_device_sharedBILi28ELi28ELb1E19rocblas_complex_numIdES1_PKPKS1_PKPS1_Ev13rocblas_fill_18rocblas_operation_17rocblas_diagonal_iiT3_T4_lilT5_lili.uses_flat_scratch, 0
	.set _ZL38rocblas_trsm_small_left_device_sharedBILi28ELi28ELb1E19rocblas_complex_numIdES1_PKPKS1_PKPS1_Ev13rocblas_fill_18rocblas_operation_17rocblas_diagonal_iiT3_T4_lilT5_lili.has_dyn_sized_stack, 0
	.set _ZL38rocblas_trsm_small_left_device_sharedBILi28ELi28ELb1E19rocblas_complex_numIdES1_PKPKS1_PKPS1_Ev13rocblas_fill_18rocblas_operation_17rocblas_diagonal_iiT3_T4_lilT5_lili.has_recursion, 0
	.set _ZL38rocblas_trsm_small_left_device_sharedBILi28ELi28ELb1E19rocblas_complex_numIdES1_PKPKS1_PKPS1_Ev13rocblas_fill_18rocblas_operation_17rocblas_diagonal_iiT3_T4_lilT5_lili.has_indirect_call, 0
	.section	.AMDGPU.csdata,"",@progbits
; Kernel info:
; codeLenInByte = 3092
; TotalNumSgprs: 47
; NumVgprs: 28
; ScratchSize: 464
; MemoryBound: 0
; FloatMode: 240
; IeeeMode: 1
; LDSByteSize: 25088 bytes/workgroup (compile time only)
; SGPRBlocks: 0
; VGPRBlocks: 30
; NumSGPRsForWavesPerEU: 47
; NumVGPRsForWavesPerEU: 241
; Occupancy: 2
; WaveLimiterHint : 0
; COMPUTE_PGM_RSRC2:SCRATCH_EN: 1
; COMPUTE_PGM_RSRC2:USER_SGPR: 2
; COMPUTE_PGM_RSRC2:TRAP_HANDLER: 0
; COMPUTE_PGM_RSRC2:TGID_X_EN: 1
; COMPUTE_PGM_RSRC2:TGID_Y_EN: 0
; COMPUTE_PGM_RSRC2:TGID_Z_EN: 1
; COMPUTE_PGM_RSRC2:TIDIG_COMP_CNT: 0
	.section	.text._ZL30rocblas_trsm_small_left_deviceILi28ELi28ELb1E19rocblas_complex_numIdES1_PKPKS1_PKPS1_Ev13rocblas_fill_18rocblas_operation_17rocblas_diagonal_iiT3_T4_lilT5_lili,"axG",@progbits,_ZL30rocblas_trsm_small_left_deviceILi28ELi28ELb1E19rocblas_complex_numIdES1_PKPKS1_PKPS1_Ev13rocblas_fill_18rocblas_operation_17rocblas_diagonal_iiT3_T4_lilT5_lili,comdat
	.globl	_ZL30rocblas_trsm_small_left_deviceILi28ELi28ELb1E19rocblas_complex_numIdES1_PKPKS1_PKPS1_Ev13rocblas_fill_18rocblas_operation_17rocblas_diagonal_iiT3_T4_lilT5_lili ; -- Begin function _ZL30rocblas_trsm_small_left_deviceILi28ELi28ELb1E19rocblas_complex_numIdES1_PKPKS1_PKPS1_Ev13rocblas_fill_18rocblas_operation_17rocblas_diagonal_iiT3_T4_lilT5_lili
	.p2align	8
	.type	_ZL30rocblas_trsm_small_left_deviceILi28ELi28ELb1E19rocblas_complex_numIdES1_PKPKS1_PKPS1_Ev13rocblas_fill_18rocblas_operation_17rocblas_diagonal_iiT3_T4_lilT5_lili,@function
_ZL30rocblas_trsm_small_left_deviceILi28ELi28ELb1E19rocblas_complex_numIdES1_PKPKS1_PKPS1_Ev13rocblas_fill_18rocblas_operation_17rocblas_diagonal_iiT3_T4_lilT5_lili: ; @_ZL30rocblas_trsm_small_left_deviceILi28ELi28ELb1E19rocblas_complex_numIdES1_PKPKS1_PKPS1_Ev13rocblas_fill_18rocblas_operation_17rocblas_diagonal_iiT3_T4_lilT5_lili
; %bb.0:
	s_load_b32 s3, s[0:1], 0x68
	s_lshr_b32 s20, ttmp7, 16
	s_wait_kmcnt 0x0
	s_cmp_ge_u32 s20, s3
	s_cbranch_scc1 .LBB232_59
; %bb.1:
	s_clause 0x5
	s_load_b32 s22, s[0:1], 0x38
	s_load_b128 s[16:19], s[0:1], 0x4
	s_load_b32 s2, s[0:1], 0x58
	s_load_b32 s21, s[0:1], 0x70
	s_load_b128 s[12:15], s[0:1], 0x48
	s_load_b256 s[4:11], s[0:1], 0x18
	v_mad_co_u64_u32 v[1:2], null, ttmp9, 28, v[0:1]
	s_mul_i32 s1, ttmp9, 0xffffffe4
	v_dual_mov_b32 v13, 0 :: v_dual_lshlrev_b32 v12, 4, v0
	v_mul_u32_u24_e32 v3, 0x1c0, v0
	s_mov_b32 s35, 0
                                        ; implicit-def: $sgpr36
                                        ; implicit-def: $sgpr37
	s_delay_alu instid0(VALU_DEP_1)
	v_add_nc_u32_e32 v18, v12, v3
	s_wait_kmcnt 0x0
	s_ashr_i32 s23, s22, 31
	s_cmp_eq_u32 s16, 0x71
	v_mad_co_i64_i32 v[1:2], null, s2, v1, 0
	s_cselect_b32 s0, -1, 0
	s_min_i32 s28, s18, 28
	s_add_co_i32 s21, s21, -1
	s_wait_alu 0xfffe
	s_add_co_i32 s2, s19, s1
	s_add_co_i32 s29, s28, -1
	s_cmp_ge_u32 ttmp9, s21
	v_lshlrev_b64_e32 v[8:9], 4, v[1:2]
	s_wait_alu 0xfffe
	s_cselect_b32 s2, s2, 28
	s_cmp_lg_u32 s17, 0x84
	v_cmp_gt_i32_e64 s1, s28, v0
	s_cselect_b32 s30, -1, 0
	s_cmp_lg_u32 s16, 0x6f
	s_wait_alu 0xfffe
	v_cmp_gt_i32_e64 s2, s2, v0
	s_cselect_b32 s31, -1, 0
	s_lshl_b64 s[16:17], s[10:11], 4
	s_lshl_b64 s[10:11], s[14:15], 4
	v_add_co_u32 v0, s14, s16, v12
	v_add_co_u32 v1, vcc_lo, v8, s10
	v_add_co_ci_u32_e64 v14, null, s17, 0, s14
	s_delay_alu instid0(VALU_DEP_3) | instskip(SKIP_1) | instid1(VALU_DEP_4)
	v_or_b32_e32 v15, 8, v0
	v_add_co_ci_u32_e64 v16, null, s11, v9, vcc_lo
	v_or_b32_e32 v17, 8, v1
	s_lshl_b32 s34, s28, 4
	s_or_b32 s33, 0, 8
	s_lshl_b64 s[14:15], s[22:23], 4
	s_add_co_i32 s34, s34, -16
	s_mov_b32 s17, 0
	s_branch .LBB232_4
.LBB232_2:                              ;   in Loop: Header=BB232_4 Depth=1
	s_add_co_i32 s20, s20, 0x10000
	s_delay_alu instid0(SALU_CYCLE_1)
	s_cmp_ge_u32 s20, s3
	s_cselect_b32 s16, -1, 0
	s_and_not1_b32 s37, s37, exec_lo
	s_wait_alu 0xfffe
	s_or_not1_b32 s16, s16, exec_lo
.LBB232_3:                              ;   in Loop: Header=BB232_4 Depth=1
	s_or_b32 exec_lo, exec_lo, s21
	s_wait_alu 0xfffe
	s_and_b32 s16, exec_lo, s16
	s_wait_alu 0xfffe
	s_or_b32 s35, s16, s35
	s_and_not1_b32 s16, s36, exec_lo
	s_and_b32 s18, s37, exec_lo
	s_wait_alu 0xfffe
	s_or_b32 s36, s16, s18
	s_and_not1_b32 exec_lo, exec_lo, s35
	s_cbranch_execz .LBB232_58
.LBB232_4:                              ; =>This Loop Header: Depth=1
                                        ;     Child Loop BB232_6 Depth 2
                                        ;     Child Loop BB232_19 Depth 2
                                        ;       Child Loop BB232_22 Depth 3
                                        ;         Child Loop BB232_23 Depth 4
                                        ;         Child Loop BB232_25 Depth 4
                                        ;           Child Loop BB232_26 Depth 5
                                        ;         Child Loop BB232_30 Depth 4
                                        ;           Child Loop BB232_32 Depth 5
                                        ;     Child Loop BB232_40 Depth 2
                                        ;       Child Loop BB232_43 Depth 3
                                        ;         Child Loop BB232_44 Depth 4
                                        ;         Child Loop BB232_47 Depth 4
                                        ;           Child Loop BB232_48 Depth 5
                                        ;         Child Loop BB232_52 Depth 4
                                        ;           Child Loop BB232_54 Depth 5
	s_wait_alu 0xfffe
	s_mov_b32 s21, s17
	s_delay_alu instid0(SALU_CYCLE_1) | instskip(NEXT) | instid1(SALU_CYCLE_1)
	s_lshl_b64 s[18:19], s[20:21], 3
	s_add_nc_u64 s[22:23], s[12:13], s[18:19]
	global_load_b64 v[10:11], v13, s[22:23]
	s_and_saveexec_b32 s16, s1
	s_cbranch_execz .LBB232_15
; %bb.5:                                ;   in Loop: Header=BB232_4 Depth=1
	s_add_nc_u64 s[18:19], s[8:9], s[18:19]
	v_mov_b32_e32 v2, v12
	global_load_b64 v[0:1], v13, s[18:19]
	s_mov_b32 s18, s28
	s_wait_loadcnt 0x0
	v_add_co_u32 v0, vcc_lo, v0, v15
	s_wait_alu 0xfffd
	v_add_co_ci_u32_e64 v1, null, v1, v14, vcc_lo
.LBB232_6:                              ;   Parent Loop BB232_4 Depth=1
                                        ; =>  This Inner Loop Header: Depth=2
	flat_load_b128 v[3:6], v[0:1] offset:-8
	v_add_co_u32 v0, vcc_lo, v0, s14
	s_wait_alu 0xfffd
	v_add_co_ci_u32_e64 v1, null, s15, v1, vcc_lo
	s_add_co_i32 s18, s18, -1
	s_delay_alu instid0(SALU_CYCLE_1) | instskip(SKIP_2) | instid1(VALU_DEP_1)
	s_cmp_eq_u32 s18, 0
	s_wait_loadcnt_dscnt 0x0
	v_xor_b32_e32 v7, 0x80000000, v6
	v_cndmask_b32_e64 v6, v6, v7, s0
	ds_store_b128 v2, v[3:6]
	v_add_nc_u32_e32 v2, 0x1c0, v2
	s_cbranch_scc0 .LBB232_6
; %bb.7:                                ;   in Loop: Header=BB232_4 Depth=1
	s_and_b32 vcc_lo, exec_lo, s30
	s_wait_alu 0xfffe
	s_cbranch_vccz .LBB232_13
; %bb.8:                                ;   in Loop: Header=BB232_4 Depth=1
	ds_load_b128 v[0:3], v18
                                        ; implicit-def: $vgpr6_vgpr7
	s_wait_dscnt 0x0
	v_cmp_ngt_f64_e64 s18, |v[0:1]|, |v[2:3]|
	s_and_saveexec_b32 s19, s18
	s_delay_alu instid0(SALU_CYCLE_1)
	s_xor_b32 s18, exec_lo, s19
	s_cbranch_execz .LBB232_10
; %bb.9:                                ;   in Loop: Header=BB232_4 Depth=1
	v_div_scale_f64 v[4:5], null, v[2:3], v[2:3], v[0:1]
	v_div_scale_f64 v[21:22], vcc_lo, v[0:1], v[2:3], v[0:1]
	s_delay_alu instid0(VALU_DEP_2) | instskip(NEXT) | instid1(TRANS32_DEP_1)
	v_rcp_f64_e32 v[6:7], v[4:5]
	v_fma_f64 v[19:20], -v[4:5], v[6:7], 1.0
	s_delay_alu instid0(VALU_DEP_1) | instskip(NEXT) | instid1(VALU_DEP_1)
	v_fma_f64 v[6:7], v[6:7], v[19:20], v[6:7]
	v_fma_f64 v[19:20], -v[4:5], v[6:7], 1.0
	s_delay_alu instid0(VALU_DEP_1) | instskip(NEXT) | instid1(VALU_DEP_1)
	v_fma_f64 v[6:7], v[6:7], v[19:20], v[6:7]
	v_mul_f64_e32 v[19:20], v[21:22], v[6:7]
	s_delay_alu instid0(VALU_DEP_1) | instskip(SKIP_1) | instid1(VALU_DEP_1)
	v_fma_f64 v[4:5], -v[4:5], v[19:20], v[21:22]
	s_wait_alu 0xfffd
	v_div_fmas_f64 v[4:5], v[4:5], v[6:7], v[19:20]
	s_delay_alu instid0(VALU_DEP_1) | instskip(NEXT) | instid1(VALU_DEP_1)
	v_div_fixup_f64 v[4:5], v[4:5], v[2:3], v[0:1]
	v_fma_f64 v[0:1], v[0:1], v[4:5], v[2:3]
	s_delay_alu instid0(VALU_DEP_1) | instskip(SKIP_1) | instid1(VALU_DEP_2)
	v_div_scale_f64 v[2:3], null, v[0:1], v[0:1], 1.0
	v_div_scale_f64 v[21:22], vcc_lo, 1.0, v[0:1], 1.0
	v_rcp_f64_e32 v[6:7], v[2:3]
	s_delay_alu instid0(TRANS32_DEP_1) | instskip(NEXT) | instid1(VALU_DEP_1)
	v_fma_f64 v[19:20], -v[2:3], v[6:7], 1.0
	v_fma_f64 v[6:7], v[6:7], v[19:20], v[6:7]
	s_delay_alu instid0(VALU_DEP_1) | instskip(NEXT) | instid1(VALU_DEP_1)
	v_fma_f64 v[19:20], -v[2:3], v[6:7], 1.0
	v_fma_f64 v[6:7], v[6:7], v[19:20], v[6:7]
	s_delay_alu instid0(VALU_DEP_1) | instskip(NEXT) | instid1(VALU_DEP_1)
	v_mul_f64_e32 v[19:20], v[21:22], v[6:7]
	v_fma_f64 v[2:3], -v[2:3], v[19:20], v[21:22]
	s_wait_alu 0xfffd
	s_delay_alu instid0(VALU_DEP_1) | instskip(SKIP_1) | instid1(VALU_DEP_2)
	v_div_fmas_f64 v[2:3], v[2:3], v[6:7], v[19:20]
	v_add_f64_e32 v[6:7], 0, v[4:5]
	v_div_fixup_f64 v[0:1], v[2:3], v[0:1], 1.0
	v_fma_f64 v[2:3], v[4:5], 0, -1.0
	s_delay_alu instid0(VALU_DEP_2) | instskip(NEXT) | instid1(VALU_DEP_2)
	v_mul_f64_e32 v[4:5], v[6:7], v[0:1]
	v_mul_f64_e32 v[6:7], v[2:3], v[0:1]
                                        ; implicit-def: $vgpr0_vgpr1
.LBB232_10:                             ;   in Loop: Header=BB232_4 Depth=1
	s_and_not1_saveexec_b32 s18, s18
	s_cbranch_execz .LBB232_12
; %bb.11:                               ;   in Loop: Header=BB232_4 Depth=1
	v_div_scale_f64 v[4:5], null, v[0:1], v[0:1], v[2:3]
	v_div_scale_f64 v[21:22], vcc_lo, v[2:3], v[0:1], v[2:3]
	s_delay_alu instid0(VALU_DEP_2) | instskip(NEXT) | instid1(TRANS32_DEP_1)
	v_rcp_f64_e32 v[6:7], v[4:5]
	v_fma_f64 v[19:20], -v[4:5], v[6:7], 1.0
	s_delay_alu instid0(VALU_DEP_1) | instskip(NEXT) | instid1(VALU_DEP_1)
	v_fma_f64 v[6:7], v[6:7], v[19:20], v[6:7]
	v_fma_f64 v[19:20], -v[4:5], v[6:7], 1.0
	s_delay_alu instid0(VALU_DEP_1) | instskip(NEXT) | instid1(VALU_DEP_1)
	v_fma_f64 v[6:7], v[6:7], v[19:20], v[6:7]
	v_mul_f64_e32 v[19:20], v[21:22], v[6:7]
	s_delay_alu instid0(VALU_DEP_1) | instskip(SKIP_1) | instid1(VALU_DEP_1)
	v_fma_f64 v[4:5], -v[4:5], v[19:20], v[21:22]
	s_wait_alu 0xfffd
	v_div_fmas_f64 v[4:5], v[4:5], v[6:7], v[19:20]
	s_delay_alu instid0(VALU_DEP_1) | instskip(NEXT) | instid1(VALU_DEP_1)
	v_div_fixup_f64 v[4:5], v[4:5], v[0:1], v[2:3]
	v_fma_f64 v[0:1], v[2:3], v[4:5], v[0:1]
	s_delay_alu instid0(VALU_DEP_1) | instskip(SKIP_1) | instid1(VALU_DEP_2)
	v_div_scale_f64 v[2:3], null, v[0:1], v[0:1], 1.0
	v_div_scale_f64 v[21:22], vcc_lo, 1.0, v[0:1], 1.0
	v_rcp_f64_e32 v[6:7], v[2:3]
	s_delay_alu instid0(TRANS32_DEP_1) | instskip(NEXT) | instid1(VALU_DEP_1)
	v_fma_f64 v[19:20], -v[2:3], v[6:7], 1.0
	v_fma_f64 v[6:7], v[6:7], v[19:20], v[6:7]
	s_delay_alu instid0(VALU_DEP_1) | instskip(NEXT) | instid1(VALU_DEP_1)
	v_fma_f64 v[19:20], -v[2:3], v[6:7], 1.0
	v_fma_f64 v[6:7], v[6:7], v[19:20], v[6:7]
	s_delay_alu instid0(VALU_DEP_1) | instskip(NEXT) | instid1(VALU_DEP_1)
	v_mul_f64_e32 v[19:20], v[21:22], v[6:7]
	v_fma_f64 v[2:3], -v[2:3], v[19:20], v[21:22]
	s_wait_alu 0xfffd
	s_delay_alu instid0(VALU_DEP_1) | instskip(SKIP_1) | instid1(VALU_DEP_2)
	v_div_fmas_f64 v[2:3], v[2:3], v[6:7], v[19:20]
	v_fma_f64 v[6:7], v[4:5], 0, 1.0
	v_div_fixup_f64 v[0:1], v[2:3], v[0:1], 1.0
	v_add_f64_e64 v[2:3], -v[4:5], 0
	s_delay_alu instid0(VALU_DEP_2) | instskip(NEXT) | instid1(VALU_DEP_2)
	v_mul_f64_e32 v[4:5], v[6:7], v[0:1]
	v_mul_f64_e32 v[6:7], v[2:3], v[0:1]
.LBB232_12:                             ;   in Loop: Header=BB232_4 Depth=1
	s_or_b32 exec_lo, exec_lo, s18
	s_branch .LBB232_14
.LBB232_13:                             ;   in Loop: Header=BB232_4 Depth=1
	v_mov_b32_e32 v6, 0
	v_dual_mov_b32 v7, 0 :: v_dual_mov_b32 v4, 0
	v_mov_b32_e32 v5, 0x3ff00000
.LBB232_14:                             ;   in Loop: Header=BB232_4 Depth=1
	ds_store_b128 v18, v[4:7]
.LBB232_15:                             ;   in Loop: Header=BB232_4 Depth=1
	s_wait_alu 0xfffe
	s_or_b32 exec_lo, exec_lo, s16
	s_mov_b32 s16, -1
	s_or_b32 s37, s37, exec_lo
	; wave barrier
	s_wait_loadcnt_dscnt 0x0
	global_inv scope:SCOPE_SE
	s_and_saveexec_b32 s21, s2
	s_cbranch_execz .LBB232_3
; %bb.16:                               ;   in Loop: Header=BB232_4 Depth=1
	v_add_co_u32 v0, vcc_lo, v10, s10
	s_wait_alu 0xfffd
	v_add_co_ci_u32_e64 v1, null, s11, v11, vcc_lo
	s_delay_alu instid0(VALU_DEP_2) | instskip(SKIP_1) | instid1(VALU_DEP_2)
	v_add_co_u32 v6, vcc_lo, v0, v8
	s_wait_alu 0xfffd
	v_add_co_ci_u32_e64 v7, null, v1, v9, vcc_lo
	s_and_not1_b32 vcc_lo, exec_lo, s31
	s_wait_alu 0xfffe
	s_cbranch_vccnz .LBB232_37
; %bb.17:                               ;   in Loop: Header=BB232_4 Depth=1
	v_add_co_u32 v4, vcc_lo, v10, v17
	s_wait_alu 0xfffd
	v_add_co_ci_u32_e64 v5, null, v11, v16, vcc_lo
	s_mov_b32 s16, 0
	s_mov_b32 s18, s29
	s_branch .LBB232_19
.LBB232_18:                             ;   in Loop: Header=BB232_19 Depth=2
	s_cmp_gt_i32 s18, -1
	s_cselect_b32 s19, -1, 0
	s_add_co_i32 s22, s16, 1
	s_cmp_lt_u32 s16, 2
	s_cselect_b32 s16, -1, 0
	s_wait_alu 0xfffe
	s_and_b32 s16, s19, s16
	s_wait_alu 0xfffe
	s_and_b32 vcc_lo, exec_lo, s16
	s_mov_b32 s16, s22
	s_wait_alu 0xfffe
	s_cbranch_vccz .LBB232_36
.LBB232_19:                             ;   Parent Loop BB232_4 Depth=1
                                        ; =>  This Loop Header: Depth=2
                                        ;       Child Loop BB232_22 Depth 3
                                        ;         Child Loop BB232_23 Depth 4
                                        ;         Child Loop BB232_25 Depth 4
                                        ;           Child Loop BB232_26 Depth 5
                                        ;         Child Loop BB232_30 Depth 4
                                        ;           Child Loop BB232_32 Depth 5
	s_getpc_b64 s[22:23]
	s_wait_alu 0xfffe
	s_sext_i32_i16 s23, s23
	s_add_co_u32 s22, s22, __const._ZL30rocblas_trsm_small_left_deviceILi28ELi28ELb1E19rocblas_complex_numIdES1_PKPKS1_PKPS1_Ev13rocblas_fill_18rocblas_operation_17rocblas_diagonal_iiT3_T4_lilT5_lili.step_sizes@rel32@lo+12
	s_wait_alu 0xfffe
	s_add_co_ci_u32 s23, s23, __const._ZL30rocblas_trsm_small_left_deviceILi28ELi28ELb1E19rocblas_complex_numIdES1_PKPKS1_PKPS1_Ev13rocblas_fill_18rocblas_operation_17rocblas_diagonal_iiT3_T4_lilT5_lili.step_sizes@rel32@hi+24
	s_lshl_b64 s[24:25], s[16:17], 2
	s_wait_alu 0xfffe
	s_add_nc_u64 s[22:23], s[22:23], s[24:25]
	s_load_b32 s26, s[22:23], 0x0
	s_wait_kmcnt 0x0
	s_add_co_i32 s27, s26, -1
	s_wait_alu 0xfffe
	s_cmp_lt_i32 s18, s27
	s_cbranch_scc1 .LBB232_18
; %bb.20:                               ;   in Loop: Header=BB232_19 Depth=2
	s_mul_i32 s19, s18, 0x1c0
	s_max_i32 s38, s26, 1
	s_add_co_i32 s39, s34, s19
	s_mul_i32 s40, s26, 0xfffffe40
	s_mul_i32 s41, s18, 0x1d0
	;; [unrolled: 1-line block ×3, first 2 shown]
	s_branch .LBB232_22
.LBB232_21:                             ;   in Loop: Header=BB232_22 Depth=3
	s_sub_co_i32 s18, s18, s26
	s_add_co_i32 s39, s39, s40
	s_add_co_i32 s41, s41, s42
	s_cmp_lt_i32 s18, s27
	s_cbranch_scc1 .LBB232_18
.LBB232_22:                             ;   Parent Loop BB232_4 Depth=1
                                        ;     Parent Loop BB232_19 Depth=2
                                        ; =>    This Loop Header: Depth=3
                                        ;         Child Loop BB232_23 Depth 4
                                        ;         Child Loop BB232_25 Depth 4
                                        ;           Child Loop BB232_26 Depth 5
                                        ;         Child Loop BB232_30 Depth 4
                                        ;           Child Loop BB232_32 Depth 5
	s_ashr_i32 s19, s18, 31
	s_delay_alu instid0(SALU_CYCLE_1)
	s_lshl_b64 s[22:23], s[18:19], 4
	s_wait_alu 0xfffe
	v_add_co_u32 v0, vcc_lo, v4, s22
	s_wait_alu 0xfffd
	v_add_co_ci_u32_e64 v1, null, s23, v5, vcc_lo
	s_mov_b32 s22, 8
	s_mov_b32 s23, s38
.LBB232_23:                             ;   Parent Loop BB232_4 Depth=1
                                        ;     Parent Loop BB232_19 Depth=2
                                        ;       Parent Loop BB232_22 Depth=3
                                        ; =>      This Inner Loop Header: Depth=4
	flat_load_b128 v[19:22], v[0:1] offset:-8
	v_add_co_u32 v0, vcc_lo, v0, -16
	s_wait_alu 0xfffd
	v_add_co_ci_u32_e64 v1, null, -1, v1, vcc_lo
	s_wait_alu 0xfffe
	s_add_co_i32 s23, s23, -1
	s_mov_b32 s24, s22
	s_add_co_i32 s22, s22, 16
	s_wait_alu 0xfffe
	s_cmp_eq_u32 s23, 0
	s_wait_loadcnt_dscnt 0x0
	v_mul_f64_e32 v[2:3], s[6:7], v[21:22]
	v_mul_f64_e32 v[23:24], s[4:5], v[21:22]
	s_delay_alu instid0(VALU_DEP_2) | instskip(NEXT) | instid1(VALU_DEP_2)
	v_fma_f64 v[21:22], s[4:5], v[19:20], -v[2:3]
	v_fma_f64 v[23:24], s[6:7], v[19:20], v[23:24]
	scratch_store_b128 off, v[21:24], s24 offset:-8
	s_cbranch_scc0 .LBB232_23
; %bb.24:                               ;   in Loop: Header=BB232_22 Depth=3
	s_cmp_le_i32 s29, s18
	s_mov_b32 s24, s39
	s_mov_b32 s22, s29
	s_cbranch_scc1 .LBB232_28
.LBB232_25:                             ;   Parent Loop BB232_4 Depth=1
                                        ;     Parent Loop BB232_19 Depth=2
                                        ;       Parent Loop BB232_22 Depth=3
                                        ; =>      This Loop Header: Depth=4
                                        ;           Child Loop BB232_26 Depth 5
	s_wait_alu 0xfffe
	s_ashr_i32 s23, s22, 31
	s_mov_b32 s25, s24
	s_wait_alu 0xfffe
	s_lshl_b64 s[44:45], s[22:23], 4
	s_mov_b32 s23, s33
	s_wait_alu 0xfffe
	v_add_co_u32 v0, vcc_lo, v6, s44
	s_wait_alu 0xfffd
	v_add_co_ci_u32_e64 v1, null, s45, v7, vcc_lo
	s_mov_b32 s43, s38
	flat_load_b128 v[0:3], v[0:1]
.LBB232_26:                             ;   Parent Loop BB232_4 Depth=1
                                        ;     Parent Loop BB232_19 Depth=2
                                        ;       Parent Loop BB232_22 Depth=3
                                        ;         Parent Loop BB232_25 Depth=4
                                        ; =>        This Inner Loop Header: Depth=5
	scratch_load_b128 v[19:22], off, s23 offset:-8
	v_mov_b32_e32 v23, s25
	s_wait_alu 0xfffe
	s_add_co_i32 s43, s43, -1
	s_addk_co_i32 s25, 0xfe40
	ds_load_b128 v[23:26], v23
	s_wait_loadcnt_dscnt 0x100
	v_mul_f64_e32 v[27:28], v[2:3], v[25:26]
	v_mul_f64_e32 v[25:26], v[0:1], v[25:26]
	s_delay_alu instid0(VALU_DEP_2) | instskip(NEXT) | instid1(VALU_DEP_2)
	v_fma_f64 v[27:28], v[0:1], v[23:24], -v[27:28]
	v_fma_f64 v[23:24], v[2:3], v[23:24], v[25:26]
	s_wait_loadcnt 0x0
	s_delay_alu instid0(VALU_DEP_2) | instskip(NEXT) | instid1(VALU_DEP_2)
	v_add_f64_e64 v[19:20], v[19:20], -v[27:28]
	v_add_f64_e64 v[21:22], v[21:22], -v[23:24]
	scratch_store_b128 off, v[19:22], s23 offset:-8
	s_add_co_i32 s23, s23, 16
	s_wait_alu 0xfffe
	s_cmp_eq_u32 s43, 0
	s_cbranch_scc0 .LBB232_26
; %bb.27:                               ;   in Loop: Header=BB232_25 Depth=4
	s_add_co_i32 s22, s22, -1
	s_add_co_i32 s24, s24, -16
	s_wait_alu 0xfffe
	s_cmp_le_i32 s22, s18
	s_cbranch_scc0 .LBB232_25
.LBB232_28:                             ;   in Loop: Header=BB232_22 Depth=3
	s_mov_b32 s43, 0
	s_mov_b32 s44, s41
	s_branch .LBB232_30
.LBB232_29:                             ;   in Loop: Header=BB232_30 Depth=4
	s_wait_alu 0xfffe
	s_mulk_i32 s24, 0x1d0
	s_lshl_b64 s[22:23], s[22:23], 4
	s_wait_alu 0xfffe
	v_mov_b32_e32 v19, s24
	s_lshl_b32 s24, s43, 4
	s_add_co_i32 s43, s43, 1
	s_addk_co_i32 s44, 0xfe40
	s_wait_alu 0xfffe
	s_cmp_eq_u32 s43, s38
	ds_load_b128 v[19:22], v19
	s_wait_loadcnt_dscnt 0x0
	v_mul_f64_e32 v[23:24], v[21:22], v[2:3]
	v_mul_f64_e32 v[2:3], v[19:20], v[2:3]
	s_delay_alu instid0(VALU_DEP_2) | instskip(NEXT) | instid1(VALU_DEP_2)
	v_fma_f64 v[19:20], v[19:20], v[0:1], -v[23:24]
	v_fma_f64 v[21:22], v[21:22], v[0:1], v[2:3]
	v_add_co_u32 v0, vcc_lo, v6, s22
	s_wait_alu 0xfffd
	v_add_co_ci_u32_e64 v1, null, s23, v7, vcc_lo
	scratch_store_b128 off, v[19:22], s24
	flat_store_b128 v[0:1], v[19:22]
	s_cbranch_scc1 .LBB232_21
.LBB232_30:                             ;   Parent Loop BB232_4 Depth=1
                                        ;     Parent Loop BB232_19 Depth=2
                                        ;       Parent Loop BB232_22 Depth=3
                                        ; =>      This Loop Header: Depth=4
                                        ;           Child Loop BB232_32 Depth 5
	s_wait_alu 0xfffe
	s_cmp_lg_u32 s43, 0
	s_cbranch_scc0 .LBB232_34
; %bb.31:                               ;   in Loop: Header=BB232_30 Depth=4
	s_lshl_b32 s22, s43, 4
	s_mov_b32 s23, s33
	scratch_load_b128 v[0:3], off, s22
	s_mov_b32 s24, s44
	s_mov_b32 s25, s43
.LBB232_32:                             ;   Parent Loop BB232_4 Depth=1
                                        ;     Parent Loop BB232_19 Depth=2
                                        ;       Parent Loop BB232_22 Depth=3
                                        ;         Parent Loop BB232_30 Depth=4
                                        ; =>        This Inner Loop Header: Depth=5
	scratch_load_b128 v[19:22], off, s23 offset:-8
	s_wait_alu 0xfffe
	v_mov_b32_e32 v23, s24
	s_add_co_i32 s25, s25, -1
	s_add_co_i32 s24, s24, -16
	s_add_co_i32 s23, s23, 16
	s_wait_alu 0xfffe
	s_cmp_eq_u32 s25, 0
	ds_load_b128 v[23:26], v23
	s_wait_loadcnt_dscnt 0x0
	v_mul_f64_e32 v[27:28], v[25:26], v[21:22]
	v_mul_f64_e32 v[21:22], v[23:24], v[21:22]
	s_delay_alu instid0(VALU_DEP_2) | instskip(NEXT) | instid1(VALU_DEP_2)
	v_fma_f64 v[23:24], v[23:24], v[19:20], -v[27:28]
	v_fma_f64 v[19:20], v[25:26], v[19:20], v[21:22]
	s_delay_alu instid0(VALU_DEP_2) | instskip(NEXT) | instid1(VALU_DEP_2)
	v_add_f64_e64 v[0:1], v[0:1], -v[23:24]
	v_add_f64_e64 v[2:3], v[2:3], -v[19:20]
	scratch_store_b128 off, v[0:3], s22
	s_cbranch_scc0 .LBB232_32
; %bb.33:                               ;   in Loop: Header=BB232_30 Depth=4
	s_sub_co_i32 s24, s18, s43
	s_wait_alu 0xfffe
	s_ashr_i32 s25, s24, 31
	s_wait_alu 0xfffe
	s_mov_b64 s[22:23], s[24:25]
	s_branch .LBB232_29
.LBB232_34:                             ;   in Loop: Header=BB232_30 Depth=4
                                        ; implicit-def: $vgpr0_vgpr1
                                        ; implicit-def: $sgpr24
                                        ; implicit-def: $sgpr22_sgpr23
	s_cbranch_execz .LBB232_29
; %bb.35:                               ;   in Loop: Header=BB232_30 Depth=4
	scratch_load_b128 v[0:3], off, off
	s_mov_b64 s[22:23], s[18:19]
	s_mov_b32 s24, s18
	s_branch .LBB232_29
.LBB232_36:                             ;   in Loop: Header=BB232_4 Depth=1
	s_mov_b32 s16, 0
.LBB232_37:                             ;   in Loop: Header=BB232_4 Depth=1
	s_wait_alu 0xfffe
	s_and_b32 vcc_lo, exec_lo, s16
	s_wait_alu 0xfffe
	s_cbranch_vccz .LBB232_2
; %bb.38:                               ;   in Loop: Header=BB232_4 Depth=1
	v_add_co_u32 v10, vcc_lo, v10, v17
	s_wait_alu 0xfffd
	v_add_co_ci_u32_e64 v11, null, v11, v16, vcc_lo
	s_mov_b32 s18, 0
	s_mov_b32 s22, 0
	s_branch .LBB232_40
.LBB232_39:                             ;   in Loop: Header=BB232_40 Depth=2
	s_cmp_lt_i32 s18, s28
	s_cselect_b32 s16, -1, 0
	s_add_co_i32 s19, s22, 1
	s_cmp_lt_u32 s22, 2
	s_cselect_b32 s22, -1, 0
	s_wait_alu 0xfffe
	s_and_b32 s16, s16, s22
	s_mov_b32 s22, s19
	s_wait_alu 0xfffe
	s_and_not1_b32 vcc_lo, exec_lo, s16
	s_wait_alu 0xfffe
	s_cbranch_vccnz .LBB232_2
.LBB232_40:                             ;   Parent Loop BB232_4 Depth=1
                                        ; =>  This Loop Header: Depth=2
                                        ;       Child Loop BB232_43 Depth 3
                                        ;         Child Loop BB232_44 Depth 4
                                        ;         Child Loop BB232_47 Depth 4
                                        ;           Child Loop BB232_48 Depth 5
                                        ;         Child Loop BB232_52 Depth 4
                                        ;           Child Loop BB232_54 Depth 5
	s_mov_b32 s23, s17
	s_getpc_b64 s[24:25]
	s_wait_alu 0xfffe
	s_sext_i32_i16 s25, s25
	s_add_co_u32 s24, s24, __const._ZL30rocblas_trsm_small_left_deviceILi28ELi28ELb1E19rocblas_complex_numIdES1_PKPKS1_PKPS1_Ev13rocblas_fill_18rocblas_operation_17rocblas_diagonal_iiT3_T4_lilT5_lili.step_sizes@rel32@lo+12
	s_wait_alu 0xfffe
	s_add_co_ci_u32 s25, s25, __const._ZL30rocblas_trsm_small_left_deviceILi28ELi28ELb1E19rocblas_complex_numIdES1_PKPKS1_PKPS1_Ev13rocblas_fill_18rocblas_operation_17rocblas_diagonal_iiT3_T4_lilT5_lili.step_sizes@rel32@hi+24
	s_lshl_b64 s[26:27], s[22:23], 2
	s_wait_alu 0xfffe
	s_add_nc_u64 s[24:25], s[24:25], s[26:27]
	s_load_b32 s24, s[24:25], 0x0
	s_wait_kmcnt 0x0
	s_add_co_i32 s23, s24, -1
	s_wait_alu 0xfffe
	s_add_co_i32 s16, s23, s18
	s_wait_alu 0xfffe
	s_cmp_ge_i32 s16, s28
	s_cbranch_scc1 .LBB232_39
; %bb.41:                               ;   in Loop: Header=BB232_40 Depth=2
	s_ashr_i32 s19, s18, 31
	s_ashr_i32 s25, s24, 31
	s_lshl_b64 s[26:27], s[18:19], 4
	s_max_i32 s38, s24, 1
	s_wait_alu 0xfffe
	v_add_co_u32 v4, vcc_lo, v10, s26
	s_wait_alu 0xfffd
	v_add_co_ci_u32_e64 v5, null, s27, v11, vcc_lo
	s_lshl_b64 s[26:27], s[24:25], 4
	s_lshl_b32 s19, s18, 4
	s_lshl_b32 s25, s24, 4
	s_mul_i32 s39, s18, 0x1d0
	s_mul_i32 s40, s24, 0x1d0
	s_branch .LBB232_43
.LBB232_42:                             ;   in Loop: Header=BB232_43 Depth=3
	v_add_co_u32 v4, vcc_lo, v4, s26
	s_add_co_i32 s18, s18, s24
	s_wait_alu 0xfffd
	v_add_co_ci_u32_e64 v5, null, s27, v5, vcc_lo
	s_add_co_i32 s16, s23, s18
	s_add_co_i32 s19, s19, s25
	;; [unrolled: 1-line block ×3, first 2 shown]
	s_wait_alu 0xfffe
	s_cmp_ge_i32 s16, s28
	s_cbranch_scc1 .LBB232_39
.LBB232_43:                             ;   Parent Loop BB232_4 Depth=1
                                        ;     Parent Loop BB232_40 Depth=2
                                        ; =>    This Loop Header: Depth=3
                                        ;         Child Loop BB232_44 Depth 4
                                        ;         Child Loop BB232_47 Depth 4
                                        ;           Child Loop BB232_48 Depth 5
                                        ;         Child Loop BB232_52 Depth 4
                                        ;           Child Loop BB232_54 Depth 5
	v_dual_mov_b32 v0, v4 :: v_dual_mov_b32 v1, v5
	s_mov_b32 s16, 8
	s_mov_b32 s41, s38
.LBB232_44:                             ;   Parent Loop BB232_4 Depth=1
                                        ;     Parent Loop BB232_40 Depth=2
                                        ;       Parent Loop BB232_43 Depth=3
                                        ; =>      This Inner Loop Header: Depth=4
	flat_load_b128 v[19:22], v[0:1] offset:-8
	v_add_co_u32 v0, vcc_lo, v0, 16
	s_wait_alu 0xfffd
	v_add_co_ci_u32_e64 v1, null, 0, v1, vcc_lo
	s_add_co_i32 s41, s41, -1
	s_wait_alu 0xfffe
	s_mov_b32 s42, s16
	s_add_co_i32 s16, s16, 16
	s_cmp_eq_u32 s41, 0
	s_wait_loadcnt_dscnt 0x0
	v_mul_f64_e32 v[2:3], s[6:7], v[21:22]
	v_mul_f64_e32 v[23:24], s[4:5], v[21:22]
	s_delay_alu instid0(VALU_DEP_2) | instskip(NEXT) | instid1(VALU_DEP_2)
	v_fma_f64 v[21:22], s[4:5], v[19:20], -v[2:3]
	v_fma_f64 v[23:24], s[6:7], v[19:20], v[23:24]
	scratch_store_b128 off, v[21:24], s42 offset:-8
	s_cbranch_scc0 .LBB232_44
; %bb.45:                               ;   in Loop: Header=BB232_43 Depth=3
	s_cmp_lt_i32 s18, 1
	s_cbranch_scc1 .LBB232_50
; %bb.46:                               ;   in Loop: Header=BB232_43 Depth=3
	s_mov_b32 s16, 0
	s_mov_b32 s41, s19
.LBB232_47:                             ;   Parent Loop BB232_4 Depth=1
                                        ;     Parent Loop BB232_40 Depth=2
                                        ;       Parent Loop BB232_43 Depth=3
                                        ; =>      This Loop Header: Depth=4
                                        ;           Child Loop BB232_48 Depth 5
	s_wait_alu 0xfffe
	s_lshl_b64 s[42:43], s[16:17], 4
	s_mov_b32 s44, s38
	s_wait_alu 0xfffe
	v_add_co_u32 v0, vcc_lo, v6, s42
	s_wait_alu 0xfffd
	v_add_co_ci_u32_e64 v1, null, s43, v7, vcc_lo
	s_mov_b32 s42, s33
	s_mov_b32 s43, s41
	flat_load_b128 v[0:3], v[0:1]
.LBB232_48:                             ;   Parent Loop BB232_4 Depth=1
                                        ;     Parent Loop BB232_40 Depth=2
                                        ;       Parent Loop BB232_43 Depth=3
                                        ;         Parent Loop BB232_47 Depth=4
                                        ; =>        This Inner Loop Header: Depth=5
	scratch_load_b128 v[19:22], off, s42 offset:-8
	s_wait_alu 0xfffe
	v_mov_b32_e32 v23, s43
	s_add_co_i32 s44, s44, -1
	s_add_co_i32 s43, s43, 16
	ds_load_b128 v[23:26], v23
	s_wait_loadcnt_dscnt 0x100
	v_mul_f64_e32 v[27:28], v[2:3], v[25:26]
	v_mul_f64_e32 v[25:26], v[0:1], v[25:26]
	s_delay_alu instid0(VALU_DEP_2) | instskip(NEXT) | instid1(VALU_DEP_2)
	v_fma_f64 v[27:28], v[0:1], v[23:24], -v[27:28]
	v_fma_f64 v[23:24], v[2:3], v[23:24], v[25:26]
	s_wait_loadcnt 0x0
	s_delay_alu instid0(VALU_DEP_2) | instskip(NEXT) | instid1(VALU_DEP_2)
	v_add_f64_e64 v[19:20], v[19:20], -v[27:28]
	v_add_f64_e64 v[21:22], v[21:22], -v[23:24]
	scratch_store_b128 off, v[19:22], s42 offset:-8
	s_add_co_i32 s42, s42, 16
	s_wait_alu 0xfffe
	s_cmp_eq_u32 s44, 0
	s_cbranch_scc0 .LBB232_48
; %bb.49:                               ;   in Loop: Header=BB232_47 Depth=4
	s_add_co_i32 s16, s16, 1
	s_addk_co_i32 s41, 0x1c0
	s_wait_alu 0xfffe
	s_cmp_eq_u32 s16, s18
	s_cbranch_scc0 .LBB232_47
.LBB232_50:                             ;   in Loop: Header=BB232_43 Depth=3
	s_mov_b32 s16, 0
	s_mov_b32 s41, s39
	s_branch .LBB232_52
.LBB232_51:                             ;   in Loop: Header=BB232_52 Depth=4
	s_add_co_i32 s42, s16, s18
	s_lshl_b32 s44, s16, 4
	s_wait_alu 0xfffe
	s_mul_i32 s43, s42, 0x1d0
	s_add_co_i32 s16, s16, 1
	s_wait_alu 0xfffe
	v_mov_b32_e32 v19, s43
	s_ashr_i32 s43, s42, 31
	s_add_co_i32 s41, s41, 16
	s_wait_alu 0xfffe
	s_lshl_b64 s[42:43], s[42:43], 4
	s_cmp_eq_u32 s16, s38
	ds_load_b128 v[19:22], v19
	s_wait_loadcnt_dscnt 0x0
	v_mul_f64_e32 v[23:24], v[21:22], v[2:3]
	v_mul_f64_e32 v[2:3], v[19:20], v[2:3]
	s_delay_alu instid0(VALU_DEP_2) | instskip(NEXT) | instid1(VALU_DEP_2)
	v_fma_f64 v[19:20], v[19:20], v[0:1], -v[23:24]
	v_fma_f64 v[21:22], v[21:22], v[0:1], v[2:3]
	s_wait_alu 0xfffe
	v_add_co_u32 v0, vcc_lo, v6, s42
	s_wait_alu 0xfffd
	v_add_co_ci_u32_e64 v1, null, s43, v7, vcc_lo
	scratch_store_b128 off, v[19:22], s44
	flat_store_b128 v[0:1], v[19:22]
	s_cbranch_scc1 .LBB232_42
.LBB232_52:                             ;   Parent Loop BB232_4 Depth=1
                                        ;     Parent Loop BB232_40 Depth=2
                                        ;       Parent Loop BB232_43 Depth=3
                                        ; =>      This Loop Header: Depth=4
                                        ;           Child Loop BB232_54 Depth 5
	s_wait_alu 0xfffe
	s_cmp_lg_u32 s16, 0
	s_cbranch_scc0 .LBB232_56
; %bb.53:                               ;   in Loop: Header=BB232_52 Depth=4
	s_lshl_b32 s42, s16, 4
	s_mov_b32 s43, s33
	scratch_load_b128 v[0:3], off, s42
	s_mov_b32 s44, s41
	s_mov_b32 s45, s16
.LBB232_54:                             ;   Parent Loop BB232_4 Depth=1
                                        ;     Parent Loop BB232_40 Depth=2
                                        ;       Parent Loop BB232_43 Depth=3
                                        ;         Parent Loop BB232_52 Depth=4
                                        ; =>        This Inner Loop Header: Depth=5
	scratch_load_b128 v[19:22], off, s43 offset:-8
	s_wait_alu 0xfffe
	v_mov_b32_e32 v23, s44
	s_add_co_i32 s45, s45, -1
	s_addk_co_i32 s44, 0x1c0
	s_add_co_i32 s43, s43, 16
	s_wait_alu 0xfffe
	s_cmp_eq_u32 s45, 0
	ds_load_b128 v[23:26], v23
	s_wait_loadcnt_dscnt 0x0
	v_mul_f64_e32 v[27:28], v[25:26], v[21:22]
	v_mul_f64_e32 v[21:22], v[23:24], v[21:22]
	s_delay_alu instid0(VALU_DEP_2) | instskip(NEXT) | instid1(VALU_DEP_2)
	v_fma_f64 v[23:24], v[23:24], v[19:20], -v[27:28]
	v_fma_f64 v[19:20], v[25:26], v[19:20], v[21:22]
	s_delay_alu instid0(VALU_DEP_2) | instskip(NEXT) | instid1(VALU_DEP_2)
	v_add_f64_e64 v[0:1], v[0:1], -v[23:24]
	v_add_f64_e64 v[2:3], v[2:3], -v[19:20]
	scratch_store_b128 off, v[0:3], s42
	s_cbranch_scc0 .LBB232_54
; %bb.55:                               ;   in Loop: Header=BB232_52 Depth=4
	s_branch .LBB232_51
.LBB232_56:                             ;   in Loop: Header=BB232_52 Depth=4
                                        ; implicit-def: $vgpr0_vgpr1
	s_cbranch_execz .LBB232_51
; %bb.57:                               ;   in Loop: Header=BB232_52 Depth=4
	scratch_load_b128 v[0:3], off, off
	s_branch .LBB232_51
.LBB232_58:
	s_or_b32 exec_lo, exec_lo, s35
	s_and_saveexec_b32 s0, s36
	s_wait_alu 0xfffe
	s_xor_b32 s0, exec_lo, s0
.LBB232_59:
	s_endpgm
	.section	.rodata,"a",@progbits
	.p2align	6, 0x0
	.amdhsa_kernel _ZL30rocblas_trsm_small_left_deviceILi28ELi28ELb1E19rocblas_complex_numIdES1_PKPKS1_PKPS1_Ev13rocblas_fill_18rocblas_operation_17rocblas_diagonal_iiT3_T4_lilT5_lili
		.amdhsa_group_segment_fixed_size 12544
		.amdhsa_private_segment_fixed_size 464
		.amdhsa_kernarg_size 368
		.amdhsa_user_sgpr_count 2
		.amdhsa_user_sgpr_dispatch_ptr 0
		.amdhsa_user_sgpr_queue_ptr 0
		.amdhsa_user_sgpr_kernarg_segment_ptr 1
		.amdhsa_user_sgpr_dispatch_id 0
		.amdhsa_user_sgpr_private_segment_size 0
		.amdhsa_wavefront_size32 1
		.amdhsa_uses_dynamic_stack 0
		.amdhsa_enable_private_segment 1
		.amdhsa_system_sgpr_workgroup_id_x 1
		.amdhsa_system_sgpr_workgroup_id_y 0
		.amdhsa_system_sgpr_workgroup_id_z 1
		.amdhsa_system_sgpr_workgroup_info 0
		.amdhsa_system_vgpr_workitem_id 0
		.amdhsa_next_free_vgpr 241
		.amdhsa_next_free_sgpr 46
		.amdhsa_reserve_vcc 1
		.amdhsa_float_round_mode_32 0
		.amdhsa_float_round_mode_16_64 0
		.amdhsa_float_denorm_mode_32 3
		.amdhsa_float_denorm_mode_16_64 3
		.amdhsa_fp16_overflow 0
		.amdhsa_workgroup_processor_mode 1
		.amdhsa_memory_ordered 1
		.amdhsa_forward_progress 1
		.amdhsa_inst_pref_size 25
		.amdhsa_round_robin_scheduling 0
		.amdhsa_exception_fp_ieee_invalid_op 0
		.amdhsa_exception_fp_denorm_src 0
		.amdhsa_exception_fp_ieee_div_zero 0
		.amdhsa_exception_fp_ieee_overflow 0
		.amdhsa_exception_fp_ieee_underflow 0
		.amdhsa_exception_fp_ieee_inexact 0
		.amdhsa_exception_int_div_zero 0
	.end_amdhsa_kernel
	.section	.text._ZL30rocblas_trsm_small_left_deviceILi28ELi28ELb1E19rocblas_complex_numIdES1_PKPKS1_PKPS1_Ev13rocblas_fill_18rocblas_operation_17rocblas_diagonal_iiT3_T4_lilT5_lili,"axG",@progbits,_ZL30rocblas_trsm_small_left_deviceILi28ELi28ELb1E19rocblas_complex_numIdES1_PKPKS1_PKPS1_Ev13rocblas_fill_18rocblas_operation_17rocblas_diagonal_iiT3_T4_lilT5_lili,comdat
.Lfunc_end232:
	.size	_ZL30rocblas_trsm_small_left_deviceILi28ELi28ELb1E19rocblas_complex_numIdES1_PKPKS1_PKPS1_Ev13rocblas_fill_18rocblas_operation_17rocblas_diagonal_iiT3_T4_lilT5_lili, .Lfunc_end232-_ZL30rocblas_trsm_small_left_deviceILi28ELi28ELb1E19rocblas_complex_numIdES1_PKPKS1_PKPS1_Ev13rocblas_fill_18rocblas_operation_17rocblas_diagonal_iiT3_T4_lilT5_lili
                                        ; -- End function
	.set _ZL30rocblas_trsm_small_left_deviceILi28ELi28ELb1E19rocblas_complex_numIdES1_PKPKS1_PKPS1_Ev13rocblas_fill_18rocblas_operation_17rocblas_diagonal_iiT3_T4_lilT5_lili.num_vgpr, 29
	.set _ZL30rocblas_trsm_small_left_deviceILi28ELi28ELb1E19rocblas_complex_numIdES1_PKPKS1_PKPS1_Ev13rocblas_fill_18rocblas_operation_17rocblas_diagonal_iiT3_T4_lilT5_lili.num_agpr, 0
	.set _ZL30rocblas_trsm_small_left_deviceILi28ELi28ELb1E19rocblas_complex_numIdES1_PKPKS1_PKPS1_Ev13rocblas_fill_18rocblas_operation_17rocblas_diagonal_iiT3_T4_lilT5_lili.numbered_sgpr, 46
	.set _ZL30rocblas_trsm_small_left_deviceILi28ELi28ELb1E19rocblas_complex_numIdES1_PKPKS1_PKPS1_Ev13rocblas_fill_18rocblas_operation_17rocblas_diagonal_iiT3_T4_lilT5_lili.num_named_barrier, 0
	.set _ZL30rocblas_trsm_small_left_deviceILi28ELi28ELb1E19rocblas_complex_numIdES1_PKPKS1_PKPS1_Ev13rocblas_fill_18rocblas_operation_17rocblas_diagonal_iiT3_T4_lilT5_lili.private_seg_size, 464
	.set _ZL30rocblas_trsm_small_left_deviceILi28ELi28ELb1E19rocblas_complex_numIdES1_PKPKS1_PKPS1_Ev13rocblas_fill_18rocblas_operation_17rocblas_diagonal_iiT3_T4_lilT5_lili.uses_vcc, 1
	.set _ZL30rocblas_trsm_small_left_deviceILi28ELi28ELb1E19rocblas_complex_numIdES1_PKPKS1_PKPS1_Ev13rocblas_fill_18rocblas_operation_17rocblas_diagonal_iiT3_T4_lilT5_lili.uses_flat_scratch, 0
	.set _ZL30rocblas_trsm_small_left_deviceILi28ELi28ELb1E19rocblas_complex_numIdES1_PKPKS1_PKPS1_Ev13rocblas_fill_18rocblas_operation_17rocblas_diagonal_iiT3_T4_lilT5_lili.has_dyn_sized_stack, 0
	.set _ZL30rocblas_trsm_small_left_deviceILi28ELi28ELb1E19rocblas_complex_numIdES1_PKPKS1_PKPS1_Ev13rocblas_fill_18rocblas_operation_17rocblas_diagonal_iiT3_T4_lilT5_lili.has_recursion, 0
	.set _ZL30rocblas_trsm_small_left_deviceILi28ELi28ELb1E19rocblas_complex_numIdES1_PKPKS1_PKPS1_Ev13rocblas_fill_18rocblas_operation_17rocblas_diagonal_iiT3_T4_lilT5_lili.has_indirect_call, 0
	.section	.AMDGPU.csdata,"",@progbits
; Kernel info:
; codeLenInByte = 3144
; TotalNumSgprs: 48
; NumVgprs: 29
; ScratchSize: 464
; MemoryBound: 0
; FloatMode: 240
; IeeeMode: 1
; LDSByteSize: 12544 bytes/workgroup (compile time only)
; SGPRBlocks: 0
; VGPRBlocks: 30
; NumSGPRsForWavesPerEU: 48
; NumVGPRsForWavesPerEU: 241
; Occupancy: 3
; WaveLimiterHint : 1
; COMPUTE_PGM_RSRC2:SCRATCH_EN: 1
; COMPUTE_PGM_RSRC2:USER_SGPR: 2
; COMPUTE_PGM_RSRC2:TRAP_HANDLER: 0
; COMPUTE_PGM_RSRC2:TGID_X_EN: 1
; COMPUTE_PGM_RSRC2:TGID_Y_EN: 0
; COMPUTE_PGM_RSRC2:TGID_Z_EN: 1
; COMPUTE_PGM_RSRC2:TIDIG_COMP_CNT: 0
	.section	.text._ZL31rocblas_trsm_small_right_deviceI19rocblas_complex_numIdES1_PKPKS1_PKPS1_Li28EEv13rocblas_fill_18rocblas_operation_17rocblas_diagonal_iiT0_T1_lilT2_lili,"axG",@progbits,_ZL31rocblas_trsm_small_right_deviceI19rocblas_complex_numIdES1_PKPKS1_PKPS1_Li28EEv13rocblas_fill_18rocblas_operation_17rocblas_diagonal_iiT0_T1_lilT2_lili,comdat
	.globl	_ZL31rocblas_trsm_small_right_deviceI19rocblas_complex_numIdES1_PKPKS1_PKPS1_Li28EEv13rocblas_fill_18rocblas_operation_17rocblas_diagonal_iiT0_T1_lilT2_lili ; -- Begin function _ZL31rocblas_trsm_small_right_deviceI19rocblas_complex_numIdES1_PKPKS1_PKPS1_Li28EEv13rocblas_fill_18rocblas_operation_17rocblas_diagonal_iiT0_T1_lilT2_lili
	.p2align	8
	.type	_ZL31rocblas_trsm_small_right_deviceI19rocblas_complex_numIdES1_PKPKS1_PKPS1_Li28EEv13rocblas_fill_18rocblas_operation_17rocblas_diagonal_iiT0_T1_lilT2_lili,@function
_ZL31rocblas_trsm_small_right_deviceI19rocblas_complex_numIdES1_PKPKS1_PKPS1_Li28EEv13rocblas_fill_18rocblas_operation_17rocblas_diagonal_iiT0_T1_lilT2_lili: ; @_ZL31rocblas_trsm_small_right_deviceI19rocblas_complex_numIdES1_PKPKS1_PKPS1_Li28EEv13rocblas_fill_18rocblas_operation_17rocblas_diagonal_iiT0_T1_lilT2_lili
; %bb.0:
	s_load_b32 s24, s[0:1], 0x68
	s_lshr_b32 s2, ttmp7, 16
	s_wait_kmcnt 0x0
	s_cmp_ge_u32 s2, s24
	s_cbranch_scc1 .LBB233_146
; %bb.1:
	s_clause 0x6
	s_load_b32 s20, s[0:1], 0x38
	s_load_b32 s34, s[0:1], 0x58
	s_load_b128 s[16:19], s[0:1], 0x0
	s_load_b32 s25, s[0:1], 0x10
	s_load_b32 s3, s[0:1], 0x70
	s_load_b128 s[12:15], s[0:1], 0x48
	s_load_b256 s[4:11], s[0:1], 0x18
	s_mul_i32 s1, ttmp9, 0xffffffe4
	v_dual_mov_b32 v1, 0 :: v_dual_lshlrev_b32 v32, 4, v0
	s_mov_b32 s22, ttmp9
	v_mul_u32_u24_e32 v2, 0x1c0, v0
	s_delay_alu instid0(VALU_DEP_2) | instskip(NEXT) | instid1(VALU_DEP_2)
	v_add_nc_u32_e32 v27, 0x3100, v32
	v_dual_mov_b32 v2, 0x3ff00000 :: v_dual_add_nc_u32 v39, v32, v2
	s_wait_kmcnt 0x0
	s_ashr_i32 s21, s20, 31
	s_ashr_i32 s35, s34, 31
	s_cmp_lg_u32 s16, 0x7a
	s_cselect_b32 s29, -1, 0
	s_cmp_eq_u32 s17, 0x71
	s_cselect_b32 s0, -1, 0
	s_min_i32 s26, s25, 28
	s_add_co_i32 s3, s3, -1
	s_add_co_i32 s1, s19, s1
	s_add_co_i32 s27, s26, -1
	s_cmp_ge_u32 ttmp9, s3
	s_mul_i32 s33, s26, 0x1c0
	s_cselect_b32 s19, s1, 28
	s_ashr_i32 s23, ttmp9, 31
	s_cmp_eq_u32 s18, 0x84
	v_cmp_gt_i32_e32 vcc_lo, s19, v0
	s_cselect_b32 s28, -1, 0
	s_cmp_gt_i32 s25, 0
	v_cmp_gt_i32_e64 s1, s26, v0
	s_cselect_b32 s18, -1, 0
	s_cmp_lg_u32 s17, 0x6f
	v_add3_u32 v38, s33, v32, 0x2f40
	s_cselect_b32 s17, -1, 0
	s_cmp_lg_u32 s16, 0x79
	v_lshlrev_b32_e32 v0, 4, v0
	s_cselect_b32 s16, -1, 0
	s_or_b32 s29, s29, s17
	s_or_b32 s30, s16, s17
	s_cmp_gt_i32 s25, 3
	v_cndmask_b32_e64 v33, 0, 1, s16
	s_mul_u64 s[16:17], s[22:23], 0x1c0
	s_cselect_b32 s22, -1, 0
	s_wait_alu 0xfffe
	s_and_b32 s23, vcc_lo, s18
	s_lshl_b64 s[18:19], s[10:11], 4
	s_lshl_b64 s[10:11], s[14:15], 4
	s_wait_alu 0xfffe
	v_add_co_u32 v3, s14, s18, v32
	s_delay_alu instid0(VALU_DEP_1)
	v_add_co_ci_u32_e64 v34, null, s19, 0, s14
	s_add_nc_u64 s[18:19], s[16:17], s[10:11]
	v_or_b32_e32 v35, 8, v3
	s_wait_alu 0xfffe
	v_add_co_u32 v4, s18, s18, v32
	s_wait_alu 0xf1ff
	v_add_co_ci_u32_e64 v36, null, s19, 0, s18
	s_lshl_b64 s[18:19], s[34:35], 4
	v_or_b32_e32 v37, 8, v4
	s_mul_i32 s34, s26, 0x1d0
	s_lshl_b32 s35, s26, 4
	s_mov_b32 s3, 0
	s_lshl_b64 s[14:15], s[20:21], 4
	s_add_co_i32 s31, s34, 0xfffffe00
	s_addk_co_i32 s33, 0xfe40
	s_addk_co_i32 s34, 0xf8f0
	s_add_co_i32 s35, s35, -16
	s_branch .LBB233_3
.LBB233_2:                              ;   in Loop: Header=BB233_3 Depth=1
	s_wait_alu 0xfffe
	s_or_b32 exec_lo, exec_lo, s20
	s_add_co_i32 s2, s2, 0x10000
	s_delay_alu instid0(SALU_CYCLE_1)
	s_cmp_lt_u32 s2, s24
	s_cbranch_scc0 .LBB233_146
.LBB233_3:                              ; =>This Loop Header: Depth=1
                                        ;     Child Loop BB233_5 Depth 2
                                        ;     Child Loop BB233_10 Depth 2
	;; [unrolled: 1-line block ×3, first 2 shown]
                                        ;       Child Loop BB233_17 Depth 3
                                        ;     Child Loop BB233_39 Depth 2
                                        ;       Child Loop BB233_40 Depth 3
                                        ;     Child Loop BB233_48 Depth 2
	;; [unrolled: 2-line block ×8, first 2 shown]
	s_lshl_b64 s[20:21], s[2:3], 3
	s_wait_alu 0xfffe
	s_add_nc_u64 s[36:37], s[12:13], s[20:21]
	global_load_b64 v[28:29], v1, s[36:37]
	s_and_saveexec_b32 s36, s1
	s_cbranch_execz .LBB233_8
; %bb.4:                                ;   in Loop: Header=BB233_3 Depth=1
	s_add_nc_u64 s[20:21], s[8:9], s[20:21]
	v_mov_b32_e32 v5, v32
	global_load_b64 v[3:4], v1, s[20:21]
	s_mov_b32 s20, s26
	s_wait_loadcnt 0x0
	v_add_co_u32 v3, vcc_lo, v3, v35
	s_wait_alu 0xfffd
	v_add_co_ci_u32_e64 v4, null, v4, v34, vcc_lo
.LBB233_5:                              ;   Parent Loop BB233_3 Depth=1
                                        ; =>  This Inner Loop Header: Depth=2
	flat_load_b128 v[6:9], v[3:4] offset:-8
	s_wait_alu 0xfffe
	v_add_co_u32 v3, vcc_lo, v3, s14
	s_wait_alu 0xfffd
	v_add_co_ci_u32_e64 v4, null, s15, v4, vcc_lo
	s_add_co_i32 s20, s20, -1
	s_wait_alu 0xfffe
	s_cmp_eq_u32 s20, 0
	s_wait_loadcnt_dscnt 0x0
	v_xor_b32_e32 v10, 0x80000000, v9
	s_delay_alu instid0(VALU_DEP_1)
	v_cndmask_b32_e64 v9, v9, v10, s0
	ds_store_b128 v5, v[6:9]
	v_add_nc_u32_e32 v5, 0x1c0, v5
	s_cbranch_scc0 .LBB233_5
; %bb.6:                                ;   in Loop: Header=BB233_3 Depth=1
	s_and_b32 vcc_lo, exec_lo, s28
	s_wait_alu 0xfffe
	s_cbranch_vccz .LBB233_8
; %bb.7:                                ;   in Loop: Header=BB233_3 Depth=1
	v_dual_mov_b32 v3, v1 :: v_dual_mov_b32 v4, v1
	ds_store_b128 v39, v[1:4]
.LBB233_8:                              ;   in Loop: Header=BB233_3 Depth=1
	s_wait_alu 0xfffe
	s_or_b32 exec_lo, exec_lo, s36
	s_and_saveexec_b32 s20, s23
	s_cbranch_execz .LBB233_11
; %bb.9:                                ;   in Loop: Header=BB233_3 Depth=1
	s_wait_loadcnt 0x0
	v_add_co_u32 v3, vcc_lo, v28, v37
	s_wait_alu 0xfffd
	v_add_co_ci_u32_e64 v4, null, v29, v36, vcc_lo
	v_mov_b32_e32 v5, v27
	s_mov_b32 s21, s25
.LBB233_10:                             ;   Parent Loop BB233_3 Depth=1
                                        ; =>  This Inner Loop Header: Depth=2
	flat_load_b128 v[6:9], v[3:4] offset:-8
	s_wait_alu 0xfffe
	v_add_co_u32 v3, vcc_lo, v3, s18
	s_wait_alu 0xfffd
	v_add_co_ci_u32_e64 v4, null, s19, v4, vcc_lo
	s_add_co_i32 s21, s21, -1
	s_wait_alu 0xfffe
	s_cmp_lg_u32 s21, 0
	s_wait_loadcnt_dscnt 0x0
	v_mul_f64_e32 v[10:11], s[6:7], v[8:9]
	v_mul_f64_e32 v[12:13], s[4:5], v[8:9]
	s_delay_alu instid0(VALU_DEP_2) | instskip(NEXT) | instid1(VALU_DEP_2)
	v_fma_f64 v[8:9], s[4:5], v[6:7], -v[10:11]
	v_fma_f64 v[10:11], s[6:7], v[6:7], v[12:13]
	ds_store_b128 v5, v[8:11]
	v_add_nc_u32_e32 v5, 0x1c0, v5
	s_cbranch_scc1 .LBB233_10
.LBB233_11:                             ;   in Loop: Header=BB233_3 Depth=1
	s_wait_alu 0xfffe
	s_or_b32 exec_lo, exec_lo, s20
	s_delay_alu instid0(SALU_CYCLE_1)
	s_and_b32 vcc_lo, exec_lo, s30
	s_mov_b32 s20, -1
	; wave barrier
	s_wait_loadcnt_dscnt 0x0
	global_inv scope:SCOPE_SE
	s_wait_alu 0xfffe
	s_cbranch_vccz .LBB233_111
; %bb.12:                               ;   in Loop: Header=BB233_3 Depth=1
	s_and_b32 vcc_lo, exec_lo, s29
	s_wait_alu 0xfffe
	s_cbranch_vccz .LBB233_79
; %bb.13:                               ;   in Loop: Header=BB233_3 Depth=1
	v_cmp_ne_u32_e32 vcc_lo, 1, v33
	s_cbranch_vccnz .LBB233_46
; %bb.14:                               ;   in Loop: Header=BB233_3 Depth=1
	s_and_not1_b32 vcc_lo, exec_lo, s22
	s_mov_b32 s36, 0
	s_wait_alu 0xfffe
	s_cbranch_vccnz .LBB233_36
; %bb.15:                               ;   in Loop: Header=BB233_3 Depth=1
	s_mov_b32 s20, 0
	s_mov_b32 s21, 0
.LBB233_16:                             ;   Parent Loop BB233_3 Depth=1
                                        ; =>  This Loop Header: Depth=2
                                        ;       Child Loop BB233_17 Depth 3
	s_wait_alu 0xfffe
	v_mad_co_u64_u32 v[30:31], null, 0x1c0, s21, v[27:28]
	s_or_b32 s36, s21, 3
	v_mov_b32_e32 v11, v27
	s_wait_alu 0xfffe
	s_mulk_i32 s36, 0x1c0
	s_cmp_eq_u32 s21, 0
	s_wait_alu 0xfffe
	v_add_nc_u32_e32 v31, s36, v27
	s_mov_b32 s36, s20
	ds_load_b128 v[19:22], v30
	ds_load_b128 v[15:18], v30 offset:448
	ds_load_b128 v[7:10], v30 offset:896
	ds_load_b128 v[3:6], v31
	s_mov_b32 s37, s21
	s_cbranch_scc1 .LBB233_18
.LBB233_17:                             ;   Parent Loop BB233_3 Depth=1
                                        ;     Parent Loop BB233_16 Depth=2
                                        ; =>    This Inner Loop Header: Depth=3
	s_wait_alu 0xfffe
	v_mov_b32_e32 v12, s36
	s_add_co_i32 s37, s37, -1
	s_addk_co_i32 s36, 0x1c0
	s_wait_alu 0xfffe
	s_cmp_eq_u32 s37, 0
	ds_load_b128 v[23:26], v11
	ds_load_b128 v[40:43], v12
	ds_load_b128 v[44:47], v12 offset:16
	ds_load_b128 v[48:51], v12 offset:32
	;; [unrolled: 1-line block ×3, first 2 shown]
	v_add_nc_u32_e32 v11, 0x1c0, v11
	s_wait_dscnt 0x3
	v_mul_f64_e32 v[12:13], v[25:26], v[42:43]
	v_mul_f64_e32 v[42:43], v[23:24], v[42:43]
	s_wait_dscnt 0x2
	v_mul_f64_e32 v[56:57], v[25:26], v[46:47]
	v_mul_f64_e32 v[46:47], v[23:24], v[46:47]
	;; [unrolled: 3-line block ×4, first 2 shown]
	v_fma_f64 v[12:13], v[23:24], v[40:41], -v[12:13]
	v_fma_f64 v[40:41], v[25:26], v[40:41], v[42:43]
	v_fma_f64 v[42:43], v[23:24], v[44:45], -v[56:57]
	v_fma_f64 v[44:45], v[25:26], v[44:45], v[46:47]
	;; [unrolled: 2-line block ×4, first 2 shown]
	v_add_f64_e64 v[19:20], v[19:20], -v[12:13]
	v_add_f64_e64 v[21:22], v[21:22], -v[40:41]
	;; [unrolled: 1-line block ×8, first 2 shown]
	s_cbranch_scc0 .LBB233_17
.LBB233_18:                             ;   in Loop: Header=BB233_16 Depth=2
	s_lshl_b32 s36, s21, 4
	s_mul_i32 s37, s21, 0x1c0
	s_wait_alu 0xfffe
	s_add_co_i32 s37, s36, s37
	s_wait_alu 0xfffe
	v_mov_b32_e32 v11, s37
	ds_load_b128 v[23:26], v11
                                        ; implicit-def: $vgpr13_vgpr14
	s_wait_dscnt 0x0
	v_cmp_ngt_f64_e64 s38, |v[23:24]|, |v[25:26]|
	s_and_b32 vcc_lo, exec_lo, s38
	s_mov_b32 s38, -1
	s_wait_alu 0xfffe
	s_cbranch_vccz .LBB233_20
; %bb.19:                               ;   in Loop: Header=BB233_16 Depth=2
	v_div_scale_f64 v[11:12], null, v[25:26], v[25:26], v[23:24]
	v_div_scale_f64 v[42:43], vcc_lo, v[23:24], v[25:26], v[23:24]
	s_mov_b32 s38, 0
	v_rcp_f64_e32 v[13:14], v[11:12]
	s_delay_alu instid0(TRANS32_DEP_1) | instskip(NEXT) | instid1(VALU_DEP_1)
	v_fma_f64 v[40:41], -v[11:12], v[13:14], 1.0
	v_fma_f64 v[13:14], v[13:14], v[40:41], v[13:14]
	s_delay_alu instid0(VALU_DEP_1) | instskip(NEXT) | instid1(VALU_DEP_1)
	v_fma_f64 v[40:41], -v[11:12], v[13:14], 1.0
	v_fma_f64 v[13:14], v[13:14], v[40:41], v[13:14]
	s_delay_alu instid0(VALU_DEP_1) | instskip(NEXT) | instid1(VALU_DEP_1)
	v_mul_f64_e32 v[40:41], v[42:43], v[13:14]
	v_fma_f64 v[11:12], -v[11:12], v[40:41], v[42:43]
	s_wait_alu 0xfffd
	s_delay_alu instid0(VALU_DEP_1) | instskip(NEXT) | instid1(VALU_DEP_1)
	v_div_fmas_f64 v[11:12], v[11:12], v[13:14], v[40:41]
	v_div_fixup_f64 v[11:12], v[11:12], v[25:26], v[23:24]
	s_delay_alu instid0(VALU_DEP_1) | instskip(NEXT) | instid1(VALU_DEP_1)
	v_fma_f64 v[13:14], v[23:24], v[11:12], v[25:26]
	v_div_scale_f64 v[40:41], null, v[13:14], v[13:14], 1.0
	v_div_scale_f64 v[46:47], vcc_lo, 1.0, v[13:14], 1.0
	s_delay_alu instid0(VALU_DEP_2) | instskip(NEXT) | instid1(TRANS32_DEP_1)
	v_rcp_f64_e32 v[42:43], v[40:41]
	v_fma_f64 v[44:45], -v[40:41], v[42:43], 1.0
	s_delay_alu instid0(VALU_DEP_1) | instskip(NEXT) | instid1(VALU_DEP_1)
	v_fma_f64 v[42:43], v[42:43], v[44:45], v[42:43]
	v_fma_f64 v[44:45], -v[40:41], v[42:43], 1.0
	s_delay_alu instid0(VALU_DEP_1) | instskip(NEXT) | instid1(VALU_DEP_1)
	v_fma_f64 v[42:43], v[42:43], v[44:45], v[42:43]
	v_mul_f64_e32 v[44:45], v[46:47], v[42:43]
	s_delay_alu instid0(VALU_DEP_1) | instskip(SKIP_1) | instid1(VALU_DEP_1)
	v_fma_f64 v[40:41], -v[40:41], v[44:45], v[46:47]
	s_wait_alu 0xfffd
	v_div_fmas_f64 v[40:41], v[40:41], v[42:43], v[44:45]
	v_fma_f64 v[42:43], v[19:20], v[11:12], v[21:22]
	s_delay_alu instid0(VALU_DEP_2) | instskip(SKIP_1) | instid1(VALU_DEP_2)
	v_div_fixup_f64 v[13:14], v[40:41], v[13:14], 1.0
	v_fma_f64 v[40:41], v[21:22], v[11:12], -v[19:20]
	v_mul_f64_e32 v[11:12], v[42:43], v[13:14]
	s_delay_alu instid0(VALU_DEP_2)
	v_mul_f64_e32 v[13:14], v[40:41], v[13:14]
.LBB233_20:                             ;   in Loop: Header=BB233_16 Depth=2
	s_wait_alu 0xfffe
	s_and_not1_b32 vcc_lo, exec_lo, s38
	s_wait_alu 0xfffe
	s_cbranch_vccnz .LBB233_22
; %bb.21:                               ;   in Loop: Header=BB233_16 Depth=2
	v_div_scale_f64 v[11:12], null, v[23:24], v[23:24], v[25:26]
	v_div_scale_f64 v[42:43], vcc_lo, v[25:26], v[23:24], v[25:26]
	s_delay_alu instid0(VALU_DEP_2) | instskip(NEXT) | instid1(TRANS32_DEP_1)
	v_rcp_f64_e32 v[13:14], v[11:12]
	v_fma_f64 v[40:41], -v[11:12], v[13:14], 1.0
	s_delay_alu instid0(VALU_DEP_1) | instskip(NEXT) | instid1(VALU_DEP_1)
	v_fma_f64 v[13:14], v[13:14], v[40:41], v[13:14]
	v_fma_f64 v[40:41], -v[11:12], v[13:14], 1.0
	s_delay_alu instid0(VALU_DEP_1) | instskip(NEXT) | instid1(VALU_DEP_1)
	v_fma_f64 v[13:14], v[13:14], v[40:41], v[13:14]
	v_mul_f64_e32 v[40:41], v[42:43], v[13:14]
	s_delay_alu instid0(VALU_DEP_1) | instskip(SKIP_1) | instid1(VALU_DEP_1)
	v_fma_f64 v[11:12], -v[11:12], v[40:41], v[42:43]
	s_wait_alu 0xfffd
	v_div_fmas_f64 v[11:12], v[11:12], v[13:14], v[40:41]
	s_delay_alu instid0(VALU_DEP_1) | instskip(NEXT) | instid1(VALU_DEP_1)
	v_div_fixup_f64 v[11:12], v[11:12], v[23:24], v[25:26]
	v_fma_f64 v[13:14], v[25:26], v[11:12], v[23:24]
	s_delay_alu instid0(VALU_DEP_1) | instskip(SKIP_1) | instid1(VALU_DEP_2)
	v_div_scale_f64 v[23:24], null, v[13:14], v[13:14], 1.0
	v_div_scale_f64 v[42:43], vcc_lo, 1.0, v[13:14], 1.0
	v_rcp_f64_e32 v[25:26], v[23:24]
	s_delay_alu instid0(TRANS32_DEP_1) | instskip(NEXT) | instid1(VALU_DEP_1)
	v_fma_f64 v[40:41], -v[23:24], v[25:26], 1.0
	v_fma_f64 v[25:26], v[25:26], v[40:41], v[25:26]
	s_delay_alu instid0(VALU_DEP_1) | instskip(NEXT) | instid1(VALU_DEP_1)
	v_fma_f64 v[40:41], -v[23:24], v[25:26], 1.0
	v_fma_f64 v[25:26], v[25:26], v[40:41], v[25:26]
	s_delay_alu instid0(VALU_DEP_1) | instskip(NEXT) | instid1(VALU_DEP_1)
	v_mul_f64_e32 v[40:41], v[42:43], v[25:26]
	v_fma_f64 v[23:24], -v[23:24], v[40:41], v[42:43]
	s_wait_alu 0xfffd
	s_delay_alu instid0(VALU_DEP_1) | instskip(SKIP_2) | instid1(VALU_DEP_3)
	v_div_fmas_f64 v[23:24], v[23:24], v[25:26], v[40:41]
	v_fma_f64 v[25:26], v[21:22], v[11:12], v[19:20]
	v_fma_f64 v[19:20], -v[19:20], v[11:12], v[21:22]
	v_div_fixup_f64 v[13:14], v[23:24], v[13:14], 1.0
	s_delay_alu instid0(VALU_DEP_1) | instskip(NEXT) | instid1(VALU_DEP_3)
	v_mul_f64_e32 v[11:12], v[25:26], v[13:14]
	v_mul_f64_e32 v[13:14], v[19:20], v[13:14]
.LBB233_22:                             ;   in Loop: Header=BB233_16 Depth=2
	v_mov_b32_e32 v19, s37
	ds_load_b128 v[23:26], v19 offset:16
	ds_load_b128 v[19:22], v19 offset:464
	ds_store_b128 v30, v[11:14]
	s_wait_dscnt 0x2
	v_mul_f64_e32 v[40:41], v[13:14], v[25:26]
	v_mul_f64_e32 v[25:26], v[11:12], v[25:26]
	s_wait_dscnt 0x1
	v_cmp_ngt_f64_e64 s38, |v[19:20]|, |v[21:22]|
	s_delay_alu instid0(VALU_DEP_3) | instskip(NEXT) | instid1(VALU_DEP_3)
	v_fma_f64 v[40:41], v[11:12], v[23:24], -v[40:41]
	v_fma_f64 v[25:26], v[13:14], v[23:24], v[25:26]
	s_and_b32 vcc_lo, exec_lo, s38
	s_mov_b32 s38, -1
	s_delay_alu instid0(VALU_DEP_2) | instskip(NEXT) | instid1(VALU_DEP_2)
	v_add_f64_e64 v[23:24], v[15:16], -v[40:41]
	v_add_f64_e64 v[25:26], v[17:18], -v[25:26]
                                        ; implicit-def: $vgpr17_vgpr18
	s_wait_alu 0xfffe
	s_cbranch_vccz .LBB233_24
; %bb.23:                               ;   in Loop: Header=BB233_16 Depth=2
	v_div_scale_f64 v[15:16], null, v[21:22], v[21:22], v[19:20]
	v_div_scale_f64 v[42:43], vcc_lo, v[19:20], v[21:22], v[19:20]
	s_mov_b32 s38, 0
	v_rcp_f64_e32 v[17:18], v[15:16]
	s_delay_alu instid0(TRANS32_DEP_1) | instskip(NEXT) | instid1(VALU_DEP_1)
	v_fma_f64 v[40:41], -v[15:16], v[17:18], 1.0
	v_fma_f64 v[17:18], v[17:18], v[40:41], v[17:18]
	s_delay_alu instid0(VALU_DEP_1) | instskip(NEXT) | instid1(VALU_DEP_1)
	v_fma_f64 v[40:41], -v[15:16], v[17:18], 1.0
	v_fma_f64 v[17:18], v[17:18], v[40:41], v[17:18]
	s_delay_alu instid0(VALU_DEP_1) | instskip(NEXT) | instid1(VALU_DEP_1)
	v_mul_f64_e32 v[40:41], v[42:43], v[17:18]
	v_fma_f64 v[15:16], -v[15:16], v[40:41], v[42:43]
	s_wait_alu 0xfffd
	s_delay_alu instid0(VALU_DEP_1) | instskip(NEXT) | instid1(VALU_DEP_1)
	v_div_fmas_f64 v[15:16], v[15:16], v[17:18], v[40:41]
	v_div_fixup_f64 v[15:16], v[15:16], v[21:22], v[19:20]
	s_delay_alu instid0(VALU_DEP_1) | instskip(NEXT) | instid1(VALU_DEP_1)
	v_fma_f64 v[17:18], v[19:20], v[15:16], v[21:22]
	v_div_scale_f64 v[40:41], null, v[17:18], v[17:18], 1.0
	v_div_scale_f64 v[46:47], vcc_lo, 1.0, v[17:18], 1.0
	s_delay_alu instid0(VALU_DEP_2) | instskip(NEXT) | instid1(TRANS32_DEP_1)
	v_rcp_f64_e32 v[42:43], v[40:41]
	v_fma_f64 v[44:45], -v[40:41], v[42:43], 1.0
	s_delay_alu instid0(VALU_DEP_1) | instskip(NEXT) | instid1(VALU_DEP_1)
	v_fma_f64 v[42:43], v[42:43], v[44:45], v[42:43]
	v_fma_f64 v[44:45], -v[40:41], v[42:43], 1.0
	s_delay_alu instid0(VALU_DEP_1) | instskip(NEXT) | instid1(VALU_DEP_1)
	v_fma_f64 v[42:43], v[42:43], v[44:45], v[42:43]
	v_mul_f64_e32 v[44:45], v[46:47], v[42:43]
	s_delay_alu instid0(VALU_DEP_1) | instskip(SKIP_1) | instid1(VALU_DEP_1)
	v_fma_f64 v[40:41], -v[40:41], v[44:45], v[46:47]
	s_wait_alu 0xfffd
	v_div_fmas_f64 v[40:41], v[40:41], v[42:43], v[44:45]
	v_fma_f64 v[42:43], v[15:16], v[23:24], v[25:26]
	s_delay_alu instid0(VALU_DEP_2) | instskip(SKIP_1) | instid1(VALU_DEP_2)
	v_div_fixup_f64 v[17:18], v[40:41], v[17:18], 1.0
	v_fma_f64 v[40:41], v[15:16], v[25:26], -v[23:24]
	v_mul_f64_e32 v[15:16], v[42:43], v[17:18]
	s_delay_alu instid0(VALU_DEP_2)
	v_mul_f64_e32 v[17:18], v[40:41], v[17:18]
.LBB233_24:                             ;   in Loop: Header=BB233_16 Depth=2
	s_wait_alu 0xfffe
	s_and_not1_b32 vcc_lo, exec_lo, s38
	s_wait_alu 0xfffe
	s_cbranch_vccnz .LBB233_26
; %bb.25:                               ;   in Loop: Header=BB233_16 Depth=2
	v_div_scale_f64 v[15:16], null, v[19:20], v[19:20], v[21:22]
	v_div_scale_f64 v[42:43], vcc_lo, v[21:22], v[19:20], v[21:22]
	s_delay_alu instid0(VALU_DEP_2) | instskip(NEXT) | instid1(TRANS32_DEP_1)
	v_rcp_f64_e32 v[17:18], v[15:16]
	v_fma_f64 v[40:41], -v[15:16], v[17:18], 1.0
	s_delay_alu instid0(VALU_DEP_1) | instskip(NEXT) | instid1(VALU_DEP_1)
	v_fma_f64 v[17:18], v[17:18], v[40:41], v[17:18]
	v_fma_f64 v[40:41], -v[15:16], v[17:18], 1.0
	s_delay_alu instid0(VALU_DEP_1) | instskip(NEXT) | instid1(VALU_DEP_1)
	v_fma_f64 v[17:18], v[17:18], v[40:41], v[17:18]
	v_mul_f64_e32 v[40:41], v[42:43], v[17:18]
	s_delay_alu instid0(VALU_DEP_1) | instskip(SKIP_1) | instid1(VALU_DEP_1)
	v_fma_f64 v[15:16], -v[15:16], v[40:41], v[42:43]
	s_wait_alu 0xfffd
	v_div_fmas_f64 v[15:16], v[15:16], v[17:18], v[40:41]
	s_delay_alu instid0(VALU_DEP_1) | instskip(NEXT) | instid1(VALU_DEP_1)
	v_div_fixup_f64 v[15:16], v[15:16], v[19:20], v[21:22]
	v_fma_f64 v[17:18], v[21:22], v[15:16], v[19:20]
	s_delay_alu instid0(VALU_DEP_1) | instskip(SKIP_1) | instid1(VALU_DEP_2)
	v_div_scale_f64 v[19:20], null, v[17:18], v[17:18], 1.0
	v_div_scale_f64 v[42:43], vcc_lo, 1.0, v[17:18], 1.0
	v_rcp_f64_e32 v[21:22], v[19:20]
	s_delay_alu instid0(TRANS32_DEP_1) | instskip(NEXT) | instid1(VALU_DEP_1)
	v_fma_f64 v[40:41], -v[19:20], v[21:22], 1.0
	v_fma_f64 v[21:22], v[21:22], v[40:41], v[21:22]
	s_delay_alu instid0(VALU_DEP_1) | instskip(NEXT) | instid1(VALU_DEP_1)
	v_fma_f64 v[40:41], -v[19:20], v[21:22], 1.0
	v_fma_f64 v[21:22], v[21:22], v[40:41], v[21:22]
	s_delay_alu instid0(VALU_DEP_1) | instskip(NEXT) | instid1(VALU_DEP_1)
	v_mul_f64_e32 v[40:41], v[42:43], v[21:22]
	v_fma_f64 v[19:20], -v[19:20], v[40:41], v[42:43]
	s_wait_alu 0xfffd
	s_delay_alu instid0(VALU_DEP_1) | instskip(SKIP_1) | instid1(VALU_DEP_2)
	v_div_fmas_f64 v[19:20], v[19:20], v[21:22], v[40:41]
	v_fma_f64 v[21:22], v[15:16], v[25:26], v[23:24]
	v_div_fixup_f64 v[17:18], v[19:20], v[17:18], 1.0
	v_fma_f64 v[19:20], -v[15:16], v[23:24], v[25:26]
	s_delay_alu instid0(VALU_DEP_2) | instskip(NEXT) | instid1(VALU_DEP_2)
	v_mul_f64_e32 v[15:16], v[21:22], v[17:18]
	v_mul_f64_e32 v[17:18], v[19:20], v[17:18]
.LBB233_26:                             ;   in Loop: Header=BB233_16 Depth=2
	s_add_co_i32 s38, s37, 0x1d0
	s_or_b32 s39, s36, 16
	s_wait_alu 0xfffe
	s_sub_co_i32 s39, s38, s39
	s_wait_alu 0xfffe
	s_add_co_i32 s39, s39, s36
	s_wait_alu 0xfffe
	v_dual_mov_b32 v19, s37 :: v_dual_mov_b32 v40, s39
	ds_load_b128 v[23:26], v19 offset:32
	ds_load_b128 v[19:22], v19 offset:928
	;; [unrolled: 1-line block ×3, first 2 shown]
	ds_store_b128 v30, v[15:18] offset:448
	s_wait_dscnt 0x3
	v_mul_f64_e32 v[44:45], v[13:14], v[25:26]
	v_mul_f64_e32 v[25:26], v[11:12], v[25:26]
	s_wait_dscnt 0x1
	v_mul_f64_e32 v[46:47], v[17:18], v[42:43]
	v_mul_f64_e32 v[42:43], v[15:16], v[42:43]
	v_cmp_ngt_f64_e64 s40, |v[19:20]|, |v[21:22]|
	v_fma_f64 v[44:45], v[11:12], v[23:24], -v[44:45]
	v_fma_f64 v[23:24], v[13:14], v[23:24], v[25:26]
	v_fma_f64 v[25:26], v[15:16], v[40:41], -v[46:47]
	v_fma_f64 v[40:41], v[17:18], v[40:41], v[42:43]
	s_and_b32 vcc_lo, exec_lo, s40
	s_mov_b32 s40, -1
	s_delay_alu instid0(VALU_DEP_4) | instskip(NEXT) | instid1(VALU_DEP_4)
	v_add_f64_e64 v[7:8], v[7:8], -v[44:45]
	v_add_f64_e64 v[9:10], v[9:10], -v[23:24]
	s_delay_alu instid0(VALU_DEP_2) | instskip(NEXT) | instid1(VALU_DEP_2)
	v_add_f64_e64 v[23:24], v[7:8], -v[25:26]
	v_add_f64_e64 v[25:26], v[9:10], -v[40:41]
                                        ; implicit-def: $vgpr9_vgpr10
	s_wait_alu 0xfffe
	s_cbranch_vccz .LBB233_28
; %bb.27:                               ;   in Loop: Header=BB233_16 Depth=2
	v_div_scale_f64 v[7:8], null, v[21:22], v[21:22], v[19:20]
	v_div_scale_f64 v[42:43], vcc_lo, v[19:20], v[21:22], v[19:20]
	s_mov_b32 s40, 0
	v_rcp_f64_e32 v[9:10], v[7:8]
	s_delay_alu instid0(TRANS32_DEP_1) | instskip(NEXT) | instid1(VALU_DEP_1)
	v_fma_f64 v[40:41], -v[7:8], v[9:10], 1.0
	v_fma_f64 v[9:10], v[9:10], v[40:41], v[9:10]
	s_delay_alu instid0(VALU_DEP_1) | instskip(NEXT) | instid1(VALU_DEP_1)
	v_fma_f64 v[40:41], -v[7:8], v[9:10], 1.0
	v_fma_f64 v[9:10], v[9:10], v[40:41], v[9:10]
	s_delay_alu instid0(VALU_DEP_1) | instskip(NEXT) | instid1(VALU_DEP_1)
	v_mul_f64_e32 v[40:41], v[42:43], v[9:10]
	v_fma_f64 v[7:8], -v[7:8], v[40:41], v[42:43]
	s_wait_alu 0xfffd
	s_delay_alu instid0(VALU_DEP_1) | instskip(NEXT) | instid1(VALU_DEP_1)
	v_div_fmas_f64 v[7:8], v[7:8], v[9:10], v[40:41]
	v_div_fixup_f64 v[7:8], v[7:8], v[21:22], v[19:20]
	s_delay_alu instid0(VALU_DEP_1) | instskip(NEXT) | instid1(VALU_DEP_1)
	v_fma_f64 v[9:10], v[19:20], v[7:8], v[21:22]
	v_div_scale_f64 v[40:41], null, v[9:10], v[9:10], 1.0
	v_div_scale_f64 v[46:47], vcc_lo, 1.0, v[9:10], 1.0
	s_delay_alu instid0(VALU_DEP_2) | instskip(NEXT) | instid1(TRANS32_DEP_1)
	v_rcp_f64_e32 v[42:43], v[40:41]
	v_fma_f64 v[44:45], -v[40:41], v[42:43], 1.0
	s_delay_alu instid0(VALU_DEP_1) | instskip(NEXT) | instid1(VALU_DEP_1)
	v_fma_f64 v[42:43], v[42:43], v[44:45], v[42:43]
	v_fma_f64 v[44:45], -v[40:41], v[42:43], 1.0
	s_delay_alu instid0(VALU_DEP_1) | instskip(NEXT) | instid1(VALU_DEP_1)
	v_fma_f64 v[42:43], v[42:43], v[44:45], v[42:43]
	v_mul_f64_e32 v[44:45], v[46:47], v[42:43]
	s_delay_alu instid0(VALU_DEP_1) | instskip(SKIP_1) | instid1(VALU_DEP_1)
	v_fma_f64 v[40:41], -v[40:41], v[44:45], v[46:47]
	s_wait_alu 0xfffd
	v_div_fmas_f64 v[40:41], v[40:41], v[42:43], v[44:45]
	v_fma_f64 v[42:43], v[7:8], v[23:24], v[25:26]
	s_delay_alu instid0(VALU_DEP_2) | instskip(SKIP_1) | instid1(VALU_DEP_2)
	v_div_fixup_f64 v[9:10], v[40:41], v[9:10], 1.0
	v_fma_f64 v[40:41], v[7:8], v[25:26], -v[23:24]
	v_mul_f64_e32 v[7:8], v[42:43], v[9:10]
	s_delay_alu instid0(VALU_DEP_2)
	v_mul_f64_e32 v[9:10], v[40:41], v[9:10]
.LBB233_28:                             ;   in Loop: Header=BB233_16 Depth=2
	s_and_not1_b32 vcc_lo, exec_lo, s40
	s_wait_alu 0xfffe
	s_cbranch_vccnz .LBB233_30
; %bb.29:                               ;   in Loop: Header=BB233_16 Depth=2
	v_div_scale_f64 v[7:8], null, v[19:20], v[19:20], v[21:22]
	v_div_scale_f64 v[42:43], vcc_lo, v[21:22], v[19:20], v[21:22]
	s_delay_alu instid0(VALU_DEP_2) | instskip(NEXT) | instid1(TRANS32_DEP_1)
	v_rcp_f64_e32 v[9:10], v[7:8]
	v_fma_f64 v[40:41], -v[7:8], v[9:10], 1.0
	s_delay_alu instid0(VALU_DEP_1) | instskip(NEXT) | instid1(VALU_DEP_1)
	v_fma_f64 v[9:10], v[9:10], v[40:41], v[9:10]
	v_fma_f64 v[40:41], -v[7:8], v[9:10], 1.0
	s_delay_alu instid0(VALU_DEP_1) | instskip(NEXT) | instid1(VALU_DEP_1)
	v_fma_f64 v[9:10], v[9:10], v[40:41], v[9:10]
	v_mul_f64_e32 v[40:41], v[42:43], v[9:10]
	s_delay_alu instid0(VALU_DEP_1) | instskip(SKIP_1) | instid1(VALU_DEP_1)
	v_fma_f64 v[7:8], -v[7:8], v[40:41], v[42:43]
	s_wait_alu 0xfffd
	v_div_fmas_f64 v[7:8], v[7:8], v[9:10], v[40:41]
	s_delay_alu instid0(VALU_DEP_1) | instskip(NEXT) | instid1(VALU_DEP_1)
	v_div_fixup_f64 v[7:8], v[7:8], v[19:20], v[21:22]
	v_fma_f64 v[9:10], v[21:22], v[7:8], v[19:20]
	s_delay_alu instid0(VALU_DEP_1) | instskip(SKIP_1) | instid1(VALU_DEP_2)
	v_div_scale_f64 v[19:20], null, v[9:10], v[9:10], 1.0
	v_div_scale_f64 v[42:43], vcc_lo, 1.0, v[9:10], 1.0
	v_rcp_f64_e32 v[21:22], v[19:20]
	s_delay_alu instid0(TRANS32_DEP_1) | instskip(NEXT) | instid1(VALU_DEP_1)
	v_fma_f64 v[40:41], -v[19:20], v[21:22], 1.0
	v_fma_f64 v[21:22], v[21:22], v[40:41], v[21:22]
	s_delay_alu instid0(VALU_DEP_1) | instskip(NEXT) | instid1(VALU_DEP_1)
	v_fma_f64 v[40:41], -v[19:20], v[21:22], 1.0
	v_fma_f64 v[21:22], v[21:22], v[40:41], v[21:22]
	s_delay_alu instid0(VALU_DEP_1) | instskip(NEXT) | instid1(VALU_DEP_1)
	v_mul_f64_e32 v[40:41], v[42:43], v[21:22]
	v_fma_f64 v[19:20], -v[19:20], v[40:41], v[42:43]
	s_wait_alu 0xfffd
	s_delay_alu instid0(VALU_DEP_1) | instskip(SKIP_1) | instid1(VALU_DEP_2)
	v_div_fmas_f64 v[19:20], v[19:20], v[21:22], v[40:41]
	v_fma_f64 v[21:22], v[7:8], v[25:26], v[23:24]
	v_div_fixup_f64 v[9:10], v[19:20], v[9:10], 1.0
	v_fma_f64 v[19:20], -v[7:8], v[23:24], v[25:26]
	s_delay_alu instid0(VALU_DEP_2) | instskip(NEXT) | instid1(VALU_DEP_2)
	v_mul_f64_e32 v[7:8], v[21:22], v[9:10]
	v_mul_f64_e32 v[9:10], v[19:20], v[9:10]
.LBB233_30:                             ;   in Loop: Header=BB233_16 Depth=2
	v_dual_mov_b32 v19, s37 :: v_dual_mov_b32 v40, s39
	s_or_b32 s37, s36, 32
	ds_load_b128 v[23:26], v19 offset:48
	ds_load_b128 v[19:22], v19 offset:1392
	;; [unrolled: 1-line block ×3, first 2 shown]
	s_wait_alu 0xfffe
	s_sub_co_i32 s37, s38, s37
	ds_store_b128 v30, v[7:10] offset:896
	s_wait_alu 0xfffe
	s_add_co_i32 s36, s37, s36
	s_wait_alu 0xfffe
	v_mov_b32_e32 v44, s36
	ds_load_b128 v[44:47], v44 offset:512
	s_wait_dscnt 0x4
	v_mul_f64_e32 v[48:49], v[13:14], v[25:26]
	v_mul_f64_e32 v[25:26], v[11:12], v[25:26]
	s_wait_dscnt 0x2
	v_mul_f64_e32 v[50:51], v[17:18], v[42:43]
	v_mul_f64_e32 v[42:43], v[15:16], v[42:43]
	v_cmp_ngt_f64_e64 s36, |v[19:20]|, |v[21:22]|
	v_fma_f64 v[11:12], v[11:12], v[23:24], -v[48:49]
	v_fma_f64 v[13:14], v[13:14], v[23:24], v[25:26]
	s_wait_dscnt 0x0
	v_mul_f64_e32 v[23:24], v[9:10], v[46:47]
	v_mul_f64_e32 v[25:26], v[7:8], v[46:47]
	v_fma_f64 v[15:16], v[15:16], v[40:41], -v[50:51]
	v_fma_f64 v[17:18], v[17:18], v[40:41], v[42:43]
	s_and_b32 vcc_lo, exec_lo, s36
	s_mov_b32 s36, -1
	v_add_f64_e64 v[3:4], v[3:4], -v[11:12]
	v_add_f64_e64 v[5:6], v[5:6], -v[13:14]
	v_fma_f64 v[11:12], v[7:8], v[44:45], -v[23:24]
	v_fma_f64 v[13:14], v[9:10], v[44:45], v[25:26]
	s_delay_alu instid0(VALU_DEP_4) | instskip(NEXT) | instid1(VALU_DEP_4)
	v_add_f64_e64 v[3:4], v[3:4], -v[15:16]
	v_add_f64_e64 v[5:6], v[5:6], -v[17:18]
	s_delay_alu instid0(VALU_DEP_2) | instskip(NEXT) | instid1(VALU_DEP_2)
	v_add_f64_e64 v[11:12], v[3:4], -v[11:12]
	v_add_f64_e64 v[13:14], v[5:6], -v[13:14]
                                        ; implicit-def: $vgpr5_vgpr6
	s_wait_alu 0xfffe
	s_cbranch_vccz .LBB233_32
; %bb.31:                               ;   in Loop: Header=BB233_16 Depth=2
	v_div_scale_f64 v[3:4], null, v[21:22], v[21:22], v[19:20]
	v_div_scale_f64 v[9:10], vcc_lo, v[19:20], v[21:22], v[19:20]
	s_mov_b32 s36, 0
	v_rcp_f64_e32 v[5:6], v[3:4]
	s_delay_alu instid0(TRANS32_DEP_1) | instskip(NEXT) | instid1(VALU_DEP_1)
	v_fma_f64 v[7:8], -v[3:4], v[5:6], 1.0
	v_fma_f64 v[5:6], v[5:6], v[7:8], v[5:6]
	s_delay_alu instid0(VALU_DEP_1) | instskip(NEXT) | instid1(VALU_DEP_1)
	v_fma_f64 v[7:8], -v[3:4], v[5:6], 1.0
	v_fma_f64 v[5:6], v[5:6], v[7:8], v[5:6]
	s_delay_alu instid0(VALU_DEP_1) | instskip(NEXT) | instid1(VALU_DEP_1)
	v_mul_f64_e32 v[7:8], v[9:10], v[5:6]
	v_fma_f64 v[3:4], -v[3:4], v[7:8], v[9:10]
	s_wait_alu 0xfffd
	s_delay_alu instid0(VALU_DEP_1) | instskip(NEXT) | instid1(VALU_DEP_1)
	v_div_fmas_f64 v[3:4], v[3:4], v[5:6], v[7:8]
	v_div_fixup_f64 v[3:4], v[3:4], v[21:22], v[19:20]
	s_delay_alu instid0(VALU_DEP_1) | instskip(NEXT) | instid1(VALU_DEP_1)
	v_fma_f64 v[5:6], v[19:20], v[3:4], v[21:22]
	v_div_scale_f64 v[7:8], null, v[5:6], v[5:6], 1.0
	v_div_scale_f64 v[17:18], vcc_lo, 1.0, v[5:6], 1.0
	s_delay_alu instid0(VALU_DEP_2) | instskip(NEXT) | instid1(TRANS32_DEP_1)
	v_rcp_f64_e32 v[9:10], v[7:8]
	v_fma_f64 v[15:16], -v[7:8], v[9:10], 1.0
	s_delay_alu instid0(VALU_DEP_1) | instskip(NEXT) | instid1(VALU_DEP_1)
	v_fma_f64 v[9:10], v[9:10], v[15:16], v[9:10]
	v_fma_f64 v[15:16], -v[7:8], v[9:10], 1.0
	s_delay_alu instid0(VALU_DEP_1) | instskip(NEXT) | instid1(VALU_DEP_1)
	v_fma_f64 v[9:10], v[9:10], v[15:16], v[9:10]
	v_mul_f64_e32 v[15:16], v[17:18], v[9:10]
	s_delay_alu instid0(VALU_DEP_1) | instskip(SKIP_1) | instid1(VALU_DEP_1)
	v_fma_f64 v[7:8], -v[7:8], v[15:16], v[17:18]
	s_wait_alu 0xfffd
	v_div_fmas_f64 v[7:8], v[7:8], v[9:10], v[15:16]
	v_fma_f64 v[9:10], v[3:4], v[11:12], v[13:14]
	s_delay_alu instid0(VALU_DEP_2) | instskip(SKIP_1) | instid1(VALU_DEP_2)
	v_div_fixup_f64 v[5:6], v[7:8], v[5:6], 1.0
	v_fma_f64 v[7:8], v[3:4], v[13:14], -v[11:12]
	v_mul_f64_e32 v[3:4], v[9:10], v[5:6]
	s_delay_alu instid0(VALU_DEP_2)
	v_mul_f64_e32 v[5:6], v[7:8], v[5:6]
.LBB233_32:                             ;   in Loop: Header=BB233_16 Depth=2
	s_wait_alu 0xfffe
	s_and_not1_b32 vcc_lo, exec_lo, s36
	s_wait_alu 0xfffe
	s_cbranch_vccnz .LBB233_34
; %bb.33:                               ;   in Loop: Header=BB233_16 Depth=2
	v_div_scale_f64 v[3:4], null, v[19:20], v[19:20], v[21:22]
	v_div_scale_f64 v[9:10], vcc_lo, v[21:22], v[19:20], v[21:22]
	s_delay_alu instid0(VALU_DEP_2) | instskip(NEXT) | instid1(TRANS32_DEP_1)
	v_rcp_f64_e32 v[5:6], v[3:4]
	v_fma_f64 v[7:8], -v[3:4], v[5:6], 1.0
	s_delay_alu instid0(VALU_DEP_1) | instskip(NEXT) | instid1(VALU_DEP_1)
	v_fma_f64 v[5:6], v[5:6], v[7:8], v[5:6]
	v_fma_f64 v[7:8], -v[3:4], v[5:6], 1.0
	s_delay_alu instid0(VALU_DEP_1) | instskip(NEXT) | instid1(VALU_DEP_1)
	v_fma_f64 v[5:6], v[5:6], v[7:8], v[5:6]
	v_mul_f64_e32 v[7:8], v[9:10], v[5:6]
	s_delay_alu instid0(VALU_DEP_1) | instskip(SKIP_1) | instid1(VALU_DEP_1)
	v_fma_f64 v[3:4], -v[3:4], v[7:8], v[9:10]
	s_wait_alu 0xfffd
	v_div_fmas_f64 v[3:4], v[3:4], v[5:6], v[7:8]
	s_delay_alu instid0(VALU_DEP_1) | instskip(NEXT) | instid1(VALU_DEP_1)
	v_div_fixup_f64 v[3:4], v[3:4], v[19:20], v[21:22]
	v_fma_f64 v[5:6], v[21:22], v[3:4], v[19:20]
	s_delay_alu instid0(VALU_DEP_1) | instskip(SKIP_1) | instid1(VALU_DEP_2)
	v_div_scale_f64 v[7:8], null, v[5:6], v[5:6], 1.0
	v_div_scale_f64 v[17:18], vcc_lo, 1.0, v[5:6], 1.0
	v_rcp_f64_e32 v[9:10], v[7:8]
	s_delay_alu instid0(TRANS32_DEP_1) | instskip(NEXT) | instid1(VALU_DEP_1)
	v_fma_f64 v[15:16], -v[7:8], v[9:10], 1.0
	v_fma_f64 v[9:10], v[9:10], v[15:16], v[9:10]
	s_delay_alu instid0(VALU_DEP_1) | instskip(NEXT) | instid1(VALU_DEP_1)
	v_fma_f64 v[15:16], -v[7:8], v[9:10], 1.0
	v_fma_f64 v[9:10], v[9:10], v[15:16], v[9:10]
	s_delay_alu instid0(VALU_DEP_1) | instskip(NEXT) | instid1(VALU_DEP_1)
	v_mul_f64_e32 v[15:16], v[17:18], v[9:10]
	v_fma_f64 v[7:8], -v[7:8], v[15:16], v[17:18]
	s_wait_alu 0xfffd
	s_delay_alu instid0(VALU_DEP_1) | instskip(SKIP_1) | instid1(VALU_DEP_2)
	v_div_fmas_f64 v[7:8], v[7:8], v[9:10], v[15:16]
	v_fma_f64 v[9:10], v[3:4], v[13:14], v[11:12]
	v_div_fixup_f64 v[5:6], v[7:8], v[5:6], 1.0
	v_fma_f64 v[7:8], -v[3:4], v[11:12], v[13:14]
	s_delay_alu instid0(VALU_DEP_2) | instskip(NEXT) | instid1(VALU_DEP_2)
	v_mul_f64_e32 v[3:4], v[9:10], v[5:6]
	v_mul_f64_e32 v[5:6], v[7:8], v[5:6]
.LBB233_34:                             ;   in Loop: Header=BB233_16 Depth=2
	s_add_co_i32 s36, s21, 4
	s_add_co_i32 s21, s21, 7
	;; [unrolled: 1-line block ×3, first 2 shown]
	s_wait_alu 0xfffe
	s_cmp_ge_i32 s21, s26
	ds_store_b128 v31, v[3:6]
	s_cbranch_scc1 .LBB233_36
; %bb.35:                               ;   in Loop: Header=BB233_16 Depth=2
	s_mov_b32 s21, s36
	s_branch .LBB233_16
.LBB233_36:                             ;   in Loop: Header=BB233_3 Depth=1
	s_cmp_ge_i32 s36, s26
	s_cbranch_scc1 .LBB233_45
; %bb.37:                               ;   in Loop: Header=BB233_3 Depth=1
	s_lshl_b32 s20, s36, 4
	s_branch .LBB233_39
.LBB233_38:                             ;   in Loop: Header=BB233_39 Depth=2
	s_add_co_i32 s36, s36, 1
	s_add_co_i32 s20, s20, 16
	s_wait_alu 0xfffe
	s_cmp_ge_i32 s36, s26
	ds_store_b128 v15, v[11:14]
	s_cbranch_scc1 .LBB233_45
.LBB233_39:                             ;   Parent Loop BB233_3 Depth=1
                                        ; =>  This Loop Header: Depth=2
                                        ;       Child Loop BB233_40 Depth 3
	s_mul_i32 s21, s36, 0x1c0
	v_mov_b32_e32 v7, v27
	s_wait_alu 0xfffe
	v_add_nc_u32_e32 v15, s21, v27
	s_cmp_eq_u32 s36, 0
	s_mov_b32 s37, s20
	s_mov_b32 s38, s36
	ds_load_b128 v[3:6], v15
	s_cbranch_scc1 .LBB233_41
.LBB233_40:                             ;   Parent Loop BB233_3 Depth=1
                                        ;     Parent Loop BB233_39 Depth=2
                                        ; =>    This Inner Loop Header: Depth=3
	s_wait_alu 0xfffe
	v_mov_b32_e32 v12, s37
	s_add_co_i32 s38, s38, -1
	s_addk_co_i32 s37, 0x1c0
	s_wait_alu 0xfffe
	s_cmp_eq_u32 s38, 0
	ds_load_b128 v[8:11], v7
	ds_load_b128 v[16:19], v12
	v_add_nc_u32_e32 v7, 0x1c0, v7
	s_wait_dscnt 0x0
	v_mul_f64_e32 v[12:13], v[18:19], v[10:11]
	v_mul_f64_e32 v[10:11], v[16:17], v[10:11]
	s_delay_alu instid0(VALU_DEP_2) | instskip(NEXT) | instid1(VALU_DEP_2)
	v_fma_f64 v[12:13], v[16:17], v[8:9], -v[12:13]
	v_fma_f64 v[8:9], v[18:19], v[8:9], v[10:11]
	s_delay_alu instid0(VALU_DEP_2) | instskip(NEXT) | instid1(VALU_DEP_2)
	v_add_f64_e64 v[3:4], v[3:4], -v[12:13]
	v_add_f64_e64 v[5:6], v[5:6], -v[8:9]
	s_cbranch_scc0 .LBB233_40
.LBB233_41:                             ;   in Loop: Header=BB233_39 Depth=2
	s_lshl_b32 s37, s36, 4
                                        ; implicit-def: $vgpr11_vgpr12
	s_wait_alu 0xfffe
	s_add_co_i32 s21, s37, s21
	s_wait_alu 0xfffe
	v_mov_b32_e32 v7, s21
	ds_load_b128 v[7:10], v7
	s_wait_dscnt 0x0
	v_cmp_ngt_f64_e64 s21, |v[7:8]|, |v[9:10]|
	s_and_b32 vcc_lo, exec_lo, s21
	s_mov_b32 s21, -1
	s_wait_alu 0xfffe
	s_cbranch_vccz .LBB233_43
; %bb.42:                               ;   in Loop: Header=BB233_39 Depth=2
	v_div_scale_f64 v[11:12], null, v[9:10], v[9:10], v[7:8]
	v_div_scale_f64 v[18:19], vcc_lo, v[7:8], v[9:10], v[7:8]
	s_mov_b32 s21, 0
	v_rcp_f64_e32 v[13:14], v[11:12]
	s_delay_alu instid0(TRANS32_DEP_1) | instskip(NEXT) | instid1(VALU_DEP_1)
	v_fma_f64 v[16:17], -v[11:12], v[13:14], 1.0
	v_fma_f64 v[13:14], v[13:14], v[16:17], v[13:14]
	s_delay_alu instid0(VALU_DEP_1) | instskip(NEXT) | instid1(VALU_DEP_1)
	v_fma_f64 v[16:17], -v[11:12], v[13:14], 1.0
	v_fma_f64 v[13:14], v[13:14], v[16:17], v[13:14]
	s_delay_alu instid0(VALU_DEP_1) | instskip(NEXT) | instid1(VALU_DEP_1)
	v_mul_f64_e32 v[16:17], v[18:19], v[13:14]
	v_fma_f64 v[11:12], -v[11:12], v[16:17], v[18:19]
	s_wait_alu 0xfffd
	s_delay_alu instid0(VALU_DEP_1) | instskip(NEXT) | instid1(VALU_DEP_1)
	v_div_fmas_f64 v[11:12], v[11:12], v[13:14], v[16:17]
	v_div_fixup_f64 v[11:12], v[11:12], v[9:10], v[7:8]
	s_delay_alu instid0(VALU_DEP_1) | instskip(NEXT) | instid1(VALU_DEP_1)
	v_fma_f64 v[13:14], v[7:8], v[11:12], v[9:10]
	v_div_scale_f64 v[16:17], null, v[13:14], v[13:14], 1.0
	v_div_scale_f64 v[22:23], vcc_lo, 1.0, v[13:14], 1.0
	s_delay_alu instid0(VALU_DEP_2) | instskip(NEXT) | instid1(TRANS32_DEP_1)
	v_rcp_f64_e32 v[18:19], v[16:17]
	v_fma_f64 v[20:21], -v[16:17], v[18:19], 1.0
	s_delay_alu instid0(VALU_DEP_1) | instskip(NEXT) | instid1(VALU_DEP_1)
	v_fma_f64 v[18:19], v[18:19], v[20:21], v[18:19]
	v_fma_f64 v[20:21], -v[16:17], v[18:19], 1.0
	s_delay_alu instid0(VALU_DEP_1) | instskip(NEXT) | instid1(VALU_DEP_1)
	v_fma_f64 v[18:19], v[18:19], v[20:21], v[18:19]
	v_mul_f64_e32 v[20:21], v[22:23], v[18:19]
	s_delay_alu instid0(VALU_DEP_1) | instskip(SKIP_1) | instid1(VALU_DEP_1)
	v_fma_f64 v[16:17], -v[16:17], v[20:21], v[22:23]
	s_wait_alu 0xfffd
	v_div_fmas_f64 v[16:17], v[16:17], v[18:19], v[20:21]
	v_fma_f64 v[18:19], v[3:4], v[11:12], v[5:6]
	s_delay_alu instid0(VALU_DEP_2) | instskip(SKIP_1) | instid1(VALU_DEP_2)
	v_div_fixup_f64 v[13:14], v[16:17], v[13:14], 1.0
	v_fma_f64 v[16:17], v[5:6], v[11:12], -v[3:4]
	v_mul_f64_e32 v[11:12], v[18:19], v[13:14]
	s_delay_alu instid0(VALU_DEP_2)
	v_mul_f64_e32 v[13:14], v[16:17], v[13:14]
.LBB233_43:                             ;   in Loop: Header=BB233_39 Depth=2
	s_wait_alu 0xfffe
	s_and_not1_b32 vcc_lo, exec_lo, s21
	s_wait_alu 0xfffe
	s_cbranch_vccnz .LBB233_38
; %bb.44:                               ;   in Loop: Header=BB233_39 Depth=2
	v_div_scale_f64 v[11:12], null, v[7:8], v[7:8], v[9:10]
	v_div_scale_f64 v[18:19], vcc_lo, v[9:10], v[7:8], v[9:10]
	s_delay_alu instid0(VALU_DEP_2) | instskip(NEXT) | instid1(TRANS32_DEP_1)
	v_rcp_f64_e32 v[13:14], v[11:12]
	v_fma_f64 v[16:17], -v[11:12], v[13:14], 1.0
	s_delay_alu instid0(VALU_DEP_1) | instskip(NEXT) | instid1(VALU_DEP_1)
	v_fma_f64 v[13:14], v[13:14], v[16:17], v[13:14]
	v_fma_f64 v[16:17], -v[11:12], v[13:14], 1.0
	s_delay_alu instid0(VALU_DEP_1) | instskip(NEXT) | instid1(VALU_DEP_1)
	v_fma_f64 v[13:14], v[13:14], v[16:17], v[13:14]
	v_mul_f64_e32 v[16:17], v[18:19], v[13:14]
	s_delay_alu instid0(VALU_DEP_1) | instskip(SKIP_1) | instid1(VALU_DEP_1)
	v_fma_f64 v[11:12], -v[11:12], v[16:17], v[18:19]
	s_wait_alu 0xfffd
	v_div_fmas_f64 v[11:12], v[11:12], v[13:14], v[16:17]
	s_delay_alu instid0(VALU_DEP_1) | instskip(NEXT) | instid1(VALU_DEP_1)
	v_div_fixup_f64 v[11:12], v[11:12], v[7:8], v[9:10]
	v_fma_f64 v[7:8], v[9:10], v[11:12], v[7:8]
	s_delay_alu instid0(VALU_DEP_1) | instskip(SKIP_1) | instid1(VALU_DEP_2)
	v_div_scale_f64 v[9:10], null, v[7:8], v[7:8], 1.0
	v_div_scale_f64 v[18:19], vcc_lo, 1.0, v[7:8], 1.0
	v_rcp_f64_e32 v[13:14], v[9:10]
	s_delay_alu instid0(TRANS32_DEP_1) | instskip(NEXT) | instid1(VALU_DEP_1)
	v_fma_f64 v[16:17], -v[9:10], v[13:14], 1.0
	v_fma_f64 v[13:14], v[13:14], v[16:17], v[13:14]
	s_delay_alu instid0(VALU_DEP_1) | instskip(NEXT) | instid1(VALU_DEP_1)
	v_fma_f64 v[16:17], -v[9:10], v[13:14], 1.0
	v_fma_f64 v[13:14], v[13:14], v[16:17], v[13:14]
	s_delay_alu instid0(VALU_DEP_1) | instskip(NEXT) | instid1(VALU_DEP_1)
	v_mul_f64_e32 v[16:17], v[18:19], v[13:14]
	v_fma_f64 v[9:10], -v[9:10], v[16:17], v[18:19]
	s_wait_alu 0xfffd
	s_delay_alu instid0(VALU_DEP_1) | instskip(SKIP_2) | instid1(VALU_DEP_3)
	v_div_fmas_f64 v[9:10], v[9:10], v[13:14], v[16:17]
	v_fma_f64 v[13:14], v[5:6], v[11:12], v[3:4]
	v_fma_f64 v[3:4], -v[3:4], v[11:12], v[5:6]
	v_div_fixup_f64 v[7:8], v[9:10], v[7:8], 1.0
	s_delay_alu instid0(VALU_DEP_1) | instskip(NEXT) | instid1(VALU_DEP_3)
	v_mul_f64_e32 v[11:12], v[13:14], v[7:8]
	v_mul_f64_e32 v[13:14], v[3:4], v[7:8]
	s_branch .LBB233_38
.LBB233_45:                             ;   in Loop: Header=BB233_3 Depth=1
	s_mov_b32 s20, 0
.LBB233_46:                             ;   in Loop: Header=BB233_3 Depth=1
	s_wait_alu 0xfffe
	s_and_b32 vcc_lo, exec_lo, s20
	s_wait_alu 0xfffe
	s_cbranch_vccz .LBB233_78
; %bb.47:                               ;   in Loop: Header=BB233_3 Depth=1
	s_mov_b32 s36, s27
	s_and_not1_b32 vcc_lo, exec_lo, s22
	s_mov_b32 s20, s31
	s_mov_b32 s21, s27
	s_wait_alu 0xfffe
	s_cbranch_vccnz .LBB233_69
.LBB233_48:                             ;   Parent Loop BB233_3 Depth=1
                                        ; =>  This Loop Header: Depth=2
                                        ;       Child Loop BB233_49 Depth 3
	s_wait_alu 0xfffe
	s_mul_i32 s37, s21, 0x1c0
	s_mov_b32 s38, s27
	s_wait_alu 0xfffe
	v_add_nc_u32_e32 v41, s37, v27
	s_add_co_i32 s36, s37, 0xfffffac0
	s_cmp_le_i32 s27, s21
	s_wait_alu 0xfffe
	v_add_nc_u32_e32 v30, s36, v27
	s_mov_b32 s36, s20
	v_dual_mov_b32 v11, v38 :: v_dual_add_nc_u32 v40, 0xfffffe40, v41
	v_add_nc_u32_e32 v31, 0xfffffc80, v41
	ds_load_b128 v[19:22], v41
	ds_load_b128 v[15:18], v40
	;; [unrolled: 1-line block ×4, first 2 shown]
	s_cbranch_scc1 .LBB233_50
.LBB233_49:                             ;   Parent Loop BB233_3 Depth=1
                                        ;     Parent Loop BB233_48 Depth=2
                                        ; =>    This Inner Loop Header: Depth=3
	s_wait_alu 0xfffe
	v_mov_b32_e32 v12, s36
	s_add_co_i32 s38, s38, -1
	s_addk_co_i32 s36, 0xfe40
	s_wait_alu 0xfffe
	s_cmp_le_i32 s38, s21
	ds_load_b128 v[23:26], v11
	ds_load_b128 v[42:45], v12 offset:48
	ds_load_b128 v[46:49], v12 offset:32
	;; [unrolled: 1-line block ×3, first 2 shown]
	ds_load_b128 v[54:57], v12
	v_add_nc_u32_e32 v11, 0xfffffe40, v11
	s_wait_dscnt 0x3
	v_mul_f64_e32 v[12:13], v[25:26], v[44:45]
	v_mul_f64_e32 v[44:45], v[23:24], v[44:45]
	s_wait_dscnt 0x2
	v_mul_f64_e32 v[58:59], v[25:26], v[48:49]
	v_mul_f64_e32 v[48:49], v[23:24], v[48:49]
	;; [unrolled: 3-line block ×4, first 2 shown]
	v_fma_f64 v[12:13], v[23:24], v[42:43], -v[12:13]
	v_fma_f64 v[42:43], v[25:26], v[42:43], v[44:45]
	v_fma_f64 v[44:45], v[23:24], v[46:47], -v[58:59]
	v_fma_f64 v[46:47], v[25:26], v[46:47], v[48:49]
	;; [unrolled: 2-line block ×4, first 2 shown]
	v_add_f64_e64 v[19:20], v[19:20], -v[12:13]
	v_add_f64_e64 v[21:22], v[21:22], -v[42:43]
	;; [unrolled: 1-line block ×8, first 2 shown]
	s_cbranch_scc0 .LBB233_49
.LBB233_50:                             ;   in Loop: Header=BB233_48 Depth=2
	s_add_co_i32 s36, s21, -3
; %bb.51:                               ;   in Loop: Header=BB233_48 Depth=2
	s_lshl_b32 s38, s21, 4
	s_wait_alu 0xfffe
	s_add_co_i32 s37, s38, s37
	s_wait_alu 0xfffe
	v_mov_b32_e32 v11, s37
	ds_load_b128 v[23:26], v11
                                        ; implicit-def: $vgpr13_vgpr14
	s_wait_dscnt 0x0
	v_cmp_ngt_f64_e64 s38, |v[23:24]|, |v[25:26]|
	s_and_b32 vcc_lo, exec_lo, s38
	s_mov_b32 s38, -1
	s_wait_alu 0xfffe
	s_cbranch_vccz .LBB233_53
; %bb.52:                               ;   in Loop: Header=BB233_48 Depth=2
	v_div_scale_f64 v[11:12], null, v[25:26], v[25:26], v[23:24]
	v_div_scale_f64 v[44:45], vcc_lo, v[23:24], v[25:26], v[23:24]
	s_mov_b32 s38, 0
	v_rcp_f64_e32 v[13:14], v[11:12]
	s_delay_alu instid0(TRANS32_DEP_1) | instskip(NEXT) | instid1(VALU_DEP_1)
	v_fma_f64 v[42:43], -v[11:12], v[13:14], 1.0
	v_fma_f64 v[13:14], v[13:14], v[42:43], v[13:14]
	s_delay_alu instid0(VALU_DEP_1) | instskip(NEXT) | instid1(VALU_DEP_1)
	v_fma_f64 v[42:43], -v[11:12], v[13:14], 1.0
	v_fma_f64 v[13:14], v[13:14], v[42:43], v[13:14]
	s_delay_alu instid0(VALU_DEP_1) | instskip(NEXT) | instid1(VALU_DEP_1)
	v_mul_f64_e32 v[42:43], v[44:45], v[13:14]
	v_fma_f64 v[11:12], -v[11:12], v[42:43], v[44:45]
	s_wait_alu 0xfffd
	s_delay_alu instid0(VALU_DEP_1) | instskip(NEXT) | instid1(VALU_DEP_1)
	v_div_fmas_f64 v[11:12], v[11:12], v[13:14], v[42:43]
	v_div_fixup_f64 v[11:12], v[11:12], v[25:26], v[23:24]
	s_delay_alu instid0(VALU_DEP_1) | instskip(NEXT) | instid1(VALU_DEP_1)
	v_fma_f64 v[13:14], v[23:24], v[11:12], v[25:26]
	v_div_scale_f64 v[42:43], null, v[13:14], v[13:14], 1.0
	v_div_scale_f64 v[48:49], vcc_lo, 1.0, v[13:14], 1.0
	s_delay_alu instid0(VALU_DEP_2) | instskip(NEXT) | instid1(TRANS32_DEP_1)
	v_rcp_f64_e32 v[44:45], v[42:43]
	v_fma_f64 v[46:47], -v[42:43], v[44:45], 1.0
	s_delay_alu instid0(VALU_DEP_1) | instskip(NEXT) | instid1(VALU_DEP_1)
	v_fma_f64 v[44:45], v[44:45], v[46:47], v[44:45]
	v_fma_f64 v[46:47], -v[42:43], v[44:45], 1.0
	s_delay_alu instid0(VALU_DEP_1) | instskip(NEXT) | instid1(VALU_DEP_1)
	v_fma_f64 v[44:45], v[44:45], v[46:47], v[44:45]
	v_mul_f64_e32 v[46:47], v[48:49], v[44:45]
	s_delay_alu instid0(VALU_DEP_1) | instskip(SKIP_1) | instid1(VALU_DEP_1)
	v_fma_f64 v[42:43], -v[42:43], v[46:47], v[48:49]
	s_wait_alu 0xfffd
	v_div_fmas_f64 v[42:43], v[42:43], v[44:45], v[46:47]
	v_fma_f64 v[44:45], v[19:20], v[11:12], v[21:22]
	s_delay_alu instid0(VALU_DEP_2) | instskip(SKIP_1) | instid1(VALU_DEP_2)
	v_div_fixup_f64 v[13:14], v[42:43], v[13:14], 1.0
	v_fma_f64 v[42:43], v[21:22], v[11:12], -v[19:20]
	v_mul_f64_e32 v[11:12], v[44:45], v[13:14]
	s_delay_alu instid0(VALU_DEP_2)
	v_mul_f64_e32 v[13:14], v[42:43], v[13:14]
.LBB233_53:                             ;   in Loop: Header=BB233_48 Depth=2
	s_wait_alu 0xfffe
	s_and_not1_b32 vcc_lo, exec_lo, s38
	s_wait_alu 0xfffe
	s_cbranch_vccnz .LBB233_55
; %bb.54:                               ;   in Loop: Header=BB233_48 Depth=2
	v_div_scale_f64 v[11:12], null, v[23:24], v[23:24], v[25:26]
	v_div_scale_f64 v[44:45], vcc_lo, v[25:26], v[23:24], v[25:26]
	s_delay_alu instid0(VALU_DEP_2) | instskip(NEXT) | instid1(TRANS32_DEP_1)
	v_rcp_f64_e32 v[13:14], v[11:12]
	v_fma_f64 v[42:43], -v[11:12], v[13:14], 1.0
	s_delay_alu instid0(VALU_DEP_1) | instskip(NEXT) | instid1(VALU_DEP_1)
	v_fma_f64 v[13:14], v[13:14], v[42:43], v[13:14]
	v_fma_f64 v[42:43], -v[11:12], v[13:14], 1.0
	s_delay_alu instid0(VALU_DEP_1) | instskip(NEXT) | instid1(VALU_DEP_1)
	v_fma_f64 v[13:14], v[13:14], v[42:43], v[13:14]
	v_mul_f64_e32 v[42:43], v[44:45], v[13:14]
	s_delay_alu instid0(VALU_DEP_1) | instskip(SKIP_1) | instid1(VALU_DEP_1)
	v_fma_f64 v[11:12], -v[11:12], v[42:43], v[44:45]
	s_wait_alu 0xfffd
	v_div_fmas_f64 v[11:12], v[11:12], v[13:14], v[42:43]
	s_delay_alu instid0(VALU_DEP_1) | instskip(NEXT) | instid1(VALU_DEP_1)
	v_div_fixup_f64 v[11:12], v[11:12], v[23:24], v[25:26]
	v_fma_f64 v[13:14], v[25:26], v[11:12], v[23:24]
	s_delay_alu instid0(VALU_DEP_1) | instskip(SKIP_1) | instid1(VALU_DEP_2)
	v_div_scale_f64 v[23:24], null, v[13:14], v[13:14], 1.0
	v_div_scale_f64 v[44:45], vcc_lo, 1.0, v[13:14], 1.0
	v_rcp_f64_e32 v[25:26], v[23:24]
	s_delay_alu instid0(TRANS32_DEP_1) | instskip(NEXT) | instid1(VALU_DEP_1)
	v_fma_f64 v[42:43], -v[23:24], v[25:26], 1.0
	v_fma_f64 v[25:26], v[25:26], v[42:43], v[25:26]
	s_delay_alu instid0(VALU_DEP_1) | instskip(NEXT) | instid1(VALU_DEP_1)
	v_fma_f64 v[42:43], -v[23:24], v[25:26], 1.0
	v_fma_f64 v[25:26], v[25:26], v[42:43], v[25:26]
	s_delay_alu instid0(VALU_DEP_1) | instskip(NEXT) | instid1(VALU_DEP_1)
	v_mul_f64_e32 v[42:43], v[44:45], v[25:26]
	v_fma_f64 v[23:24], -v[23:24], v[42:43], v[44:45]
	s_wait_alu 0xfffd
	s_delay_alu instid0(VALU_DEP_1) | instskip(SKIP_2) | instid1(VALU_DEP_3)
	v_div_fmas_f64 v[23:24], v[23:24], v[25:26], v[42:43]
	v_fma_f64 v[25:26], v[21:22], v[11:12], v[19:20]
	v_fma_f64 v[19:20], -v[19:20], v[11:12], v[21:22]
	v_div_fixup_f64 v[13:14], v[23:24], v[13:14], 1.0
	s_delay_alu instid0(VALU_DEP_1) | instskip(NEXT) | instid1(VALU_DEP_3)
	v_mul_f64_e32 v[11:12], v[25:26], v[13:14]
	v_mul_f64_e32 v[13:14], v[19:20], v[13:14]
.LBB233_55:                             ;   in Loop: Header=BB233_48 Depth=2
	s_add_co_i32 s38, s37, -16
	s_add_co_i32 s39, s37, 0xfffffe30
	s_wait_alu 0xfffe
	v_mov_b32_e32 v19, s38
	ds_store_b128 v41, v[11:14]
	ds_load_b128 v[23:26], v19
	v_mov_b32_e32 v19, s39
	ds_load_b128 v[19:22], v19
	s_wait_dscnt 0x1
	v_mul_f64_e32 v[42:43], v[13:14], v[25:26]
	v_mul_f64_e32 v[25:26], v[11:12], v[25:26]
	s_wait_dscnt 0x0
	v_cmp_ngt_f64_e64 s38, |v[19:20]|, |v[21:22]|
	s_delay_alu instid0(VALU_DEP_3) | instskip(NEXT) | instid1(VALU_DEP_3)
	v_fma_f64 v[42:43], v[11:12], v[23:24], -v[42:43]
	v_fma_f64 v[25:26], v[13:14], v[23:24], v[25:26]
	s_and_b32 vcc_lo, exec_lo, s38
	s_mov_b32 s38, -1
	s_delay_alu instid0(VALU_DEP_2) | instskip(NEXT) | instid1(VALU_DEP_2)
	v_add_f64_e64 v[23:24], v[15:16], -v[42:43]
	v_add_f64_e64 v[25:26], v[17:18], -v[25:26]
                                        ; implicit-def: $vgpr17_vgpr18
	s_wait_alu 0xfffe
	s_cbranch_vccz .LBB233_57
; %bb.56:                               ;   in Loop: Header=BB233_48 Depth=2
	v_div_scale_f64 v[15:16], null, v[21:22], v[21:22], v[19:20]
	v_div_scale_f64 v[43:44], vcc_lo, v[19:20], v[21:22], v[19:20]
	s_mov_b32 s38, 0
	v_rcp_f64_e32 v[17:18], v[15:16]
	s_delay_alu instid0(TRANS32_DEP_1) | instskip(NEXT) | instid1(VALU_DEP_1)
	v_fma_f64 v[41:42], -v[15:16], v[17:18], 1.0
	v_fma_f64 v[17:18], v[17:18], v[41:42], v[17:18]
	s_delay_alu instid0(VALU_DEP_1) | instskip(NEXT) | instid1(VALU_DEP_1)
	v_fma_f64 v[41:42], -v[15:16], v[17:18], 1.0
	v_fma_f64 v[17:18], v[17:18], v[41:42], v[17:18]
	s_delay_alu instid0(VALU_DEP_1) | instskip(NEXT) | instid1(VALU_DEP_1)
	v_mul_f64_e32 v[41:42], v[43:44], v[17:18]
	v_fma_f64 v[15:16], -v[15:16], v[41:42], v[43:44]
	s_wait_alu 0xfffd
	s_delay_alu instid0(VALU_DEP_1) | instskip(NEXT) | instid1(VALU_DEP_1)
	v_div_fmas_f64 v[15:16], v[15:16], v[17:18], v[41:42]
	v_div_fixup_f64 v[15:16], v[15:16], v[21:22], v[19:20]
	s_delay_alu instid0(VALU_DEP_1) | instskip(NEXT) | instid1(VALU_DEP_1)
	v_fma_f64 v[17:18], v[19:20], v[15:16], v[21:22]
	v_div_scale_f64 v[41:42], null, v[17:18], v[17:18], 1.0
	v_div_scale_f64 v[47:48], vcc_lo, 1.0, v[17:18], 1.0
	s_delay_alu instid0(VALU_DEP_2) | instskip(NEXT) | instid1(TRANS32_DEP_1)
	v_rcp_f64_e32 v[43:44], v[41:42]
	v_fma_f64 v[45:46], -v[41:42], v[43:44], 1.0
	s_delay_alu instid0(VALU_DEP_1) | instskip(NEXT) | instid1(VALU_DEP_1)
	v_fma_f64 v[43:44], v[43:44], v[45:46], v[43:44]
	v_fma_f64 v[45:46], -v[41:42], v[43:44], 1.0
	s_delay_alu instid0(VALU_DEP_1) | instskip(NEXT) | instid1(VALU_DEP_1)
	v_fma_f64 v[43:44], v[43:44], v[45:46], v[43:44]
	v_mul_f64_e32 v[45:46], v[47:48], v[43:44]
	s_delay_alu instid0(VALU_DEP_1) | instskip(SKIP_1) | instid1(VALU_DEP_1)
	v_fma_f64 v[41:42], -v[41:42], v[45:46], v[47:48]
	s_wait_alu 0xfffd
	v_div_fmas_f64 v[41:42], v[41:42], v[43:44], v[45:46]
	v_fma_f64 v[43:44], v[15:16], v[23:24], v[25:26]
	s_delay_alu instid0(VALU_DEP_2) | instskip(SKIP_1) | instid1(VALU_DEP_2)
	v_div_fixup_f64 v[17:18], v[41:42], v[17:18], 1.0
	v_fma_f64 v[41:42], v[15:16], v[25:26], -v[23:24]
	v_mul_f64_e32 v[15:16], v[43:44], v[17:18]
	s_delay_alu instid0(VALU_DEP_2)
	v_mul_f64_e32 v[17:18], v[41:42], v[17:18]
.LBB233_57:                             ;   in Loop: Header=BB233_48 Depth=2
	s_wait_alu 0xfffe
	s_and_not1_b32 vcc_lo, exec_lo, s38
	s_wait_alu 0xfffe
	s_cbranch_vccnz .LBB233_59
; %bb.58:                               ;   in Loop: Header=BB233_48 Depth=2
	v_div_scale_f64 v[15:16], null, v[19:20], v[19:20], v[21:22]
	v_div_scale_f64 v[43:44], vcc_lo, v[21:22], v[19:20], v[21:22]
	s_delay_alu instid0(VALU_DEP_2) | instskip(NEXT) | instid1(TRANS32_DEP_1)
	v_rcp_f64_e32 v[17:18], v[15:16]
	v_fma_f64 v[41:42], -v[15:16], v[17:18], 1.0
	s_delay_alu instid0(VALU_DEP_1) | instskip(NEXT) | instid1(VALU_DEP_1)
	v_fma_f64 v[17:18], v[17:18], v[41:42], v[17:18]
	v_fma_f64 v[41:42], -v[15:16], v[17:18], 1.0
	s_delay_alu instid0(VALU_DEP_1) | instskip(NEXT) | instid1(VALU_DEP_1)
	v_fma_f64 v[17:18], v[17:18], v[41:42], v[17:18]
	v_mul_f64_e32 v[41:42], v[43:44], v[17:18]
	s_delay_alu instid0(VALU_DEP_1) | instskip(SKIP_1) | instid1(VALU_DEP_1)
	v_fma_f64 v[15:16], -v[15:16], v[41:42], v[43:44]
	s_wait_alu 0xfffd
	v_div_fmas_f64 v[15:16], v[15:16], v[17:18], v[41:42]
	s_delay_alu instid0(VALU_DEP_1) | instskip(NEXT) | instid1(VALU_DEP_1)
	v_div_fixup_f64 v[15:16], v[15:16], v[19:20], v[21:22]
	v_fma_f64 v[17:18], v[21:22], v[15:16], v[19:20]
	s_delay_alu instid0(VALU_DEP_1) | instskip(SKIP_1) | instid1(VALU_DEP_2)
	v_div_scale_f64 v[19:20], null, v[17:18], v[17:18], 1.0
	v_div_scale_f64 v[43:44], vcc_lo, 1.0, v[17:18], 1.0
	v_rcp_f64_e32 v[21:22], v[19:20]
	s_delay_alu instid0(TRANS32_DEP_1) | instskip(NEXT) | instid1(VALU_DEP_1)
	v_fma_f64 v[41:42], -v[19:20], v[21:22], 1.0
	v_fma_f64 v[21:22], v[21:22], v[41:42], v[21:22]
	s_delay_alu instid0(VALU_DEP_1) | instskip(NEXT) | instid1(VALU_DEP_1)
	v_fma_f64 v[41:42], -v[19:20], v[21:22], 1.0
	v_fma_f64 v[21:22], v[21:22], v[41:42], v[21:22]
	s_delay_alu instid0(VALU_DEP_1) | instskip(NEXT) | instid1(VALU_DEP_1)
	v_mul_f64_e32 v[41:42], v[43:44], v[21:22]
	v_fma_f64 v[19:20], -v[19:20], v[41:42], v[43:44]
	s_wait_alu 0xfffd
	s_delay_alu instid0(VALU_DEP_1) | instskip(SKIP_1) | instid1(VALU_DEP_2)
	v_div_fmas_f64 v[19:20], v[19:20], v[21:22], v[41:42]
	v_fma_f64 v[21:22], v[15:16], v[25:26], v[23:24]
	v_div_fixup_f64 v[17:18], v[19:20], v[17:18], 1.0
	v_fma_f64 v[19:20], -v[15:16], v[23:24], v[25:26]
	s_delay_alu instid0(VALU_DEP_2) | instskip(NEXT) | instid1(VALU_DEP_2)
	v_mul_f64_e32 v[15:16], v[21:22], v[17:18]
	v_mul_f64_e32 v[17:18], v[19:20], v[17:18]
.LBB233_59:                             ;   in Loop: Header=BB233_48 Depth=2
	s_sub_co_i32 s38, s37, 32
	s_add_co_i32 s40, s21, -2
	s_wait_alu 0xfffe
	v_mov_b32_e32 v19, s38
	s_add_co_i32 s38, s21, -1
	ds_store_b128 v40, v[15:18]
	s_wait_alu 0xfffe
	s_lshl_b32 s41, s38, 4
	s_lshl_b32 s38, s40, 4
	ds_load_b128 v[19:22], v19
	s_sub_co_i32 s40, s39, s41
	s_wait_alu 0xfffe
	s_add_co_i32 s39, s40, s38
	s_wait_alu 0xfffe
	v_mov_b32_e32 v23, s39
	s_add_co_i32 s39, s37, 0xfffffc60
	ds_load_b128 v[23:26], v23
	s_wait_dscnt 0x1
	v_mul_f64_e32 v[41:42], v[13:14], v[21:22]
	v_mul_f64_e32 v[21:22], v[11:12], v[21:22]
	s_wait_dscnt 0x0
	v_mul_f64_e32 v[43:44], v[17:18], v[25:26]
	v_mul_f64_e32 v[25:26], v[15:16], v[25:26]
	s_delay_alu instid0(VALU_DEP_4) | instskip(NEXT) | instid1(VALU_DEP_4)
	v_fma_f64 v[41:42], v[11:12], v[19:20], -v[41:42]
	v_fma_f64 v[19:20], v[13:14], v[19:20], v[21:22]
	s_delay_alu instid0(VALU_DEP_4) | instskip(NEXT) | instid1(VALU_DEP_4)
	v_fma_f64 v[43:44], v[15:16], v[23:24], -v[43:44]
	v_fma_f64 v[25:26], v[17:18], v[23:24], v[25:26]
	s_delay_alu instid0(VALU_DEP_4) | instskip(NEXT) | instid1(VALU_DEP_4)
	v_add_f64_e64 v[7:8], v[7:8], -v[41:42]
	v_add_f64_e64 v[9:10], v[9:10], -v[19:20]
	s_wait_alu 0xfffe
	v_mov_b32_e32 v19, s39
	ds_load_b128 v[19:22], v19
	s_wait_dscnt 0x0
	v_cmp_ngt_f64_e64 s41, |v[19:20]|, |v[21:22]|
	v_add_f64_e64 v[23:24], v[7:8], -v[43:44]
	v_add_f64_e64 v[25:26], v[9:10], -v[25:26]
                                        ; implicit-def: $vgpr9_vgpr10
	s_and_b32 vcc_lo, exec_lo, s41
	s_mov_b32 s41, -1
	s_wait_alu 0xfffe
	s_cbranch_vccz .LBB233_61
; %bb.60:                               ;   in Loop: Header=BB233_48 Depth=2
	v_div_scale_f64 v[7:8], null, v[21:22], v[21:22], v[19:20]
	v_div_scale_f64 v[42:43], vcc_lo, v[19:20], v[21:22], v[19:20]
	s_mov_b32 s41, 0
	v_rcp_f64_e32 v[9:10], v[7:8]
	s_delay_alu instid0(TRANS32_DEP_1) | instskip(NEXT) | instid1(VALU_DEP_1)
	v_fma_f64 v[40:41], -v[7:8], v[9:10], 1.0
	v_fma_f64 v[9:10], v[9:10], v[40:41], v[9:10]
	s_delay_alu instid0(VALU_DEP_1) | instskip(NEXT) | instid1(VALU_DEP_1)
	v_fma_f64 v[40:41], -v[7:8], v[9:10], 1.0
	v_fma_f64 v[9:10], v[9:10], v[40:41], v[9:10]
	s_delay_alu instid0(VALU_DEP_1) | instskip(NEXT) | instid1(VALU_DEP_1)
	v_mul_f64_e32 v[40:41], v[42:43], v[9:10]
	v_fma_f64 v[7:8], -v[7:8], v[40:41], v[42:43]
	s_wait_alu 0xfffd
	s_delay_alu instid0(VALU_DEP_1) | instskip(NEXT) | instid1(VALU_DEP_1)
	v_div_fmas_f64 v[7:8], v[7:8], v[9:10], v[40:41]
	v_div_fixup_f64 v[7:8], v[7:8], v[21:22], v[19:20]
	s_delay_alu instid0(VALU_DEP_1) | instskip(NEXT) | instid1(VALU_DEP_1)
	v_fma_f64 v[9:10], v[19:20], v[7:8], v[21:22]
	v_div_scale_f64 v[40:41], null, v[9:10], v[9:10], 1.0
	v_div_scale_f64 v[46:47], vcc_lo, 1.0, v[9:10], 1.0
	s_delay_alu instid0(VALU_DEP_2) | instskip(NEXT) | instid1(TRANS32_DEP_1)
	v_rcp_f64_e32 v[42:43], v[40:41]
	v_fma_f64 v[44:45], -v[40:41], v[42:43], 1.0
	s_delay_alu instid0(VALU_DEP_1) | instskip(NEXT) | instid1(VALU_DEP_1)
	v_fma_f64 v[42:43], v[42:43], v[44:45], v[42:43]
	v_fma_f64 v[44:45], -v[40:41], v[42:43], 1.0
	s_delay_alu instid0(VALU_DEP_1) | instskip(NEXT) | instid1(VALU_DEP_1)
	v_fma_f64 v[42:43], v[42:43], v[44:45], v[42:43]
	v_mul_f64_e32 v[44:45], v[46:47], v[42:43]
	s_delay_alu instid0(VALU_DEP_1) | instskip(SKIP_1) | instid1(VALU_DEP_1)
	v_fma_f64 v[40:41], -v[40:41], v[44:45], v[46:47]
	s_wait_alu 0xfffd
	v_div_fmas_f64 v[40:41], v[40:41], v[42:43], v[44:45]
	v_fma_f64 v[42:43], v[7:8], v[23:24], v[25:26]
	s_delay_alu instid0(VALU_DEP_2) | instskip(SKIP_1) | instid1(VALU_DEP_2)
	v_div_fixup_f64 v[9:10], v[40:41], v[9:10], 1.0
	v_fma_f64 v[40:41], v[7:8], v[25:26], -v[23:24]
	v_mul_f64_e32 v[7:8], v[42:43], v[9:10]
	s_delay_alu instid0(VALU_DEP_2)
	v_mul_f64_e32 v[9:10], v[40:41], v[9:10]
.LBB233_61:                             ;   in Loop: Header=BB233_48 Depth=2
	s_and_not1_b32 vcc_lo, exec_lo, s41
	s_wait_alu 0xfffe
	s_cbranch_vccnz .LBB233_63
; %bb.62:                               ;   in Loop: Header=BB233_48 Depth=2
	v_div_scale_f64 v[7:8], null, v[19:20], v[19:20], v[21:22]
	v_div_scale_f64 v[42:43], vcc_lo, v[21:22], v[19:20], v[21:22]
	s_delay_alu instid0(VALU_DEP_2) | instskip(NEXT) | instid1(TRANS32_DEP_1)
	v_rcp_f64_e32 v[9:10], v[7:8]
	v_fma_f64 v[40:41], -v[7:8], v[9:10], 1.0
	s_delay_alu instid0(VALU_DEP_1) | instskip(NEXT) | instid1(VALU_DEP_1)
	v_fma_f64 v[9:10], v[9:10], v[40:41], v[9:10]
	v_fma_f64 v[40:41], -v[7:8], v[9:10], 1.0
	s_delay_alu instid0(VALU_DEP_1) | instskip(NEXT) | instid1(VALU_DEP_1)
	v_fma_f64 v[9:10], v[9:10], v[40:41], v[9:10]
	v_mul_f64_e32 v[40:41], v[42:43], v[9:10]
	s_delay_alu instid0(VALU_DEP_1) | instskip(SKIP_1) | instid1(VALU_DEP_1)
	v_fma_f64 v[7:8], -v[7:8], v[40:41], v[42:43]
	s_wait_alu 0xfffd
	v_div_fmas_f64 v[7:8], v[7:8], v[9:10], v[40:41]
	s_delay_alu instid0(VALU_DEP_1) | instskip(NEXT) | instid1(VALU_DEP_1)
	v_div_fixup_f64 v[7:8], v[7:8], v[19:20], v[21:22]
	v_fma_f64 v[9:10], v[21:22], v[7:8], v[19:20]
	s_delay_alu instid0(VALU_DEP_1) | instskip(SKIP_1) | instid1(VALU_DEP_2)
	v_div_scale_f64 v[19:20], null, v[9:10], v[9:10], 1.0
	v_div_scale_f64 v[42:43], vcc_lo, 1.0, v[9:10], 1.0
	v_rcp_f64_e32 v[21:22], v[19:20]
	s_delay_alu instid0(TRANS32_DEP_1) | instskip(NEXT) | instid1(VALU_DEP_1)
	v_fma_f64 v[40:41], -v[19:20], v[21:22], 1.0
	v_fma_f64 v[21:22], v[21:22], v[40:41], v[21:22]
	s_delay_alu instid0(VALU_DEP_1) | instskip(NEXT) | instid1(VALU_DEP_1)
	v_fma_f64 v[40:41], -v[19:20], v[21:22], 1.0
	v_fma_f64 v[21:22], v[21:22], v[40:41], v[21:22]
	s_delay_alu instid0(VALU_DEP_1) | instskip(NEXT) | instid1(VALU_DEP_1)
	v_mul_f64_e32 v[40:41], v[42:43], v[21:22]
	v_fma_f64 v[19:20], -v[19:20], v[40:41], v[42:43]
	s_wait_alu 0xfffd
	s_delay_alu instid0(VALU_DEP_1) | instskip(SKIP_1) | instid1(VALU_DEP_2)
	v_div_fmas_f64 v[19:20], v[19:20], v[21:22], v[40:41]
	v_fma_f64 v[21:22], v[7:8], v[25:26], v[23:24]
	v_div_fixup_f64 v[9:10], v[19:20], v[9:10], 1.0
	v_fma_f64 v[19:20], -v[7:8], v[23:24], v[25:26]
	s_delay_alu instid0(VALU_DEP_2) | instskip(NEXT) | instid1(VALU_DEP_2)
	v_mul_f64_e32 v[7:8], v[21:22], v[9:10]
	v_mul_f64_e32 v[9:10], v[19:20], v[9:10]
.LBB233_63:                             ;   in Loop: Header=BB233_48 Depth=2
	s_sub_co_i32 s37, s37, 48
	s_lshl_b32 s36, s36, 4
	s_wait_alu 0xfffe
	v_mov_b32_e32 v19, s37
	s_add_co_i32 s37, s40, s36
	ds_store_b128 v31, v[7:10]
	s_wait_alu 0xfffe
	v_mov_b32_e32 v23, s37
	s_sub_co_i32 s37, s39, s38
	ds_load_b128 v[19:22], v19
	s_wait_alu 0xfffe
	s_add_co_i32 s36, s37, s36
	ds_load_b128 v[23:26], v23
	s_wait_dscnt 0x1
	v_mul_f64_e32 v[40:41], v[13:14], v[21:22]
	v_mul_f64_e32 v[21:22], v[11:12], v[21:22]
	s_delay_alu instid0(VALU_DEP_2) | instskip(SKIP_2) | instid1(VALU_DEP_3)
	v_fma_f64 v[40:41], v[11:12], v[19:20], -v[40:41]
	s_wait_alu 0xfffe
	v_mov_b32_e32 v11, s36
	v_fma_f64 v[44:45], v[13:14], v[19:20], v[21:22]
	s_add_co_i32 s36, s39, 0xfffffe30
	ds_load_b128 v[19:22], v11
	s_wait_dscnt 0x1
	v_mul_f64_e32 v[42:43], v[17:18], v[25:26]
	v_mul_f64_e32 v[25:26], v[15:16], v[25:26]
	s_wait_alu 0xfffe
	v_mov_b32_e32 v11, s36
	ds_load_b128 v[11:14], v11
	s_wait_dscnt 0x1
	v_mul_f64_e32 v[46:47], v[9:10], v[21:22]
	v_mul_f64_e32 v[21:22], v[7:8], v[21:22]
	s_wait_dscnt 0x0
	v_cmp_ngt_f64_e64 s36, |v[11:12]|, |v[13:14]|
	v_add_f64_e64 v[3:4], v[3:4], -v[40:41]
	v_add_f64_e64 v[5:6], v[5:6], -v[44:45]
	v_fma_f64 v[15:16], v[15:16], v[23:24], -v[42:43]
	v_fma_f64 v[17:18], v[17:18], v[23:24], v[25:26]
	v_fma_f64 v[23:24], v[7:8], v[19:20], -v[46:47]
	v_fma_f64 v[19:20], v[9:10], v[19:20], v[21:22]
	s_and_b32 vcc_lo, exec_lo, s36
	s_mov_b32 s36, -1
	s_delay_alu instid0(VALU_DEP_4) | instskip(NEXT) | instid1(VALU_DEP_4)
	v_add_f64_e64 v[3:4], v[3:4], -v[15:16]
	v_add_f64_e64 v[5:6], v[5:6], -v[17:18]
	s_delay_alu instid0(VALU_DEP_2) | instskip(NEXT) | instid1(VALU_DEP_2)
	v_add_f64_e64 v[15:16], v[3:4], -v[23:24]
	v_add_f64_e64 v[17:18], v[5:6], -v[19:20]
                                        ; implicit-def: $vgpr5_vgpr6
	s_wait_alu 0xfffe
	s_cbranch_vccz .LBB233_65
; %bb.64:                               ;   in Loop: Header=BB233_48 Depth=2
	v_div_scale_f64 v[3:4], null, v[13:14], v[13:14], v[11:12]
	v_div_scale_f64 v[9:10], vcc_lo, v[11:12], v[13:14], v[11:12]
	s_mov_b32 s36, 0
	v_rcp_f64_e32 v[5:6], v[3:4]
	s_delay_alu instid0(TRANS32_DEP_1) | instskip(NEXT) | instid1(VALU_DEP_1)
	v_fma_f64 v[7:8], -v[3:4], v[5:6], 1.0
	v_fma_f64 v[5:6], v[5:6], v[7:8], v[5:6]
	s_delay_alu instid0(VALU_DEP_1) | instskip(NEXT) | instid1(VALU_DEP_1)
	v_fma_f64 v[7:8], -v[3:4], v[5:6], 1.0
	v_fma_f64 v[5:6], v[5:6], v[7:8], v[5:6]
	s_delay_alu instid0(VALU_DEP_1) | instskip(NEXT) | instid1(VALU_DEP_1)
	v_mul_f64_e32 v[7:8], v[9:10], v[5:6]
	v_fma_f64 v[3:4], -v[3:4], v[7:8], v[9:10]
	s_wait_alu 0xfffd
	s_delay_alu instid0(VALU_DEP_1) | instskip(NEXT) | instid1(VALU_DEP_1)
	v_div_fmas_f64 v[3:4], v[3:4], v[5:6], v[7:8]
	v_div_fixup_f64 v[3:4], v[3:4], v[13:14], v[11:12]
	s_delay_alu instid0(VALU_DEP_1) | instskip(NEXT) | instid1(VALU_DEP_1)
	v_fma_f64 v[5:6], v[11:12], v[3:4], v[13:14]
	v_div_scale_f64 v[7:8], null, v[5:6], v[5:6], 1.0
	v_div_scale_f64 v[21:22], vcc_lo, 1.0, v[5:6], 1.0
	s_delay_alu instid0(VALU_DEP_2) | instskip(NEXT) | instid1(TRANS32_DEP_1)
	v_rcp_f64_e32 v[9:10], v[7:8]
	v_fma_f64 v[19:20], -v[7:8], v[9:10], 1.0
	s_delay_alu instid0(VALU_DEP_1) | instskip(NEXT) | instid1(VALU_DEP_1)
	v_fma_f64 v[9:10], v[9:10], v[19:20], v[9:10]
	v_fma_f64 v[19:20], -v[7:8], v[9:10], 1.0
	s_delay_alu instid0(VALU_DEP_1) | instskip(NEXT) | instid1(VALU_DEP_1)
	v_fma_f64 v[9:10], v[9:10], v[19:20], v[9:10]
	v_mul_f64_e32 v[19:20], v[21:22], v[9:10]
	s_delay_alu instid0(VALU_DEP_1) | instskip(SKIP_1) | instid1(VALU_DEP_1)
	v_fma_f64 v[7:8], -v[7:8], v[19:20], v[21:22]
	s_wait_alu 0xfffd
	v_div_fmas_f64 v[7:8], v[7:8], v[9:10], v[19:20]
	v_fma_f64 v[9:10], v[3:4], v[15:16], v[17:18]
	s_delay_alu instid0(VALU_DEP_2) | instskip(SKIP_1) | instid1(VALU_DEP_2)
	v_div_fixup_f64 v[5:6], v[7:8], v[5:6], 1.0
	v_fma_f64 v[7:8], v[3:4], v[17:18], -v[15:16]
	v_mul_f64_e32 v[3:4], v[9:10], v[5:6]
	s_delay_alu instid0(VALU_DEP_2)
	v_mul_f64_e32 v[5:6], v[7:8], v[5:6]
.LBB233_65:                             ;   in Loop: Header=BB233_48 Depth=2
	s_wait_alu 0xfffe
	s_and_not1_b32 vcc_lo, exec_lo, s36
	s_wait_alu 0xfffe
	s_cbranch_vccnz .LBB233_67
; %bb.66:                               ;   in Loop: Header=BB233_48 Depth=2
	v_div_scale_f64 v[3:4], null, v[11:12], v[11:12], v[13:14]
	v_div_scale_f64 v[9:10], vcc_lo, v[13:14], v[11:12], v[13:14]
	s_delay_alu instid0(VALU_DEP_2) | instskip(NEXT) | instid1(TRANS32_DEP_1)
	v_rcp_f64_e32 v[5:6], v[3:4]
	v_fma_f64 v[7:8], -v[3:4], v[5:6], 1.0
	s_delay_alu instid0(VALU_DEP_1) | instskip(NEXT) | instid1(VALU_DEP_1)
	v_fma_f64 v[5:6], v[5:6], v[7:8], v[5:6]
	v_fma_f64 v[7:8], -v[3:4], v[5:6], 1.0
	s_delay_alu instid0(VALU_DEP_1) | instskip(NEXT) | instid1(VALU_DEP_1)
	v_fma_f64 v[5:6], v[5:6], v[7:8], v[5:6]
	v_mul_f64_e32 v[7:8], v[9:10], v[5:6]
	s_delay_alu instid0(VALU_DEP_1) | instskip(SKIP_1) | instid1(VALU_DEP_1)
	v_fma_f64 v[3:4], -v[3:4], v[7:8], v[9:10]
	s_wait_alu 0xfffd
	v_div_fmas_f64 v[3:4], v[3:4], v[5:6], v[7:8]
	s_delay_alu instid0(VALU_DEP_1) | instskip(NEXT) | instid1(VALU_DEP_1)
	v_div_fixup_f64 v[3:4], v[3:4], v[11:12], v[13:14]
	v_fma_f64 v[5:6], v[13:14], v[3:4], v[11:12]
	s_delay_alu instid0(VALU_DEP_1) | instskip(SKIP_1) | instid1(VALU_DEP_2)
	v_div_scale_f64 v[7:8], null, v[5:6], v[5:6], 1.0
	v_div_scale_f64 v[13:14], vcc_lo, 1.0, v[5:6], 1.0
	v_rcp_f64_e32 v[9:10], v[7:8]
	s_delay_alu instid0(TRANS32_DEP_1) | instskip(NEXT) | instid1(VALU_DEP_1)
	v_fma_f64 v[11:12], -v[7:8], v[9:10], 1.0
	v_fma_f64 v[9:10], v[9:10], v[11:12], v[9:10]
	s_delay_alu instid0(VALU_DEP_1) | instskip(NEXT) | instid1(VALU_DEP_1)
	v_fma_f64 v[11:12], -v[7:8], v[9:10], 1.0
	v_fma_f64 v[9:10], v[9:10], v[11:12], v[9:10]
	s_delay_alu instid0(VALU_DEP_1) | instskip(NEXT) | instid1(VALU_DEP_1)
	v_mul_f64_e32 v[11:12], v[13:14], v[9:10]
	v_fma_f64 v[7:8], -v[7:8], v[11:12], v[13:14]
	s_wait_alu 0xfffd
	s_delay_alu instid0(VALU_DEP_1) | instskip(SKIP_1) | instid1(VALU_DEP_2)
	v_div_fmas_f64 v[7:8], v[7:8], v[9:10], v[11:12]
	v_fma_f64 v[9:10], v[3:4], v[17:18], v[15:16]
	v_div_fixup_f64 v[5:6], v[7:8], v[5:6], 1.0
	v_fma_f64 v[7:8], -v[3:4], v[15:16], v[17:18]
	s_delay_alu instid0(VALU_DEP_2) | instskip(NEXT) | instid1(VALU_DEP_2)
	v_mul_f64_e32 v[3:4], v[9:10], v[5:6]
	v_mul_f64_e32 v[5:6], v[7:8], v[5:6]
.LBB233_67:                             ;   in Loop: Header=BB233_48 Depth=2
	s_add_co_i32 s36, s21, -4
	s_sub_co_i32 s20, s20, 64
	s_cmp_lt_i32 s21, 7
	ds_store_b128 v30, v[3:6]
	s_cbranch_scc1 .LBB233_69
; %bb.68:                               ;   in Loop: Header=BB233_48 Depth=2
	s_wait_alu 0xfffe
	s_mov_b32 s21, s36
	s_branch .LBB233_48
.LBB233_69:                             ;   in Loop: Header=BB233_3 Depth=1
	s_wait_alu 0xfffe
	s_cmp_lt_i32 s36, 0
	s_cbranch_scc1 .LBB233_78
; %bb.70:                               ;   in Loop: Header=BB233_3 Depth=1
	s_lshl_b32 s20, s36, 4
	s_wait_alu 0xfffe
	s_add_co_i32 s20, s33, s20
	s_branch .LBB233_72
.LBB233_71:                             ;   in Loop: Header=BB233_72 Depth=2
	s_add_co_i32 s21, s36, -1
	s_add_co_i32 s20, s20, -16
	s_cmp_lt_i32 s36, 1
	s_wait_alu 0xfffe
	s_mov_b32 s36, s21
	ds_store_b128 v15, v[11:14]
	s_cbranch_scc1 .LBB233_78
.LBB233_72:                             ;   Parent Loop BB233_3 Depth=1
                                        ; =>  This Loop Header: Depth=2
                                        ;       Child Loop BB233_73 Depth 3
	s_wait_alu 0xfffe
	s_mul_i32 s21, s36, 0x1c0
	v_mov_b32_e32 v7, v38
	s_wait_alu 0xfffe
	v_add_nc_u32_e32 v15, s21, v27
	s_cmp_le_i32 s27, s36
	s_mov_b32 s37, s20
	s_mov_b32 s38, s27
	ds_load_b128 v[3:6], v15
	s_cbranch_scc1 .LBB233_74
.LBB233_73:                             ;   Parent Loop BB233_3 Depth=1
                                        ;     Parent Loop BB233_72 Depth=2
                                        ; =>    This Inner Loop Header: Depth=3
	s_wait_alu 0xfffe
	v_mov_b32_e32 v12, s37
	s_add_co_i32 s38, s38, -1
	s_addk_co_i32 s37, 0xfe40
	s_wait_alu 0xfffe
	s_cmp_le_i32 s38, s36
	ds_load_b128 v[8:11], v7
	ds_load_b128 v[16:19], v12
	v_add_nc_u32_e32 v7, 0xfffffe40, v7
	s_wait_dscnt 0x0
	v_mul_f64_e32 v[12:13], v[18:19], v[10:11]
	v_mul_f64_e32 v[10:11], v[16:17], v[10:11]
	s_delay_alu instid0(VALU_DEP_2) | instskip(NEXT) | instid1(VALU_DEP_2)
	v_fma_f64 v[12:13], v[16:17], v[8:9], -v[12:13]
	v_fma_f64 v[8:9], v[18:19], v[8:9], v[10:11]
	s_delay_alu instid0(VALU_DEP_2) | instskip(NEXT) | instid1(VALU_DEP_2)
	v_add_f64_e64 v[3:4], v[3:4], -v[12:13]
	v_add_f64_e64 v[5:6], v[5:6], -v[8:9]
	s_cbranch_scc0 .LBB233_73
.LBB233_74:                             ;   in Loop: Header=BB233_72 Depth=2
	s_lshl_b32 s37, s36, 4
                                        ; implicit-def: $vgpr11_vgpr12
	s_wait_alu 0xfffe
	s_add_co_i32 s21, s37, s21
	s_wait_alu 0xfffe
	v_mov_b32_e32 v7, s21
	ds_load_b128 v[7:10], v7
	s_wait_dscnt 0x0
	v_cmp_ngt_f64_e64 s21, |v[7:8]|, |v[9:10]|
	s_and_b32 vcc_lo, exec_lo, s21
	s_mov_b32 s21, -1
	s_wait_alu 0xfffe
	s_cbranch_vccz .LBB233_76
; %bb.75:                               ;   in Loop: Header=BB233_72 Depth=2
	v_div_scale_f64 v[11:12], null, v[9:10], v[9:10], v[7:8]
	v_div_scale_f64 v[18:19], vcc_lo, v[7:8], v[9:10], v[7:8]
	s_mov_b32 s21, 0
	v_rcp_f64_e32 v[13:14], v[11:12]
	s_delay_alu instid0(TRANS32_DEP_1) | instskip(NEXT) | instid1(VALU_DEP_1)
	v_fma_f64 v[16:17], -v[11:12], v[13:14], 1.0
	v_fma_f64 v[13:14], v[13:14], v[16:17], v[13:14]
	s_delay_alu instid0(VALU_DEP_1) | instskip(NEXT) | instid1(VALU_DEP_1)
	v_fma_f64 v[16:17], -v[11:12], v[13:14], 1.0
	v_fma_f64 v[13:14], v[13:14], v[16:17], v[13:14]
	s_delay_alu instid0(VALU_DEP_1) | instskip(NEXT) | instid1(VALU_DEP_1)
	v_mul_f64_e32 v[16:17], v[18:19], v[13:14]
	v_fma_f64 v[11:12], -v[11:12], v[16:17], v[18:19]
	s_wait_alu 0xfffd
	s_delay_alu instid0(VALU_DEP_1) | instskip(NEXT) | instid1(VALU_DEP_1)
	v_div_fmas_f64 v[11:12], v[11:12], v[13:14], v[16:17]
	v_div_fixup_f64 v[11:12], v[11:12], v[9:10], v[7:8]
	s_delay_alu instid0(VALU_DEP_1) | instskip(NEXT) | instid1(VALU_DEP_1)
	v_fma_f64 v[13:14], v[7:8], v[11:12], v[9:10]
	v_div_scale_f64 v[16:17], null, v[13:14], v[13:14], 1.0
	v_div_scale_f64 v[22:23], vcc_lo, 1.0, v[13:14], 1.0
	s_delay_alu instid0(VALU_DEP_2) | instskip(NEXT) | instid1(TRANS32_DEP_1)
	v_rcp_f64_e32 v[18:19], v[16:17]
	v_fma_f64 v[20:21], -v[16:17], v[18:19], 1.0
	s_delay_alu instid0(VALU_DEP_1) | instskip(NEXT) | instid1(VALU_DEP_1)
	v_fma_f64 v[18:19], v[18:19], v[20:21], v[18:19]
	v_fma_f64 v[20:21], -v[16:17], v[18:19], 1.0
	s_delay_alu instid0(VALU_DEP_1) | instskip(NEXT) | instid1(VALU_DEP_1)
	v_fma_f64 v[18:19], v[18:19], v[20:21], v[18:19]
	v_mul_f64_e32 v[20:21], v[22:23], v[18:19]
	s_delay_alu instid0(VALU_DEP_1) | instskip(SKIP_1) | instid1(VALU_DEP_1)
	v_fma_f64 v[16:17], -v[16:17], v[20:21], v[22:23]
	s_wait_alu 0xfffd
	v_div_fmas_f64 v[16:17], v[16:17], v[18:19], v[20:21]
	v_fma_f64 v[18:19], v[3:4], v[11:12], v[5:6]
	s_delay_alu instid0(VALU_DEP_2) | instskip(SKIP_1) | instid1(VALU_DEP_2)
	v_div_fixup_f64 v[13:14], v[16:17], v[13:14], 1.0
	v_fma_f64 v[16:17], v[5:6], v[11:12], -v[3:4]
	v_mul_f64_e32 v[11:12], v[18:19], v[13:14]
	s_delay_alu instid0(VALU_DEP_2)
	v_mul_f64_e32 v[13:14], v[16:17], v[13:14]
.LBB233_76:                             ;   in Loop: Header=BB233_72 Depth=2
	s_wait_alu 0xfffe
	s_and_not1_b32 vcc_lo, exec_lo, s21
	s_wait_alu 0xfffe
	s_cbranch_vccnz .LBB233_71
; %bb.77:                               ;   in Loop: Header=BB233_72 Depth=2
	v_div_scale_f64 v[11:12], null, v[7:8], v[7:8], v[9:10]
	v_div_scale_f64 v[18:19], vcc_lo, v[9:10], v[7:8], v[9:10]
	s_delay_alu instid0(VALU_DEP_2) | instskip(NEXT) | instid1(TRANS32_DEP_1)
	v_rcp_f64_e32 v[13:14], v[11:12]
	v_fma_f64 v[16:17], -v[11:12], v[13:14], 1.0
	s_delay_alu instid0(VALU_DEP_1) | instskip(NEXT) | instid1(VALU_DEP_1)
	v_fma_f64 v[13:14], v[13:14], v[16:17], v[13:14]
	v_fma_f64 v[16:17], -v[11:12], v[13:14], 1.0
	s_delay_alu instid0(VALU_DEP_1) | instskip(NEXT) | instid1(VALU_DEP_1)
	v_fma_f64 v[13:14], v[13:14], v[16:17], v[13:14]
	v_mul_f64_e32 v[16:17], v[18:19], v[13:14]
	s_delay_alu instid0(VALU_DEP_1) | instskip(SKIP_1) | instid1(VALU_DEP_1)
	v_fma_f64 v[11:12], -v[11:12], v[16:17], v[18:19]
	s_wait_alu 0xfffd
	v_div_fmas_f64 v[11:12], v[11:12], v[13:14], v[16:17]
	s_delay_alu instid0(VALU_DEP_1) | instskip(NEXT) | instid1(VALU_DEP_1)
	v_div_fixup_f64 v[11:12], v[11:12], v[7:8], v[9:10]
	v_fma_f64 v[7:8], v[9:10], v[11:12], v[7:8]
	s_delay_alu instid0(VALU_DEP_1) | instskip(SKIP_1) | instid1(VALU_DEP_2)
	v_div_scale_f64 v[9:10], null, v[7:8], v[7:8], 1.0
	v_div_scale_f64 v[18:19], vcc_lo, 1.0, v[7:8], 1.0
	v_rcp_f64_e32 v[13:14], v[9:10]
	s_delay_alu instid0(TRANS32_DEP_1) | instskip(NEXT) | instid1(VALU_DEP_1)
	v_fma_f64 v[16:17], -v[9:10], v[13:14], 1.0
	v_fma_f64 v[13:14], v[13:14], v[16:17], v[13:14]
	s_delay_alu instid0(VALU_DEP_1) | instskip(NEXT) | instid1(VALU_DEP_1)
	v_fma_f64 v[16:17], -v[9:10], v[13:14], 1.0
	v_fma_f64 v[13:14], v[13:14], v[16:17], v[13:14]
	s_delay_alu instid0(VALU_DEP_1) | instskip(NEXT) | instid1(VALU_DEP_1)
	v_mul_f64_e32 v[16:17], v[18:19], v[13:14]
	v_fma_f64 v[9:10], -v[9:10], v[16:17], v[18:19]
	s_wait_alu 0xfffd
	s_delay_alu instid0(VALU_DEP_1) | instskip(SKIP_2) | instid1(VALU_DEP_3)
	v_div_fmas_f64 v[9:10], v[9:10], v[13:14], v[16:17]
	v_fma_f64 v[13:14], v[5:6], v[11:12], v[3:4]
	v_fma_f64 v[3:4], -v[3:4], v[11:12], v[5:6]
	v_div_fixup_f64 v[7:8], v[9:10], v[7:8], 1.0
	s_delay_alu instid0(VALU_DEP_1) | instskip(NEXT) | instid1(VALU_DEP_3)
	v_mul_f64_e32 v[11:12], v[13:14], v[7:8]
	v_mul_f64_e32 v[13:14], v[3:4], v[7:8]
	s_branch .LBB233_71
.LBB233_78:                             ;   in Loop: Header=BB233_3 Depth=1
	s_mov_b32 s20, 0
.LBB233_79:                             ;   in Loop: Header=BB233_3 Depth=1
	s_wait_alu 0xfffe
	s_and_not1_b32 vcc_lo, exec_lo, s20
	s_wait_alu 0xfffe
	s_cbranch_vccnz .LBB233_110
; %bb.80:                               ;   in Loop: Header=BB233_3 Depth=1
	s_mov_b32 s36, s27
	s_and_not1_b32 vcc_lo, exec_lo, s22
	s_mov_b32 s20, s34
	s_mov_b32 s21, s27
	s_wait_alu 0xfffe
	s_cbranch_vccnz .LBB233_101
.LBB233_81:                             ;   Parent Loop BB233_3 Depth=1
                                        ; =>  This Loop Header: Depth=2
                                        ;       Child Loop BB233_82 Depth 3
	s_wait_alu 0xfffe
	s_mul_i32 s36, s21, 28
	s_cmp_le_i32 s27, s21
	s_wait_alu 0xfffe
	v_lshl_add_u32 v41, s36, 4, v27
	s_mov_b32 s37, s20
	s_mov_b32 s38, s27
	s_delay_alu instid0(VALU_DEP_1)
	v_dual_mov_b32 v11, v38 :: v_dual_add_nc_u32 v40, 0xfffffe40, v41
	v_add_nc_u32_e32 v31, 0xfffffc80, v41
	v_add_nc_u32_e32 v30, 0xfffffac0, v41
	ds_load_b128 v[19:22], v41
	ds_load_b128 v[15:18], v40
	;; [unrolled: 1-line block ×4, first 2 shown]
	s_cbranch_scc1 .LBB233_83
.LBB233_82:                             ;   Parent Loop BB233_3 Depth=1
                                        ;     Parent Loop BB233_81 Depth=2
                                        ; =>    This Inner Loop Header: Depth=3
	s_wait_alu 0xfffe
	v_mov_b32_e32 v12, s37
	s_add_co_i32 s38, s38, -1
	s_add_co_i32 s37, s37, -16
	s_wait_alu 0xfffe
	s_cmp_le_i32 s38, s21
	ds_load_b128 v[23:26], v11
	ds_load_b128 v[42:45], v12 offset:1344
	ds_load_b128 v[46:49], v12 offset:896
	;; [unrolled: 1-line block ×3, first 2 shown]
	ds_load_b128 v[54:57], v12
	v_add_nc_u32_e32 v11, 0xfffffe40, v11
	s_wait_dscnt 0x3
	v_mul_f64_e32 v[12:13], v[25:26], v[44:45]
	v_mul_f64_e32 v[44:45], v[23:24], v[44:45]
	s_wait_dscnt 0x2
	v_mul_f64_e32 v[58:59], v[25:26], v[48:49]
	v_mul_f64_e32 v[48:49], v[23:24], v[48:49]
	s_wait_dscnt 0x1
	v_mul_f64_e32 v[60:61], v[25:26], v[52:53]
	v_mul_f64_e32 v[52:53], v[23:24], v[52:53]
	s_wait_dscnt 0x0
	v_mul_f64_e32 v[62:63], v[25:26], v[56:57]
	v_mul_f64_e32 v[56:57], v[23:24], v[56:57]
	v_fma_f64 v[12:13], v[23:24], v[42:43], -v[12:13]
	v_fma_f64 v[42:43], v[25:26], v[42:43], v[44:45]
	v_fma_f64 v[44:45], v[23:24], v[46:47], -v[58:59]
	v_fma_f64 v[46:47], v[25:26], v[46:47], v[48:49]
	;; [unrolled: 2-line block ×4, first 2 shown]
	v_add_f64_e64 v[19:20], v[19:20], -v[12:13]
	v_add_f64_e64 v[21:22], v[21:22], -v[42:43]
	v_add_f64_e64 v[15:16], v[15:16], -v[44:45]
	v_add_f64_e64 v[17:18], v[17:18], -v[46:47]
	v_add_f64_e64 v[7:8], v[7:8], -v[48:49]
	v_add_f64_e64 v[9:10], v[9:10], -v[50:51]
	v_add_f64_e64 v[3:4], v[3:4], -v[23:24]
	v_add_f64_e64 v[5:6], v[5:6], -v[25:26]
	s_cbranch_scc0 .LBB233_82
.LBB233_83:                             ;   in Loop: Header=BB233_81 Depth=2
	s_mul_i32 s37, s21, 0x1d0
	s_wait_alu 0xfffe
	v_mov_b32_e32 v11, s37
	ds_load_b128 v[23:26], v11
                                        ; implicit-def: $vgpr13_vgpr14
	s_wait_dscnt 0x0
	v_cmp_ngt_f64_e64 s37, |v[23:24]|, |v[25:26]|
	s_and_b32 vcc_lo, exec_lo, s37
	s_mov_b32 s37, -1
	s_wait_alu 0xfffe
	s_cbranch_vccz .LBB233_85
; %bb.84:                               ;   in Loop: Header=BB233_81 Depth=2
	v_div_scale_f64 v[11:12], null, v[25:26], v[25:26], v[23:24]
	v_div_scale_f64 v[44:45], vcc_lo, v[23:24], v[25:26], v[23:24]
	s_mov_b32 s37, 0
	v_rcp_f64_e32 v[13:14], v[11:12]
	s_delay_alu instid0(TRANS32_DEP_1) | instskip(NEXT) | instid1(VALU_DEP_1)
	v_fma_f64 v[42:43], -v[11:12], v[13:14], 1.0
	v_fma_f64 v[13:14], v[13:14], v[42:43], v[13:14]
	s_delay_alu instid0(VALU_DEP_1) | instskip(NEXT) | instid1(VALU_DEP_1)
	v_fma_f64 v[42:43], -v[11:12], v[13:14], 1.0
	v_fma_f64 v[13:14], v[13:14], v[42:43], v[13:14]
	s_delay_alu instid0(VALU_DEP_1) | instskip(NEXT) | instid1(VALU_DEP_1)
	v_mul_f64_e32 v[42:43], v[44:45], v[13:14]
	v_fma_f64 v[11:12], -v[11:12], v[42:43], v[44:45]
	s_wait_alu 0xfffd
	s_delay_alu instid0(VALU_DEP_1) | instskip(NEXT) | instid1(VALU_DEP_1)
	v_div_fmas_f64 v[11:12], v[11:12], v[13:14], v[42:43]
	v_div_fixup_f64 v[11:12], v[11:12], v[25:26], v[23:24]
	s_delay_alu instid0(VALU_DEP_1) | instskip(NEXT) | instid1(VALU_DEP_1)
	v_fma_f64 v[13:14], v[23:24], v[11:12], v[25:26]
	v_div_scale_f64 v[42:43], null, v[13:14], v[13:14], 1.0
	v_div_scale_f64 v[48:49], vcc_lo, 1.0, v[13:14], 1.0
	s_delay_alu instid0(VALU_DEP_2) | instskip(NEXT) | instid1(TRANS32_DEP_1)
	v_rcp_f64_e32 v[44:45], v[42:43]
	v_fma_f64 v[46:47], -v[42:43], v[44:45], 1.0
	s_delay_alu instid0(VALU_DEP_1) | instskip(NEXT) | instid1(VALU_DEP_1)
	v_fma_f64 v[44:45], v[44:45], v[46:47], v[44:45]
	v_fma_f64 v[46:47], -v[42:43], v[44:45], 1.0
	s_delay_alu instid0(VALU_DEP_1) | instskip(NEXT) | instid1(VALU_DEP_1)
	v_fma_f64 v[44:45], v[44:45], v[46:47], v[44:45]
	v_mul_f64_e32 v[46:47], v[48:49], v[44:45]
	s_delay_alu instid0(VALU_DEP_1) | instskip(SKIP_1) | instid1(VALU_DEP_1)
	v_fma_f64 v[42:43], -v[42:43], v[46:47], v[48:49]
	s_wait_alu 0xfffd
	v_div_fmas_f64 v[42:43], v[42:43], v[44:45], v[46:47]
	v_fma_f64 v[44:45], v[19:20], v[11:12], v[21:22]
	s_delay_alu instid0(VALU_DEP_2) | instskip(SKIP_1) | instid1(VALU_DEP_2)
	v_div_fixup_f64 v[13:14], v[42:43], v[13:14], 1.0
	v_fma_f64 v[42:43], v[21:22], v[11:12], -v[19:20]
	v_mul_f64_e32 v[11:12], v[44:45], v[13:14]
	s_delay_alu instid0(VALU_DEP_2)
	v_mul_f64_e32 v[13:14], v[42:43], v[13:14]
.LBB233_85:                             ;   in Loop: Header=BB233_81 Depth=2
	s_wait_alu 0xfffe
	s_and_not1_b32 vcc_lo, exec_lo, s37
	s_wait_alu 0xfffe
	s_cbranch_vccnz .LBB233_87
; %bb.86:                               ;   in Loop: Header=BB233_81 Depth=2
	v_div_scale_f64 v[11:12], null, v[23:24], v[23:24], v[25:26]
	v_div_scale_f64 v[44:45], vcc_lo, v[25:26], v[23:24], v[25:26]
	s_delay_alu instid0(VALU_DEP_2) | instskip(NEXT) | instid1(TRANS32_DEP_1)
	v_rcp_f64_e32 v[13:14], v[11:12]
	v_fma_f64 v[42:43], -v[11:12], v[13:14], 1.0
	s_delay_alu instid0(VALU_DEP_1) | instskip(NEXT) | instid1(VALU_DEP_1)
	v_fma_f64 v[13:14], v[13:14], v[42:43], v[13:14]
	v_fma_f64 v[42:43], -v[11:12], v[13:14], 1.0
	s_delay_alu instid0(VALU_DEP_1) | instskip(NEXT) | instid1(VALU_DEP_1)
	v_fma_f64 v[13:14], v[13:14], v[42:43], v[13:14]
	v_mul_f64_e32 v[42:43], v[44:45], v[13:14]
	s_delay_alu instid0(VALU_DEP_1) | instskip(SKIP_1) | instid1(VALU_DEP_1)
	v_fma_f64 v[11:12], -v[11:12], v[42:43], v[44:45]
	s_wait_alu 0xfffd
	v_div_fmas_f64 v[11:12], v[11:12], v[13:14], v[42:43]
	s_delay_alu instid0(VALU_DEP_1) | instskip(NEXT) | instid1(VALU_DEP_1)
	v_div_fixup_f64 v[11:12], v[11:12], v[23:24], v[25:26]
	v_fma_f64 v[13:14], v[25:26], v[11:12], v[23:24]
	s_delay_alu instid0(VALU_DEP_1) | instskip(SKIP_1) | instid1(VALU_DEP_2)
	v_div_scale_f64 v[23:24], null, v[13:14], v[13:14], 1.0
	v_div_scale_f64 v[44:45], vcc_lo, 1.0, v[13:14], 1.0
	v_rcp_f64_e32 v[25:26], v[23:24]
	s_delay_alu instid0(TRANS32_DEP_1) | instskip(NEXT) | instid1(VALU_DEP_1)
	v_fma_f64 v[42:43], -v[23:24], v[25:26], 1.0
	v_fma_f64 v[25:26], v[25:26], v[42:43], v[25:26]
	s_delay_alu instid0(VALU_DEP_1) | instskip(NEXT) | instid1(VALU_DEP_1)
	v_fma_f64 v[42:43], -v[23:24], v[25:26], 1.0
	v_fma_f64 v[25:26], v[25:26], v[42:43], v[25:26]
	s_delay_alu instid0(VALU_DEP_1) | instskip(NEXT) | instid1(VALU_DEP_1)
	v_mul_f64_e32 v[42:43], v[44:45], v[25:26]
	v_fma_f64 v[23:24], -v[23:24], v[42:43], v[44:45]
	s_wait_alu 0xfffd
	s_delay_alu instid0(VALU_DEP_1) | instskip(SKIP_2) | instid1(VALU_DEP_3)
	v_div_fmas_f64 v[23:24], v[23:24], v[25:26], v[42:43]
	v_fma_f64 v[25:26], v[21:22], v[11:12], v[19:20]
	v_fma_f64 v[19:20], -v[19:20], v[11:12], v[21:22]
	v_div_fixup_f64 v[13:14], v[23:24], v[13:14], 1.0
	s_delay_alu instid0(VALU_DEP_1) | instskip(NEXT) | instid1(VALU_DEP_3)
	v_mul_f64_e32 v[11:12], v[25:26], v[13:14]
	v_mul_f64_e32 v[13:14], v[19:20], v[13:14]
.LBB233_87:                             ;   in Loop: Header=BB233_81 Depth=2
	s_lshl_b32 s37, s36, 4
	s_lshl_b32 s36, s21, 4
	s_wait_alu 0xfffe
	s_addk_co_i32 s37, 0xfe40
	ds_store_b128 v41, v[11:14]
	s_wait_alu 0xfffe
	s_add_co_i32 s38, s37, s36
	s_wait_alu 0xfffe
	v_mov_b32_e32 v19, s38
	s_add_co_i32 s38, s38, -16
	ds_load_b128 v[23:26], v19
	s_wait_alu 0xfffe
	v_mov_b32_e32 v19, s38
	ds_load_b128 v[19:22], v19
	s_wait_dscnt 0x1
	v_mul_f64_e32 v[42:43], v[13:14], v[25:26]
	v_mul_f64_e32 v[25:26], v[11:12], v[25:26]
	s_wait_dscnt 0x0
	v_cmp_ngt_f64_e64 s38, |v[19:20]|, |v[21:22]|
	s_delay_alu instid0(VALU_DEP_3) | instskip(NEXT) | instid1(VALU_DEP_3)
	v_fma_f64 v[42:43], v[11:12], v[23:24], -v[42:43]
	v_fma_f64 v[25:26], v[13:14], v[23:24], v[25:26]
	s_and_b32 vcc_lo, exec_lo, s38
	s_mov_b32 s38, -1
	s_delay_alu instid0(VALU_DEP_2) | instskip(NEXT) | instid1(VALU_DEP_2)
	v_add_f64_e64 v[23:24], v[15:16], -v[42:43]
	v_add_f64_e64 v[25:26], v[17:18], -v[25:26]
                                        ; implicit-def: $vgpr17_vgpr18
	s_wait_alu 0xfffe
	s_cbranch_vccz .LBB233_89
; %bb.88:                               ;   in Loop: Header=BB233_81 Depth=2
	v_div_scale_f64 v[15:16], null, v[21:22], v[21:22], v[19:20]
	v_div_scale_f64 v[43:44], vcc_lo, v[19:20], v[21:22], v[19:20]
	s_mov_b32 s38, 0
	v_rcp_f64_e32 v[17:18], v[15:16]
	s_delay_alu instid0(TRANS32_DEP_1) | instskip(NEXT) | instid1(VALU_DEP_1)
	v_fma_f64 v[41:42], -v[15:16], v[17:18], 1.0
	v_fma_f64 v[17:18], v[17:18], v[41:42], v[17:18]
	s_delay_alu instid0(VALU_DEP_1) | instskip(NEXT) | instid1(VALU_DEP_1)
	v_fma_f64 v[41:42], -v[15:16], v[17:18], 1.0
	v_fma_f64 v[17:18], v[17:18], v[41:42], v[17:18]
	s_delay_alu instid0(VALU_DEP_1) | instskip(NEXT) | instid1(VALU_DEP_1)
	v_mul_f64_e32 v[41:42], v[43:44], v[17:18]
	v_fma_f64 v[15:16], -v[15:16], v[41:42], v[43:44]
	s_wait_alu 0xfffd
	s_delay_alu instid0(VALU_DEP_1) | instskip(NEXT) | instid1(VALU_DEP_1)
	v_div_fmas_f64 v[15:16], v[15:16], v[17:18], v[41:42]
	v_div_fixup_f64 v[15:16], v[15:16], v[21:22], v[19:20]
	s_delay_alu instid0(VALU_DEP_1) | instskip(NEXT) | instid1(VALU_DEP_1)
	v_fma_f64 v[17:18], v[19:20], v[15:16], v[21:22]
	v_div_scale_f64 v[41:42], null, v[17:18], v[17:18], 1.0
	v_div_scale_f64 v[47:48], vcc_lo, 1.0, v[17:18], 1.0
	s_delay_alu instid0(VALU_DEP_2) | instskip(NEXT) | instid1(TRANS32_DEP_1)
	v_rcp_f64_e32 v[43:44], v[41:42]
	v_fma_f64 v[45:46], -v[41:42], v[43:44], 1.0
	s_delay_alu instid0(VALU_DEP_1) | instskip(NEXT) | instid1(VALU_DEP_1)
	v_fma_f64 v[43:44], v[43:44], v[45:46], v[43:44]
	v_fma_f64 v[45:46], -v[41:42], v[43:44], 1.0
	s_delay_alu instid0(VALU_DEP_1) | instskip(NEXT) | instid1(VALU_DEP_1)
	v_fma_f64 v[43:44], v[43:44], v[45:46], v[43:44]
	v_mul_f64_e32 v[45:46], v[47:48], v[43:44]
	s_delay_alu instid0(VALU_DEP_1) | instskip(SKIP_1) | instid1(VALU_DEP_1)
	v_fma_f64 v[41:42], -v[41:42], v[45:46], v[47:48]
	s_wait_alu 0xfffd
	v_div_fmas_f64 v[41:42], v[41:42], v[43:44], v[45:46]
	v_fma_f64 v[43:44], v[15:16], v[23:24], v[25:26]
	s_delay_alu instid0(VALU_DEP_2) | instskip(SKIP_1) | instid1(VALU_DEP_2)
	v_div_fixup_f64 v[17:18], v[41:42], v[17:18], 1.0
	v_fma_f64 v[41:42], v[15:16], v[25:26], -v[23:24]
	v_mul_f64_e32 v[15:16], v[43:44], v[17:18]
	s_delay_alu instid0(VALU_DEP_2)
	v_mul_f64_e32 v[17:18], v[41:42], v[17:18]
.LBB233_89:                             ;   in Loop: Header=BB233_81 Depth=2
	s_wait_alu 0xfffe
	s_and_not1_b32 vcc_lo, exec_lo, s38
	s_wait_alu 0xfffe
	s_cbranch_vccnz .LBB233_91
; %bb.90:                               ;   in Loop: Header=BB233_81 Depth=2
	v_div_scale_f64 v[15:16], null, v[19:20], v[19:20], v[21:22]
	v_div_scale_f64 v[43:44], vcc_lo, v[21:22], v[19:20], v[21:22]
	s_delay_alu instid0(VALU_DEP_2) | instskip(NEXT) | instid1(TRANS32_DEP_1)
	v_rcp_f64_e32 v[17:18], v[15:16]
	v_fma_f64 v[41:42], -v[15:16], v[17:18], 1.0
	s_delay_alu instid0(VALU_DEP_1) | instskip(NEXT) | instid1(VALU_DEP_1)
	v_fma_f64 v[17:18], v[17:18], v[41:42], v[17:18]
	v_fma_f64 v[41:42], -v[15:16], v[17:18], 1.0
	s_delay_alu instid0(VALU_DEP_1) | instskip(NEXT) | instid1(VALU_DEP_1)
	v_fma_f64 v[17:18], v[17:18], v[41:42], v[17:18]
	v_mul_f64_e32 v[41:42], v[43:44], v[17:18]
	s_delay_alu instid0(VALU_DEP_1) | instskip(SKIP_1) | instid1(VALU_DEP_1)
	v_fma_f64 v[15:16], -v[15:16], v[41:42], v[43:44]
	s_wait_alu 0xfffd
	v_div_fmas_f64 v[15:16], v[15:16], v[17:18], v[41:42]
	s_delay_alu instid0(VALU_DEP_1) | instskip(NEXT) | instid1(VALU_DEP_1)
	v_div_fixup_f64 v[15:16], v[15:16], v[19:20], v[21:22]
	v_fma_f64 v[17:18], v[21:22], v[15:16], v[19:20]
	s_delay_alu instid0(VALU_DEP_1) | instskip(SKIP_1) | instid1(VALU_DEP_2)
	v_div_scale_f64 v[19:20], null, v[17:18], v[17:18], 1.0
	v_div_scale_f64 v[43:44], vcc_lo, 1.0, v[17:18], 1.0
	v_rcp_f64_e32 v[21:22], v[19:20]
	s_delay_alu instid0(TRANS32_DEP_1) | instskip(NEXT) | instid1(VALU_DEP_1)
	v_fma_f64 v[41:42], -v[19:20], v[21:22], 1.0
	v_fma_f64 v[21:22], v[21:22], v[41:42], v[21:22]
	s_delay_alu instid0(VALU_DEP_1) | instskip(NEXT) | instid1(VALU_DEP_1)
	v_fma_f64 v[41:42], -v[19:20], v[21:22], 1.0
	v_fma_f64 v[21:22], v[21:22], v[41:42], v[21:22]
	s_delay_alu instid0(VALU_DEP_1) | instskip(NEXT) | instid1(VALU_DEP_1)
	v_mul_f64_e32 v[41:42], v[43:44], v[21:22]
	v_fma_f64 v[19:20], -v[19:20], v[41:42], v[43:44]
	s_wait_alu 0xfffd
	s_delay_alu instid0(VALU_DEP_1) | instskip(SKIP_1) | instid1(VALU_DEP_2)
	v_div_fmas_f64 v[19:20], v[19:20], v[21:22], v[41:42]
	v_fma_f64 v[21:22], v[15:16], v[25:26], v[23:24]
	v_div_fixup_f64 v[17:18], v[19:20], v[17:18], 1.0
	v_fma_f64 v[19:20], -v[15:16], v[23:24], v[25:26]
	s_delay_alu instid0(VALU_DEP_2) | instskip(NEXT) | instid1(VALU_DEP_2)
	v_mul_f64_e32 v[15:16], v[21:22], v[17:18]
	v_mul_f64_e32 v[17:18], v[19:20], v[17:18]
.LBB233_91:                             ;   in Loop: Header=BB233_81 Depth=2
	s_addk_co_i32 s37, 0xfe40
	ds_store_b128 v40, v[15:18]
	s_wait_alu 0xfffe
	s_add_co_i32 s36, s37, s36
	s_wait_alu 0xfffe
	v_mov_b32_e32 v19, s36
	s_add_co_i32 s37, s36, -16
	s_wait_alu 0xfffe
	v_mov_b32_e32 v23, s37
	s_sub_co_i32 s37, s36, 32
	ds_load_b128 v[19:22], v19
	ds_load_b128 v[23:26], v23
	s_wait_dscnt 0x1
	v_mul_f64_e32 v[41:42], v[13:14], v[21:22]
	v_mul_f64_e32 v[21:22], v[11:12], v[21:22]
	s_wait_dscnt 0x0
	v_mul_f64_e32 v[43:44], v[17:18], v[25:26]
	v_mul_f64_e32 v[25:26], v[15:16], v[25:26]
	s_delay_alu instid0(VALU_DEP_4) | instskip(NEXT) | instid1(VALU_DEP_4)
	v_fma_f64 v[41:42], v[11:12], v[19:20], -v[41:42]
	v_fma_f64 v[19:20], v[13:14], v[19:20], v[21:22]
	s_delay_alu instid0(VALU_DEP_4) | instskip(NEXT) | instid1(VALU_DEP_4)
	v_fma_f64 v[43:44], v[15:16], v[23:24], -v[43:44]
	v_fma_f64 v[25:26], v[17:18], v[23:24], v[25:26]
	s_delay_alu instid0(VALU_DEP_4) | instskip(NEXT) | instid1(VALU_DEP_4)
	v_add_f64_e64 v[7:8], v[7:8], -v[41:42]
	v_add_f64_e64 v[9:10], v[9:10], -v[19:20]
	s_wait_alu 0xfffe
	v_mov_b32_e32 v19, s37
	ds_load_b128 v[19:22], v19
	s_wait_dscnt 0x0
	v_cmp_ngt_f64_e64 s37, |v[19:20]|, |v[21:22]|
	v_add_f64_e64 v[23:24], v[7:8], -v[43:44]
	v_add_f64_e64 v[25:26], v[9:10], -v[25:26]
                                        ; implicit-def: $vgpr9_vgpr10
	s_and_b32 vcc_lo, exec_lo, s37
	s_mov_b32 s37, -1
	s_wait_alu 0xfffe
	s_cbranch_vccz .LBB233_93
; %bb.92:                               ;   in Loop: Header=BB233_81 Depth=2
	v_div_scale_f64 v[7:8], null, v[21:22], v[21:22], v[19:20]
	v_div_scale_f64 v[42:43], vcc_lo, v[19:20], v[21:22], v[19:20]
	s_mov_b32 s37, 0
	v_rcp_f64_e32 v[9:10], v[7:8]
	s_delay_alu instid0(TRANS32_DEP_1) | instskip(NEXT) | instid1(VALU_DEP_1)
	v_fma_f64 v[40:41], -v[7:8], v[9:10], 1.0
	v_fma_f64 v[9:10], v[9:10], v[40:41], v[9:10]
	s_delay_alu instid0(VALU_DEP_1) | instskip(NEXT) | instid1(VALU_DEP_1)
	v_fma_f64 v[40:41], -v[7:8], v[9:10], 1.0
	v_fma_f64 v[9:10], v[9:10], v[40:41], v[9:10]
	s_delay_alu instid0(VALU_DEP_1) | instskip(NEXT) | instid1(VALU_DEP_1)
	v_mul_f64_e32 v[40:41], v[42:43], v[9:10]
	v_fma_f64 v[7:8], -v[7:8], v[40:41], v[42:43]
	s_wait_alu 0xfffd
	s_delay_alu instid0(VALU_DEP_1) | instskip(NEXT) | instid1(VALU_DEP_1)
	v_div_fmas_f64 v[7:8], v[7:8], v[9:10], v[40:41]
	v_div_fixup_f64 v[7:8], v[7:8], v[21:22], v[19:20]
	s_delay_alu instid0(VALU_DEP_1) | instskip(NEXT) | instid1(VALU_DEP_1)
	v_fma_f64 v[9:10], v[19:20], v[7:8], v[21:22]
	v_div_scale_f64 v[40:41], null, v[9:10], v[9:10], 1.0
	v_div_scale_f64 v[46:47], vcc_lo, 1.0, v[9:10], 1.0
	s_delay_alu instid0(VALU_DEP_2) | instskip(NEXT) | instid1(TRANS32_DEP_1)
	v_rcp_f64_e32 v[42:43], v[40:41]
	v_fma_f64 v[44:45], -v[40:41], v[42:43], 1.0
	s_delay_alu instid0(VALU_DEP_1) | instskip(NEXT) | instid1(VALU_DEP_1)
	v_fma_f64 v[42:43], v[42:43], v[44:45], v[42:43]
	v_fma_f64 v[44:45], -v[40:41], v[42:43], 1.0
	s_delay_alu instid0(VALU_DEP_1) | instskip(NEXT) | instid1(VALU_DEP_1)
	v_fma_f64 v[42:43], v[42:43], v[44:45], v[42:43]
	v_mul_f64_e32 v[44:45], v[46:47], v[42:43]
	s_delay_alu instid0(VALU_DEP_1) | instskip(SKIP_1) | instid1(VALU_DEP_1)
	v_fma_f64 v[40:41], -v[40:41], v[44:45], v[46:47]
	s_wait_alu 0xfffd
	v_div_fmas_f64 v[40:41], v[40:41], v[42:43], v[44:45]
	v_fma_f64 v[42:43], v[7:8], v[23:24], v[25:26]
	s_delay_alu instid0(VALU_DEP_2) | instskip(SKIP_1) | instid1(VALU_DEP_2)
	v_div_fixup_f64 v[9:10], v[40:41], v[9:10], 1.0
	v_fma_f64 v[40:41], v[7:8], v[25:26], -v[23:24]
	v_mul_f64_e32 v[7:8], v[42:43], v[9:10]
	s_delay_alu instid0(VALU_DEP_2)
	v_mul_f64_e32 v[9:10], v[40:41], v[9:10]
.LBB233_93:                             ;   in Loop: Header=BB233_81 Depth=2
	s_wait_alu 0xfffe
	s_and_not1_b32 vcc_lo, exec_lo, s37
	s_wait_alu 0xfffe
	s_cbranch_vccnz .LBB233_95
; %bb.94:                               ;   in Loop: Header=BB233_81 Depth=2
	v_div_scale_f64 v[7:8], null, v[19:20], v[19:20], v[21:22]
	v_div_scale_f64 v[42:43], vcc_lo, v[21:22], v[19:20], v[21:22]
	s_delay_alu instid0(VALU_DEP_2) | instskip(NEXT) | instid1(TRANS32_DEP_1)
	v_rcp_f64_e32 v[9:10], v[7:8]
	v_fma_f64 v[40:41], -v[7:8], v[9:10], 1.0
	s_delay_alu instid0(VALU_DEP_1) | instskip(NEXT) | instid1(VALU_DEP_1)
	v_fma_f64 v[9:10], v[9:10], v[40:41], v[9:10]
	v_fma_f64 v[40:41], -v[7:8], v[9:10], 1.0
	s_delay_alu instid0(VALU_DEP_1) | instskip(NEXT) | instid1(VALU_DEP_1)
	v_fma_f64 v[9:10], v[9:10], v[40:41], v[9:10]
	v_mul_f64_e32 v[40:41], v[42:43], v[9:10]
	s_delay_alu instid0(VALU_DEP_1) | instskip(SKIP_1) | instid1(VALU_DEP_1)
	v_fma_f64 v[7:8], -v[7:8], v[40:41], v[42:43]
	s_wait_alu 0xfffd
	v_div_fmas_f64 v[7:8], v[7:8], v[9:10], v[40:41]
	s_delay_alu instid0(VALU_DEP_1) | instskip(NEXT) | instid1(VALU_DEP_1)
	v_div_fixup_f64 v[7:8], v[7:8], v[19:20], v[21:22]
	v_fma_f64 v[9:10], v[21:22], v[7:8], v[19:20]
	s_delay_alu instid0(VALU_DEP_1) | instskip(SKIP_1) | instid1(VALU_DEP_2)
	v_div_scale_f64 v[19:20], null, v[9:10], v[9:10], 1.0
	v_div_scale_f64 v[42:43], vcc_lo, 1.0, v[9:10], 1.0
	v_rcp_f64_e32 v[21:22], v[19:20]
	s_delay_alu instid0(TRANS32_DEP_1) | instskip(NEXT) | instid1(VALU_DEP_1)
	v_fma_f64 v[40:41], -v[19:20], v[21:22], 1.0
	v_fma_f64 v[21:22], v[21:22], v[40:41], v[21:22]
	s_delay_alu instid0(VALU_DEP_1) | instskip(NEXT) | instid1(VALU_DEP_1)
	v_fma_f64 v[40:41], -v[19:20], v[21:22], 1.0
	v_fma_f64 v[21:22], v[21:22], v[40:41], v[21:22]
	s_delay_alu instid0(VALU_DEP_1) | instskip(NEXT) | instid1(VALU_DEP_1)
	v_mul_f64_e32 v[40:41], v[42:43], v[21:22]
	v_fma_f64 v[19:20], -v[19:20], v[40:41], v[42:43]
	s_wait_alu 0xfffd
	s_delay_alu instid0(VALU_DEP_1) | instskip(SKIP_1) | instid1(VALU_DEP_2)
	v_div_fmas_f64 v[19:20], v[19:20], v[21:22], v[40:41]
	v_fma_f64 v[21:22], v[7:8], v[25:26], v[23:24]
	v_div_fixup_f64 v[9:10], v[19:20], v[9:10], 1.0
	v_fma_f64 v[19:20], -v[7:8], v[23:24], v[25:26]
	s_delay_alu instid0(VALU_DEP_2) | instskip(NEXT) | instid1(VALU_DEP_2)
	v_mul_f64_e32 v[7:8], v[21:22], v[9:10]
	v_mul_f64_e32 v[9:10], v[19:20], v[9:10]
.LBB233_95:                             ;   in Loop: Header=BB233_81 Depth=2
	s_add_co_i32 s37, s36, 0xfffffe40
	ds_store_b128 v31, v[7:10]
	s_wait_alu 0xfffe
	v_mov_b32_e32 v19, s37
	s_add_co_i32 s37, s36, 0xfffffe30
	s_wait_alu 0xfffe
	v_mov_b32_e32 v23, s37
	s_add_co_i32 s37, s36, 0xfffffe20
	ds_load_b128 v[19:22], v19
	s_addk_co_i32 s36, 0xfe10
	ds_load_b128 v[23:26], v23
	s_wait_dscnt 0x1
	v_mul_f64_e32 v[40:41], v[13:14], v[21:22]
	v_mul_f64_e32 v[21:22], v[11:12], v[21:22]
	s_delay_alu instid0(VALU_DEP_2) | instskip(SKIP_2) | instid1(VALU_DEP_3)
	v_fma_f64 v[40:41], v[11:12], v[19:20], -v[40:41]
	s_wait_alu 0xfffe
	v_mov_b32_e32 v11, s37
	v_fma_f64 v[44:45], v[13:14], v[19:20], v[21:22]
	ds_load_b128 v[19:22], v11
	s_wait_dscnt 0x1
	v_mul_f64_e32 v[42:43], v[17:18], v[25:26]
	v_mul_f64_e32 v[25:26], v[15:16], v[25:26]
	v_mov_b32_e32 v11, s36
	ds_load_b128 v[11:14], v11
	s_wait_dscnt 0x1
	v_mul_f64_e32 v[46:47], v[9:10], v[21:22]
	v_mul_f64_e32 v[21:22], v[7:8], v[21:22]
	s_wait_dscnt 0x0
	v_cmp_ngt_f64_e64 s36, |v[11:12]|, |v[13:14]|
	v_add_f64_e64 v[3:4], v[3:4], -v[40:41]
	v_add_f64_e64 v[5:6], v[5:6], -v[44:45]
	v_fma_f64 v[15:16], v[15:16], v[23:24], -v[42:43]
	v_fma_f64 v[17:18], v[17:18], v[23:24], v[25:26]
	v_fma_f64 v[23:24], v[7:8], v[19:20], -v[46:47]
	v_fma_f64 v[19:20], v[9:10], v[19:20], v[21:22]
	s_and_b32 vcc_lo, exec_lo, s36
	s_mov_b32 s36, -1
	s_delay_alu instid0(VALU_DEP_4) | instskip(NEXT) | instid1(VALU_DEP_4)
	v_add_f64_e64 v[3:4], v[3:4], -v[15:16]
	v_add_f64_e64 v[5:6], v[5:6], -v[17:18]
	s_delay_alu instid0(VALU_DEP_2) | instskip(NEXT) | instid1(VALU_DEP_2)
	v_add_f64_e64 v[15:16], v[3:4], -v[23:24]
	v_add_f64_e64 v[17:18], v[5:6], -v[19:20]
                                        ; implicit-def: $vgpr5_vgpr6
	s_wait_alu 0xfffe
	s_cbranch_vccz .LBB233_97
; %bb.96:                               ;   in Loop: Header=BB233_81 Depth=2
	v_div_scale_f64 v[3:4], null, v[13:14], v[13:14], v[11:12]
	v_div_scale_f64 v[9:10], vcc_lo, v[11:12], v[13:14], v[11:12]
	s_mov_b32 s36, 0
	v_rcp_f64_e32 v[5:6], v[3:4]
	s_delay_alu instid0(TRANS32_DEP_1) | instskip(NEXT) | instid1(VALU_DEP_1)
	v_fma_f64 v[7:8], -v[3:4], v[5:6], 1.0
	v_fma_f64 v[5:6], v[5:6], v[7:8], v[5:6]
	s_delay_alu instid0(VALU_DEP_1) | instskip(NEXT) | instid1(VALU_DEP_1)
	v_fma_f64 v[7:8], -v[3:4], v[5:6], 1.0
	v_fma_f64 v[5:6], v[5:6], v[7:8], v[5:6]
	s_delay_alu instid0(VALU_DEP_1) | instskip(NEXT) | instid1(VALU_DEP_1)
	v_mul_f64_e32 v[7:8], v[9:10], v[5:6]
	v_fma_f64 v[3:4], -v[3:4], v[7:8], v[9:10]
	s_wait_alu 0xfffd
	s_delay_alu instid0(VALU_DEP_1) | instskip(NEXT) | instid1(VALU_DEP_1)
	v_div_fmas_f64 v[3:4], v[3:4], v[5:6], v[7:8]
	v_div_fixup_f64 v[3:4], v[3:4], v[13:14], v[11:12]
	s_delay_alu instid0(VALU_DEP_1) | instskip(NEXT) | instid1(VALU_DEP_1)
	v_fma_f64 v[5:6], v[11:12], v[3:4], v[13:14]
	v_div_scale_f64 v[7:8], null, v[5:6], v[5:6], 1.0
	v_div_scale_f64 v[21:22], vcc_lo, 1.0, v[5:6], 1.0
	s_delay_alu instid0(VALU_DEP_2) | instskip(NEXT) | instid1(TRANS32_DEP_1)
	v_rcp_f64_e32 v[9:10], v[7:8]
	v_fma_f64 v[19:20], -v[7:8], v[9:10], 1.0
	s_delay_alu instid0(VALU_DEP_1) | instskip(NEXT) | instid1(VALU_DEP_1)
	v_fma_f64 v[9:10], v[9:10], v[19:20], v[9:10]
	v_fma_f64 v[19:20], -v[7:8], v[9:10], 1.0
	s_delay_alu instid0(VALU_DEP_1) | instskip(NEXT) | instid1(VALU_DEP_1)
	v_fma_f64 v[9:10], v[9:10], v[19:20], v[9:10]
	v_mul_f64_e32 v[19:20], v[21:22], v[9:10]
	s_delay_alu instid0(VALU_DEP_1) | instskip(SKIP_1) | instid1(VALU_DEP_1)
	v_fma_f64 v[7:8], -v[7:8], v[19:20], v[21:22]
	s_wait_alu 0xfffd
	v_div_fmas_f64 v[7:8], v[7:8], v[9:10], v[19:20]
	v_fma_f64 v[9:10], v[3:4], v[15:16], v[17:18]
	s_delay_alu instid0(VALU_DEP_2) | instskip(SKIP_1) | instid1(VALU_DEP_2)
	v_div_fixup_f64 v[5:6], v[7:8], v[5:6], 1.0
	v_fma_f64 v[7:8], v[3:4], v[17:18], -v[15:16]
	v_mul_f64_e32 v[3:4], v[9:10], v[5:6]
	s_delay_alu instid0(VALU_DEP_2)
	v_mul_f64_e32 v[5:6], v[7:8], v[5:6]
.LBB233_97:                             ;   in Loop: Header=BB233_81 Depth=2
	s_wait_alu 0xfffe
	s_and_not1_b32 vcc_lo, exec_lo, s36
	s_wait_alu 0xfffe
	s_cbranch_vccnz .LBB233_99
; %bb.98:                               ;   in Loop: Header=BB233_81 Depth=2
	v_div_scale_f64 v[3:4], null, v[11:12], v[11:12], v[13:14]
	v_div_scale_f64 v[9:10], vcc_lo, v[13:14], v[11:12], v[13:14]
	s_delay_alu instid0(VALU_DEP_2) | instskip(NEXT) | instid1(TRANS32_DEP_1)
	v_rcp_f64_e32 v[5:6], v[3:4]
	v_fma_f64 v[7:8], -v[3:4], v[5:6], 1.0
	s_delay_alu instid0(VALU_DEP_1) | instskip(NEXT) | instid1(VALU_DEP_1)
	v_fma_f64 v[5:6], v[5:6], v[7:8], v[5:6]
	v_fma_f64 v[7:8], -v[3:4], v[5:6], 1.0
	s_delay_alu instid0(VALU_DEP_1) | instskip(NEXT) | instid1(VALU_DEP_1)
	v_fma_f64 v[5:6], v[5:6], v[7:8], v[5:6]
	v_mul_f64_e32 v[7:8], v[9:10], v[5:6]
	s_delay_alu instid0(VALU_DEP_1) | instskip(SKIP_1) | instid1(VALU_DEP_1)
	v_fma_f64 v[3:4], -v[3:4], v[7:8], v[9:10]
	s_wait_alu 0xfffd
	v_div_fmas_f64 v[3:4], v[3:4], v[5:6], v[7:8]
	s_delay_alu instid0(VALU_DEP_1) | instskip(NEXT) | instid1(VALU_DEP_1)
	v_div_fixup_f64 v[3:4], v[3:4], v[11:12], v[13:14]
	v_fma_f64 v[5:6], v[13:14], v[3:4], v[11:12]
	s_delay_alu instid0(VALU_DEP_1) | instskip(SKIP_1) | instid1(VALU_DEP_2)
	v_div_scale_f64 v[7:8], null, v[5:6], v[5:6], 1.0
	v_div_scale_f64 v[13:14], vcc_lo, 1.0, v[5:6], 1.0
	v_rcp_f64_e32 v[9:10], v[7:8]
	s_delay_alu instid0(TRANS32_DEP_1) | instskip(NEXT) | instid1(VALU_DEP_1)
	v_fma_f64 v[11:12], -v[7:8], v[9:10], 1.0
	v_fma_f64 v[9:10], v[9:10], v[11:12], v[9:10]
	s_delay_alu instid0(VALU_DEP_1) | instskip(NEXT) | instid1(VALU_DEP_1)
	v_fma_f64 v[11:12], -v[7:8], v[9:10], 1.0
	v_fma_f64 v[9:10], v[9:10], v[11:12], v[9:10]
	s_delay_alu instid0(VALU_DEP_1) | instskip(NEXT) | instid1(VALU_DEP_1)
	v_mul_f64_e32 v[11:12], v[13:14], v[9:10]
	v_fma_f64 v[7:8], -v[7:8], v[11:12], v[13:14]
	s_wait_alu 0xfffd
	s_delay_alu instid0(VALU_DEP_1) | instskip(SKIP_1) | instid1(VALU_DEP_2)
	v_div_fmas_f64 v[7:8], v[7:8], v[9:10], v[11:12]
	v_fma_f64 v[9:10], v[3:4], v[17:18], v[15:16]
	v_div_fixup_f64 v[5:6], v[7:8], v[5:6], 1.0
	v_fma_f64 v[7:8], -v[3:4], v[15:16], v[17:18]
	s_delay_alu instid0(VALU_DEP_2) | instskip(NEXT) | instid1(VALU_DEP_2)
	v_mul_f64_e32 v[3:4], v[9:10], v[5:6]
	v_mul_f64_e32 v[5:6], v[7:8], v[5:6]
.LBB233_99:                             ;   in Loop: Header=BB233_81 Depth=2
	s_add_co_i32 s36, s21, -4
	s_addk_co_i32 s20, 0xf900
	s_cmp_lt_i32 s21, 7
	ds_store_b128 v30, v[3:6]
	s_cbranch_scc1 .LBB233_101
; %bb.100:                              ;   in Loop: Header=BB233_81 Depth=2
	s_wait_alu 0xfffe
	s_mov_b32 s21, s36
	s_branch .LBB233_81
.LBB233_101:                            ;   in Loop: Header=BB233_3 Depth=1
	s_wait_alu 0xfffe
	s_cmp_lt_i32 s36, 0
	s_cbranch_scc1 .LBB233_110
; %bb.102:                              ;   in Loop: Header=BB233_3 Depth=1
	s_mul_i32 s20, s36, 0x1c0
	s_wait_alu 0xfffe
	s_add_co_i32 s20, s35, s20
	s_branch .LBB233_104
.LBB233_103:                            ;   in Loop: Header=BB233_104 Depth=2
	v_sub_co_u32 v3, s21, s36, 1
	s_and_b32 vcc_lo, exec_lo, s21
	s_addk_co_i32 s20, 0xfe40
	ds_store_b128 v15, v[11:14]
	v_readfirstlane_b32 s36, v3
	s_wait_alu 0xfffe
	s_cbranch_vccnz .LBB233_110
.LBB233_104:                            ;   Parent Loop BB233_3 Depth=1
                                        ; =>  This Loop Header: Depth=2
                                        ;       Child Loop BB233_105 Depth 3
	s_wait_alu 0xf1ff
	v_mad_co_u64_u32 v[15:16], null, 0x1c0, s36, v[27:28]
	v_mov_b32_e32 v7, v38
	s_cmp_le_i32 s27, s36
	s_wait_alu 0xfffe
	s_mov_b32 s21, s20
	s_mov_b32 s37, s27
	ds_load_b128 v[3:6], v15
	s_cbranch_scc1 .LBB233_106
.LBB233_105:                            ;   Parent Loop BB233_3 Depth=1
                                        ;     Parent Loop BB233_104 Depth=2
                                        ; =>    This Inner Loop Header: Depth=3
	s_wait_alu 0xfffe
	v_mov_b32_e32 v12, s21
	s_add_co_i32 s37, s37, -1
	s_add_co_i32 s21, s21, -16
	s_wait_alu 0xfffe
	s_cmp_le_u32 s37, s36
	ds_load_b128 v[8:11], v7
	ds_load_b128 v[16:19], v12
	v_add_nc_u32_e32 v7, 0xfffffe40, v7
	s_wait_dscnt 0x0
	v_mul_f64_e32 v[12:13], v[18:19], v[10:11]
	v_mul_f64_e32 v[10:11], v[16:17], v[10:11]
	s_delay_alu instid0(VALU_DEP_2) | instskip(NEXT) | instid1(VALU_DEP_2)
	v_fma_f64 v[12:13], v[16:17], v[8:9], -v[12:13]
	v_fma_f64 v[8:9], v[18:19], v[8:9], v[10:11]
	s_delay_alu instid0(VALU_DEP_2) | instskip(NEXT) | instid1(VALU_DEP_2)
	v_add_f64_e64 v[3:4], v[3:4], -v[12:13]
	v_add_f64_e64 v[5:6], v[5:6], -v[8:9]
	s_cbranch_scc0 .LBB233_105
.LBB233_106:                            ;   in Loop: Header=BB233_104 Depth=2
	s_mul_i32 s21, s36, 0x1d0
                                        ; implicit-def: $vgpr11_vgpr12
	s_wait_alu 0xfffe
	v_mov_b32_e32 v7, s21
	ds_load_b128 v[7:10], v7
	s_wait_dscnt 0x0
	v_cmp_ngt_f64_e64 s21, |v[7:8]|, |v[9:10]|
	s_and_b32 vcc_lo, exec_lo, s21
	s_mov_b32 s21, -1
	s_wait_alu 0xfffe
	s_cbranch_vccz .LBB233_108
; %bb.107:                              ;   in Loop: Header=BB233_104 Depth=2
	v_div_scale_f64 v[11:12], null, v[9:10], v[9:10], v[7:8]
	v_div_scale_f64 v[18:19], vcc_lo, v[7:8], v[9:10], v[7:8]
	s_mov_b32 s21, 0
	v_rcp_f64_e32 v[13:14], v[11:12]
	s_delay_alu instid0(TRANS32_DEP_1) | instskip(NEXT) | instid1(VALU_DEP_1)
	v_fma_f64 v[16:17], -v[11:12], v[13:14], 1.0
	v_fma_f64 v[13:14], v[13:14], v[16:17], v[13:14]
	s_delay_alu instid0(VALU_DEP_1) | instskip(NEXT) | instid1(VALU_DEP_1)
	v_fma_f64 v[16:17], -v[11:12], v[13:14], 1.0
	v_fma_f64 v[13:14], v[13:14], v[16:17], v[13:14]
	s_delay_alu instid0(VALU_DEP_1) | instskip(NEXT) | instid1(VALU_DEP_1)
	v_mul_f64_e32 v[16:17], v[18:19], v[13:14]
	v_fma_f64 v[11:12], -v[11:12], v[16:17], v[18:19]
	s_wait_alu 0xfffd
	s_delay_alu instid0(VALU_DEP_1) | instskip(NEXT) | instid1(VALU_DEP_1)
	v_div_fmas_f64 v[11:12], v[11:12], v[13:14], v[16:17]
	v_div_fixup_f64 v[11:12], v[11:12], v[9:10], v[7:8]
	s_delay_alu instid0(VALU_DEP_1) | instskip(NEXT) | instid1(VALU_DEP_1)
	v_fma_f64 v[13:14], v[7:8], v[11:12], v[9:10]
	v_div_scale_f64 v[16:17], null, v[13:14], v[13:14], 1.0
	v_div_scale_f64 v[22:23], vcc_lo, 1.0, v[13:14], 1.0
	s_delay_alu instid0(VALU_DEP_2) | instskip(NEXT) | instid1(TRANS32_DEP_1)
	v_rcp_f64_e32 v[18:19], v[16:17]
	v_fma_f64 v[20:21], -v[16:17], v[18:19], 1.0
	s_delay_alu instid0(VALU_DEP_1) | instskip(NEXT) | instid1(VALU_DEP_1)
	v_fma_f64 v[18:19], v[18:19], v[20:21], v[18:19]
	v_fma_f64 v[20:21], -v[16:17], v[18:19], 1.0
	s_delay_alu instid0(VALU_DEP_1) | instskip(NEXT) | instid1(VALU_DEP_1)
	v_fma_f64 v[18:19], v[18:19], v[20:21], v[18:19]
	v_mul_f64_e32 v[20:21], v[22:23], v[18:19]
	s_delay_alu instid0(VALU_DEP_1) | instskip(SKIP_1) | instid1(VALU_DEP_1)
	v_fma_f64 v[16:17], -v[16:17], v[20:21], v[22:23]
	s_wait_alu 0xfffd
	v_div_fmas_f64 v[16:17], v[16:17], v[18:19], v[20:21]
	v_fma_f64 v[18:19], v[3:4], v[11:12], v[5:6]
	s_delay_alu instid0(VALU_DEP_2) | instskip(SKIP_1) | instid1(VALU_DEP_2)
	v_div_fixup_f64 v[13:14], v[16:17], v[13:14], 1.0
	v_fma_f64 v[16:17], v[5:6], v[11:12], -v[3:4]
	v_mul_f64_e32 v[11:12], v[18:19], v[13:14]
	s_delay_alu instid0(VALU_DEP_2)
	v_mul_f64_e32 v[13:14], v[16:17], v[13:14]
.LBB233_108:                            ;   in Loop: Header=BB233_104 Depth=2
	s_wait_alu 0xfffe
	s_and_not1_b32 vcc_lo, exec_lo, s21
	s_wait_alu 0xfffe
	s_cbranch_vccnz .LBB233_103
; %bb.109:                              ;   in Loop: Header=BB233_104 Depth=2
	v_div_scale_f64 v[11:12], null, v[7:8], v[7:8], v[9:10]
	v_div_scale_f64 v[18:19], vcc_lo, v[9:10], v[7:8], v[9:10]
	s_delay_alu instid0(VALU_DEP_2) | instskip(NEXT) | instid1(TRANS32_DEP_1)
	v_rcp_f64_e32 v[13:14], v[11:12]
	v_fma_f64 v[16:17], -v[11:12], v[13:14], 1.0
	s_delay_alu instid0(VALU_DEP_1) | instskip(NEXT) | instid1(VALU_DEP_1)
	v_fma_f64 v[13:14], v[13:14], v[16:17], v[13:14]
	v_fma_f64 v[16:17], -v[11:12], v[13:14], 1.0
	s_delay_alu instid0(VALU_DEP_1) | instskip(NEXT) | instid1(VALU_DEP_1)
	v_fma_f64 v[13:14], v[13:14], v[16:17], v[13:14]
	v_mul_f64_e32 v[16:17], v[18:19], v[13:14]
	s_delay_alu instid0(VALU_DEP_1) | instskip(SKIP_1) | instid1(VALU_DEP_1)
	v_fma_f64 v[11:12], -v[11:12], v[16:17], v[18:19]
	s_wait_alu 0xfffd
	v_div_fmas_f64 v[11:12], v[11:12], v[13:14], v[16:17]
	s_delay_alu instid0(VALU_DEP_1) | instskip(NEXT) | instid1(VALU_DEP_1)
	v_div_fixup_f64 v[11:12], v[11:12], v[7:8], v[9:10]
	v_fma_f64 v[7:8], v[9:10], v[11:12], v[7:8]
	s_delay_alu instid0(VALU_DEP_1) | instskip(SKIP_1) | instid1(VALU_DEP_2)
	v_div_scale_f64 v[9:10], null, v[7:8], v[7:8], 1.0
	v_div_scale_f64 v[18:19], vcc_lo, 1.0, v[7:8], 1.0
	v_rcp_f64_e32 v[13:14], v[9:10]
	s_delay_alu instid0(TRANS32_DEP_1) | instskip(NEXT) | instid1(VALU_DEP_1)
	v_fma_f64 v[16:17], -v[9:10], v[13:14], 1.0
	v_fma_f64 v[13:14], v[13:14], v[16:17], v[13:14]
	s_delay_alu instid0(VALU_DEP_1) | instskip(NEXT) | instid1(VALU_DEP_1)
	v_fma_f64 v[16:17], -v[9:10], v[13:14], 1.0
	v_fma_f64 v[13:14], v[13:14], v[16:17], v[13:14]
	s_delay_alu instid0(VALU_DEP_1) | instskip(NEXT) | instid1(VALU_DEP_1)
	v_mul_f64_e32 v[16:17], v[18:19], v[13:14]
	v_fma_f64 v[9:10], -v[9:10], v[16:17], v[18:19]
	s_wait_alu 0xfffd
	s_delay_alu instid0(VALU_DEP_1) | instskip(SKIP_2) | instid1(VALU_DEP_3)
	v_div_fmas_f64 v[9:10], v[9:10], v[13:14], v[16:17]
	v_fma_f64 v[13:14], v[5:6], v[11:12], v[3:4]
	v_fma_f64 v[3:4], -v[3:4], v[11:12], v[5:6]
	v_div_fixup_f64 v[7:8], v[9:10], v[7:8], 1.0
	s_delay_alu instid0(VALU_DEP_1) | instskip(NEXT) | instid1(VALU_DEP_3)
	v_mul_f64_e32 v[11:12], v[13:14], v[7:8]
	v_mul_f64_e32 v[13:14], v[3:4], v[7:8]
	s_branch .LBB233_103
.LBB233_110:                            ;   in Loop: Header=BB233_3 Depth=1
	s_mov_b32 s20, 0
.LBB233_111:                            ;   in Loop: Header=BB233_3 Depth=1
	s_wait_alu 0xfffe
	s_and_not1_b32 vcc_lo, exec_lo, s20
	s_wait_alu 0xfffe
	s_cbranch_vccnz .LBB233_143
; %bb.112:                              ;   in Loop: Header=BB233_3 Depth=1
	s_and_not1_b32 vcc_lo, exec_lo, s22
	s_mov_b32 s36, 0
	s_wait_alu 0xfffe
	s_cbranch_vccnz .LBB233_134
; %bb.113:                              ;   in Loop: Header=BB233_3 Depth=1
	s_mov_b32 s20, 0
	s_mov_b32 s21, 0
.LBB233_114:                            ;   Parent Loop BB233_3 Depth=1
                                        ; =>  This Loop Header: Depth=2
                                        ;       Child Loop BB233_115 Depth 3
	s_wait_alu 0xfffe
	s_mul_i32 s36, s21, 28
	v_mov_b32_e32 v11, v27
	s_wait_alu 0xfffe
	v_lshl_add_u32 v30, s36, 4, v27
	s_cmp_eq_u32 s21, 0
	s_mov_b32 s37, s20
	s_mov_b32 s38, s21
	ds_load_b128 v[19:22], v30
	ds_load_b128 v[15:18], v30 offset:448
	ds_load_b128 v[7:10], v30 offset:896
	;; [unrolled: 1-line block ×3, first 2 shown]
	s_cbranch_scc1 .LBB233_116
.LBB233_115:                            ;   Parent Loop BB233_3 Depth=1
                                        ;     Parent Loop BB233_114 Depth=2
                                        ; =>    This Inner Loop Header: Depth=3
	s_wait_alu 0xfffe
	v_mov_b32_e32 v12, s37
	s_add_co_i32 s38, s38, -1
	s_add_co_i32 s37, s37, 16
	s_wait_alu 0xfffe
	s_cmp_eq_u32 s38, 0
	ds_load_b128 v[23:26], v11
	ds_load_b128 v[40:43], v12
	ds_load_b128 v[44:47], v12 offset:448
	ds_load_b128 v[48:51], v12 offset:896
	;; [unrolled: 1-line block ×3, first 2 shown]
	v_add_nc_u32_e32 v11, 0x1c0, v11
	s_wait_dscnt 0x3
	v_mul_f64_e32 v[12:13], v[25:26], v[42:43]
	v_mul_f64_e32 v[42:43], v[23:24], v[42:43]
	s_wait_dscnt 0x2
	v_mul_f64_e32 v[56:57], v[25:26], v[46:47]
	v_mul_f64_e32 v[46:47], v[23:24], v[46:47]
	;; [unrolled: 3-line block ×4, first 2 shown]
	v_fma_f64 v[12:13], v[23:24], v[40:41], -v[12:13]
	v_fma_f64 v[40:41], v[25:26], v[40:41], v[42:43]
	v_fma_f64 v[42:43], v[23:24], v[44:45], -v[56:57]
	v_fma_f64 v[44:45], v[25:26], v[44:45], v[46:47]
	;; [unrolled: 2-line block ×4, first 2 shown]
	v_add_f64_e64 v[19:20], v[19:20], -v[12:13]
	v_add_f64_e64 v[21:22], v[21:22], -v[40:41]
	;; [unrolled: 1-line block ×8, first 2 shown]
	s_cbranch_scc0 .LBB233_115
.LBB233_116:                            ;   in Loop: Header=BB233_114 Depth=2
	s_mul_i32 s37, s21, 0x1d0
	s_wait_alu 0xfffe
	v_mov_b32_e32 v11, s37
	ds_load_b128 v[23:26], v11
                                        ; implicit-def: $vgpr13_vgpr14
	s_wait_dscnt 0x0
	v_cmp_ngt_f64_e64 s37, |v[23:24]|, |v[25:26]|
	s_and_b32 vcc_lo, exec_lo, s37
	s_mov_b32 s37, -1
	s_wait_alu 0xfffe
	s_cbranch_vccz .LBB233_118
; %bb.117:                              ;   in Loop: Header=BB233_114 Depth=2
	v_div_scale_f64 v[11:12], null, v[25:26], v[25:26], v[23:24]
	v_div_scale_f64 v[42:43], vcc_lo, v[23:24], v[25:26], v[23:24]
	s_mov_b32 s37, 0
	v_rcp_f64_e32 v[13:14], v[11:12]
	s_delay_alu instid0(TRANS32_DEP_1) | instskip(NEXT) | instid1(VALU_DEP_1)
	v_fma_f64 v[40:41], -v[11:12], v[13:14], 1.0
	v_fma_f64 v[13:14], v[13:14], v[40:41], v[13:14]
	s_delay_alu instid0(VALU_DEP_1) | instskip(NEXT) | instid1(VALU_DEP_1)
	v_fma_f64 v[40:41], -v[11:12], v[13:14], 1.0
	v_fma_f64 v[13:14], v[13:14], v[40:41], v[13:14]
	s_delay_alu instid0(VALU_DEP_1) | instskip(NEXT) | instid1(VALU_DEP_1)
	v_mul_f64_e32 v[40:41], v[42:43], v[13:14]
	v_fma_f64 v[11:12], -v[11:12], v[40:41], v[42:43]
	s_wait_alu 0xfffd
	s_delay_alu instid0(VALU_DEP_1) | instskip(NEXT) | instid1(VALU_DEP_1)
	v_div_fmas_f64 v[11:12], v[11:12], v[13:14], v[40:41]
	v_div_fixup_f64 v[11:12], v[11:12], v[25:26], v[23:24]
	s_delay_alu instid0(VALU_DEP_1) | instskip(NEXT) | instid1(VALU_DEP_1)
	v_fma_f64 v[13:14], v[23:24], v[11:12], v[25:26]
	v_div_scale_f64 v[40:41], null, v[13:14], v[13:14], 1.0
	v_div_scale_f64 v[46:47], vcc_lo, 1.0, v[13:14], 1.0
	s_delay_alu instid0(VALU_DEP_2) | instskip(NEXT) | instid1(TRANS32_DEP_1)
	v_rcp_f64_e32 v[42:43], v[40:41]
	v_fma_f64 v[44:45], -v[40:41], v[42:43], 1.0
	s_delay_alu instid0(VALU_DEP_1) | instskip(NEXT) | instid1(VALU_DEP_1)
	v_fma_f64 v[42:43], v[42:43], v[44:45], v[42:43]
	v_fma_f64 v[44:45], -v[40:41], v[42:43], 1.0
	s_delay_alu instid0(VALU_DEP_1) | instskip(NEXT) | instid1(VALU_DEP_1)
	v_fma_f64 v[42:43], v[42:43], v[44:45], v[42:43]
	v_mul_f64_e32 v[44:45], v[46:47], v[42:43]
	s_delay_alu instid0(VALU_DEP_1) | instskip(SKIP_1) | instid1(VALU_DEP_1)
	v_fma_f64 v[40:41], -v[40:41], v[44:45], v[46:47]
	s_wait_alu 0xfffd
	v_div_fmas_f64 v[40:41], v[40:41], v[42:43], v[44:45]
	v_fma_f64 v[42:43], v[19:20], v[11:12], v[21:22]
	s_delay_alu instid0(VALU_DEP_2) | instskip(SKIP_1) | instid1(VALU_DEP_2)
	v_div_fixup_f64 v[13:14], v[40:41], v[13:14], 1.0
	v_fma_f64 v[40:41], v[21:22], v[11:12], -v[19:20]
	v_mul_f64_e32 v[11:12], v[42:43], v[13:14]
	s_delay_alu instid0(VALU_DEP_2)
	v_mul_f64_e32 v[13:14], v[40:41], v[13:14]
.LBB233_118:                            ;   in Loop: Header=BB233_114 Depth=2
	s_wait_alu 0xfffe
	s_and_not1_b32 vcc_lo, exec_lo, s37
	s_wait_alu 0xfffe
	s_cbranch_vccnz .LBB233_120
; %bb.119:                              ;   in Loop: Header=BB233_114 Depth=2
	v_div_scale_f64 v[11:12], null, v[23:24], v[23:24], v[25:26]
	v_div_scale_f64 v[42:43], vcc_lo, v[25:26], v[23:24], v[25:26]
	s_delay_alu instid0(VALU_DEP_2) | instskip(NEXT) | instid1(TRANS32_DEP_1)
	v_rcp_f64_e32 v[13:14], v[11:12]
	v_fma_f64 v[40:41], -v[11:12], v[13:14], 1.0
	s_delay_alu instid0(VALU_DEP_1) | instskip(NEXT) | instid1(VALU_DEP_1)
	v_fma_f64 v[13:14], v[13:14], v[40:41], v[13:14]
	v_fma_f64 v[40:41], -v[11:12], v[13:14], 1.0
	s_delay_alu instid0(VALU_DEP_1) | instskip(NEXT) | instid1(VALU_DEP_1)
	v_fma_f64 v[13:14], v[13:14], v[40:41], v[13:14]
	v_mul_f64_e32 v[40:41], v[42:43], v[13:14]
	s_delay_alu instid0(VALU_DEP_1) | instskip(SKIP_1) | instid1(VALU_DEP_1)
	v_fma_f64 v[11:12], -v[11:12], v[40:41], v[42:43]
	s_wait_alu 0xfffd
	v_div_fmas_f64 v[11:12], v[11:12], v[13:14], v[40:41]
	s_delay_alu instid0(VALU_DEP_1) | instskip(NEXT) | instid1(VALU_DEP_1)
	v_div_fixup_f64 v[11:12], v[11:12], v[23:24], v[25:26]
	v_fma_f64 v[13:14], v[25:26], v[11:12], v[23:24]
	s_delay_alu instid0(VALU_DEP_1) | instskip(SKIP_1) | instid1(VALU_DEP_2)
	v_div_scale_f64 v[23:24], null, v[13:14], v[13:14], 1.0
	v_div_scale_f64 v[42:43], vcc_lo, 1.0, v[13:14], 1.0
	v_rcp_f64_e32 v[25:26], v[23:24]
	s_delay_alu instid0(TRANS32_DEP_1) | instskip(NEXT) | instid1(VALU_DEP_1)
	v_fma_f64 v[40:41], -v[23:24], v[25:26], 1.0
	v_fma_f64 v[25:26], v[25:26], v[40:41], v[25:26]
	s_delay_alu instid0(VALU_DEP_1) | instskip(NEXT) | instid1(VALU_DEP_1)
	v_fma_f64 v[40:41], -v[23:24], v[25:26], 1.0
	v_fma_f64 v[25:26], v[25:26], v[40:41], v[25:26]
	s_delay_alu instid0(VALU_DEP_1) | instskip(NEXT) | instid1(VALU_DEP_1)
	v_mul_f64_e32 v[40:41], v[42:43], v[25:26]
	v_fma_f64 v[23:24], -v[23:24], v[40:41], v[42:43]
	s_wait_alu 0xfffd
	s_delay_alu instid0(VALU_DEP_1) | instskip(SKIP_2) | instid1(VALU_DEP_3)
	v_div_fmas_f64 v[23:24], v[23:24], v[25:26], v[40:41]
	v_fma_f64 v[25:26], v[21:22], v[11:12], v[19:20]
	v_fma_f64 v[19:20], -v[19:20], v[11:12], v[21:22]
	v_div_fixup_f64 v[13:14], v[23:24], v[13:14], 1.0
	s_delay_alu instid0(VALU_DEP_1) | instskip(NEXT) | instid1(VALU_DEP_3)
	v_mul_f64_e32 v[11:12], v[25:26], v[13:14]
	v_mul_f64_e32 v[13:14], v[19:20], v[13:14]
.LBB233_120:                            ;   in Loop: Header=BB233_114 Depth=2
	s_lshl_b32 s37, s36, 4
	s_lshl_b32 s36, s21, 4
	s_wait_alu 0xfffe
	s_addk_co_i32 s37, 0x1c0
	s_wait_alu 0xfffe
	s_add_co_i32 s38, s37, s36
	s_wait_alu 0xfffe
	v_mov_b32_e32 v19, s38
	ds_load_b128 v[23:26], v19
	ds_load_b128 v[19:22], v19 offset:16
	ds_store_b128 v30, v[11:14]
	s_wait_dscnt 0x2
	v_mul_f64_e32 v[40:41], v[13:14], v[25:26]
	v_mul_f64_e32 v[25:26], v[11:12], v[25:26]
	s_wait_dscnt 0x1
	v_cmp_ngt_f64_e64 s38, |v[19:20]|, |v[21:22]|
	s_delay_alu instid0(VALU_DEP_3) | instskip(NEXT) | instid1(VALU_DEP_3)
	v_fma_f64 v[40:41], v[11:12], v[23:24], -v[40:41]
	v_fma_f64 v[25:26], v[13:14], v[23:24], v[25:26]
	s_and_b32 vcc_lo, exec_lo, s38
	s_mov_b32 s38, -1
	s_delay_alu instid0(VALU_DEP_2) | instskip(NEXT) | instid1(VALU_DEP_2)
	v_add_f64_e64 v[23:24], v[15:16], -v[40:41]
	v_add_f64_e64 v[25:26], v[17:18], -v[25:26]
                                        ; implicit-def: $vgpr17_vgpr18
	s_wait_alu 0xfffe
	s_cbranch_vccz .LBB233_122
; %bb.121:                              ;   in Loop: Header=BB233_114 Depth=2
	v_div_scale_f64 v[15:16], null, v[21:22], v[21:22], v[19:20]
	v_div_scale_f64 v[42:43], vcc_lo, v[19:20], v[21:22], v[19:20]
	s_mov_b32 s38, 0
	v_rcp_f64_e32 v[17:18], v[15:16]
	s_delay_alu instid0(TRANS32_DEP_1) | instskip(NEXT) | instid1(VALU_DEP_1)
	v_fma_f64 v[40:41], -v[15:16], v[17:18], 1.0
	v_fma_f64 v[17:18], v[17:18], v[40:41], v[17:18]
	s_delay_alu instid0(VALU_DEP_1) | instskip(NEXT) | instid1(VALU_DEP_1)
	v_fma_f64 v[40:41], -v[15:16], v[17:18], 1.0
	v_fma_f64 v[17:18], v[17:18], v[40:41], v[17:18]
	s_delay_alu instid0(VALU_DEP_1) | instskip(NEXT) | instid1(VALU_DEP_1)
	v_mul_f64_e32 v[40:41], v[42:43], v[17:18]
	v_fma_f64 v[15:16], -v[15:16], v[40:41], v[42:43]
	s_wait_alu 0xfffd
	s_delay_alu instid0(VALU_DEP_1) | instskip(NEXT) | instid1(VALU_DEP_1)
	v_div_fmas_f64 v[15:16], v[15:16], v[17:18], v[40:41]
	v_div_fixup_f64 v[15:16], v[15:16], v[21:22], v[19:20]
	s_delay_alu instid0(VALU_DEP_1) | instskip(NEXT) | instid1(VALU_DEP_1)
	v_fma_f64 v[17:18], v[19:20], v[15:16], v[21:22]
	v_div_scale_f64 v[40:41], null, v[17:18], v[17:18], 1.0
	v_div_scale_f64 v[46:47], vcc_lo, 1.0, v[17:18], 1.0
	s_delay_alu instid0(VALU_DEP_2) | instskip(NEXT) | instid1(TRANS32_DEP_1)
	v_rcp_f64_e32 v[42:43], v[40:41]
	v_fma_f64 v[44:45], -v[40:41], v[42:43], 1.0
	s_delay_alu instid0(VALU_DEP_1) | instskip(NEXT) | instid1(VALU_DEP_1)
	v_fma_f64 v[42:43], v[42:43], v[44:45], v[42:43]
	v_fma_f64 v[44:45], -v[40:41], v[42:43], 1.0
	s_delay_alu instid0(VALU_DEP_1) | instskip(NEXT) | instid1(VALU_DEP_1)
	v_fma_f64 v[42:43], v[42:43], v[44:45], v[42:43]
	v_mul_f64_e32 v[44:45], v[46:47], v[42:43]
	s_delay_alu instid0(VALU_DEP_1) | instskip(SKIP_1) | instid1(VALU_DEP_1)
	v_fma_f64 v[40:41], -v[40:41], v[44:45], v[46:47]
	s_wait_alu 0xfffd
	v_div_fmas_f64 v[40:41], v[40:41], v[42:43], v[44:45]
	v_fma_f64 v[42:43], v[15:16], v[23:24], v[25:26]
	s_delay_alu instid0(VALU_DEP_2) | instskip(SKIP_1) | instid1(VALU_DEP_2)
	v_div_fixup_f64 v[17:18], v[40:41], v[17:18], 1.0
	v_fma_f64 v[40:41], v[15:16], v[25:26], -v[23:24]
	v_mul_f64_e32 v[15:16], v[42:43], v[17:18]
	s_delay_alu instid0(VALU_DEP_2)
	v_mul_f64_e32 v[17:18], v[40:41], v[17:18]
.LBB233_122:                            ;   in Loop: Header=BB233_114 Depth=2
	s_wait_alu 0xfffe
	s_and_not1_b32 vcc_lo, exec_lo, s38
	s_wait_alu 0xfffe
	s_cbranch_vccnz .LBB233_124
; %bb.123:                              ;   in Loop: Header=BB233_114 Depth=2
	v_div_scale_f64 v[15:16], null, v[19:20], v[19:20], v[21:22]
	v_div_scale_f64 v[42:43], vcc_lo, v[21:22], v[19:20], v[21:22]
	s_delay_alu instid0(VALU_DEP_2) | instskip(NEXT) | instid1(TRANS32_DEP_1)
	v_rcp_f64_e32 v[17:18], v[15:16]
	v_fma_f64 v[40:41], -v[15:16], v[17:18], 1.0
	s_delay_alu instid0(VALU_DEP_1) | instskip(NEXT) | instid1(VALU_DEP_1)
	v_fma_f64 v[17:18], v[17:18], v[40:41], v[17:18]
	v_fma_f64 v[40:41], -v[15:16], v[17:18], 1.0
	s_delay_alu instid0(VALU_DEP_1) | instskip(NEXT) | instid1(VALU_DEP_1)
	v_fma_f64 v[17:18], v[17:18], v[40:41], v[17:18]
	v_mul_f64_e32 v[40:41], v[42:43], v[17:18]
	s_delay_alu instid0(VALU_DEP_1) | instskip(SKIP_1) | instid1(VALU_DEP_1)
	v_fma_f64 v[15:16], -v[15:16], v[40:41], v[42:43]
	s_wait_alu 0xfffd
	v_div_fmas_f64 v[15:16], v[15:16], v[17:18], v[40:41]
	s_delay_alu instid0(VALU_DEP_1) | instskip(NEXT) | instid1(VALU_DEP_1)
	v_div_fixup_f64 v[15:16], v[15:16], v[19:20], v[21:22]
	v_fma_f64 v[17:18], v[21:22], v[15:16], v[19:20]
	s_delay_alu instid0(VALU_DEP_1) | instskip(SKIP_1) | instid1(VALU_DEP_2)
	v_div_scale_f64 v[19:20], null, v[17:18], v[17:18], 1.0
	v_div_scale_f64 v[42:43], vcc_lo, 1.0, v[17:18], 1.0
	v_rcp_f64_e32 v[21:22], v[19:20]
	s_delay_alu instid0(TRANS32_DEP_1) | instskip(NEXT) | instid1(VALU_DEP_1)
	v_fma_f64 v[40:41], -v[19:20], v[21:22], 1.0
	v_fma_f64 v[21:22], v[21:22], v[40:41], v[21:22]
	s_delay_alu instid0(VALU_DEP_1) | instskip(NEXT) | instid1(VALU_DEP_1)
	v_fma_f64 v[40:41], -v[19:20], v[21:22], 1.0
	v_fma_f64 v[21:22], v[21:22], v[40:41], v[21:22]
	s_delay_alu instid0(VALU_DEP_1) | instskip(NEXT) | instid1(VALU_DEP_1)
	v_mul_f64_e32 v[40:41], v[42:43], v[21:22]
	v_fma_f64 v[19:20], -v[19:20], v[40:41], v[42:43]
	s_wait_alu 0xfffd
	s_delay_alu instid0(VALU_DEP_1) | instskip(SKIP_1) | instid1(VALU_DEP_2)
	v_div_fmas_f64 v[19:20], v[19:20], v[21:22], v[40:41]
	v_fma_f64 v[21:22], v[15:16], v[25:26], v[23:24]
	v_div_fixup_f64 v[17:18], v[19:20], v[17:18], 1.0
	v_fma_f64 v[19:20], -v[15:16], v[23:24], v[25:26]
	s_delay_alu instid0(VALU_DEP_2) | instskip(NEXT) | instid1(VALU_DEP_2)
	v_mul_f64_e32 v[15:16], v[21:22], v[17:18]
	v_mul_f64_e32 v[17:18], v[19:20], v[17:18]
.LBB233_124:                            ;   in Loop: Header=BB233_114 Depth=2
	s_addk_co_i32 s37, 0x1c0
	s_wait_alu 0xfffe
	s_add_co_i32 s36, s37, s36
	s_wait_alu 0xfffe
	v_mov_b32_e32 v31, s36
	ds_load_b128 v[19:22], v31
	ds_load_b128 v[23:26], v31 offset:16
	ds_store_b128 v30, v[15:18] offset:448
	s_wait_dscnt 0x2
	v_mul_f64_e32 v[40:41], v[13:14], v[21:22]
	v_mul_f64_e32 v[21:22], v[11:12], v[21:22]
	s_wait_dscnt 0x1
	v_mul_f64_e32 v[42:43], v[17:18], v[25:26]
	v_mul_f64_e32 v[25:26], v[15:16], v[25:26]
	s_delay_alu instid0(VALU_DEP_4) | instskip(NEXT) | instid1(VALU_DEP_4)
	v_fma_f64 v[40:41], v[11:12], v[19:20], -v[40:41]
	v_fma_f64 v[19:20], v[13:14], v[19:20], v[21:22]
	s_delay_alu instid0(VALU_DEP_4) | instskip(NEXT) | instid1(VALU_DEP_4)
	v_fma_f64 v[21:22], v[15:16], v[23:24], -v[42:43]
	v_fma_f64 v[25:26], v[17:18], v[23:24], v[25:26]
	s_delay_alu instid0(VALU_DEP_4) | instskip(NEXT) | instid1(VALU_DEP_4)
	v_add_f64_e64 v[23:24], v[7:8], -v[40:41]
	v_add_f64_e64 v[19:20], v[9:10], -v[19:20]
	ds_load_b128 v[7:10], v31 offset:32
	s_wait_dscnt 0x0
	v_cmp_ngt_f64_e64 s37, |v[7:8]|, |v[9:10]|
	v_add_f64_e64 v[23:24], v[23:24], -v[21:22]
	v_add_f64_e64 v[25:26], v[19:20], -v[25:26]
                                        ; implicit-def: $vgpr21_vgpr22
	s_and_b32 vcc_lo, exec_lo, s37
	s_mov_b32 s37, -1
	s_wait_alu 0xfffe
	s_cbranch_vccz .LBB233_126
; %bb.125:                              ;   in Loop: Header=BB233_114 Depth=2
	v_div_scale_f64 v[19:20], null, v[9:10], v[9:10], v[7:8]
	v_div_scale_f64 v[42:43], vcc_lo, v[7:8], v[9:10], v[7:8]
	s_mov_b32 s37, 0
	v_rcp_f64_e32 v[21:22], v[19:20]
	s_delay_alu instid0(TRANS32_DEP_1) | instskip(NEXT) | instid1(VALU_DEP_1)
	v_fma_f64 v[40:41], -v[19:20], v[21:22], 1.0
	v_fma_f64 v[21:22], v[21:22], v[40:41], v[21:22]
	s_delay_alu instid0(VALU_DEP_1) | instskip(NEXT) | instid1(VALU_DEP_1)
	v_fma_f64 v[40:41], -v[19:20], v[21:22], 1.0
	v_fma_f64 v[21:22], v[21:22], v[40:41], v[21:22]
	s_delay_alu instid0(VALU_DEP_1) | instskip(NEXT) | instid1(VALU_DEP_1)
	v_mul_f64_e32 v[40:41], v[42:43], v[21:22]
	v_fma_f64 v[19:20], -v[19:20], v[40:41], v[42:43]
	s_wait_alu 0xfffd
	s_delay_alu instid0(VALU_DEP_1) | instskip(NEXT) | instid1(VALU_DEP_1)
	v_div_fmas_f64 v[19:20], v[19:20], v[21:22], v[40:41]
	v_div_fixup_f64 v[19:20], v[19:20], v[9:10], v[7:8]
	s_delay_alu instid0(VALU_DEP_1) | instskip(NEXT) | instid1(VALU_DEP_1)
	v_fma_f64 v[21:22], v[7:8], v[19:20], v[9:10]
	v_div_scale_f64 v[40:41], null, v[21:22], v[21:22], 1.0
	v_div_scale_f64 v[46:47], vcc_lo, 1.0, v[21:22], 1.0
	s_delay_alu instid0(VALU_DEP_2) | instskip(NEXT) | instid1(TRANS32_DEP_1)
	v_rcp_f64_e32 v[42:43], v[40:41]
	v_fma_f64 v[44:45], -v[40:41], v[42:43], 1.0
	s_delay_alu instid0(VALU_DEP_1) | instskip(NEXT) | instid1(VALU_DEP_1)
	v_fma_f64 v[42:43], v[42:43], v[44:45], v[42:43]
	v_fma_f64 v[44:45], -v[40:41], v[42:43], 1.0
	s_delay_alu instid0(VALU_DEP_1) | instskip(NEXT) | instid1(VALU_DEP_1)
	v_fma_f64 v[42:43], v[42:43], v[44:45], v[42:43]
	v_mul_f64_e32 v[44:45], v[46:47], v[42:43]
	s_delay_alu instid0(VALU_DEP_1) | instskip(SKIP_1) | instid1(VALU_DEP_1)
	v_fma_f64 v[40:41], -v[40:41], v[44:45], v[46:47]
	s_wait_alu 0xfffd
	v_div_fmas_f64 v[40:41], v[40:41], v[42:43], v[44:45]
	v_fma_f64 v[42:43], v[19:20], v[23:24], v[25:26]
	s_delay_alu instid0(VALU_DEP_2) | instskip(SKIP_1) | instid1(VALU_DEP_2)
	v_div_fixup_f64 v[21:22], v[40:41], v[21:22], 1.0
	v_fma_f64 v[40:41], v[19:20], v[25:26], -v[23:24]
	v_mul_f64_e32 v[19:20], v[42:43], v[21:22]
	s_delay_alu instid0(VALU_DEP_2)
	v_mul_f64_e32 v[21:22], v[40:41], v[21:22]
.LBB233_126:                            ;   in Loop: Header=BB233_114 Depth=2
	s_wait_alu 0xfffe
	s_and_not1_b32 vcc_lo, exec_lo, s37
	s_wait_alu 0xfffe
	s_cbranch_vccnz .LBB233_128
; %bb.127:                              ;   in Loop: Header=BB233_114 Depth=2
	v_div_scale_f64 v[19:20], null, v[7:8], v[7:8], v[9:10]
	v_div_scale_f64 v[42:43], vcc_lo, v[9:10], v[7:8], v[9:10]
	s_delay_alu instid0(VALU_DEP_2) | instskip(NEXT) | instid1(TRANS32_DEP_1)
	v_rcp_f64_e32 v[21:22], v[19:20]
	v_fma_f64 v[40:41], -v[19:20], v[21:22], 1.0
	s_delay_alu instid0(VALU_DEP_1) | instskip(NEXT) | instid1(VALU_DEP_1)
	v_fma_f64 v[21:22], v[21:22], v[40:41], v[21:22]
	v_fma_f64 v[40:41], -v[19:20], v[21:22], 1.0
	s_delay_alu instid0(VALU_DEP_1) | instskip(NEXT) | instid1(VALU_DEP_1)
	v_fma_f64 v[21:22], v[21:22], v[40:41], v[21:22]
	v_mul_f64_e32 v[40:41], v[42:43], v[21:22]
	s_delay_alu instid0(VALU_DEP_1) | instskip(SKIP_1) | instid1(VALU_DEP_1)
	v_fma_f64 v[19:20], -v[19:20], v[40:41], v[42:43]
	s_wait_alu 0xfffd
	v_div_fmas_f64 v[19:20], v[19:20], v[21:22], v[40:41]
	s_delay_alu instid0(VALU_DEP_1) | instskip(NEXT) | instid1(VALU_DEP_1)
	v_div_fixup_f64 v[19:20], v[19:20], v[7:8], v[9:10]
	v_fma_f64 v[7:8], v[9:10], v[19:20], v[7:8]
	s_delay_alu instid0(VALU_DEP_1) | instskip(SKIP_1) | instid1(VALU_DEP_2)
	v_div_scale_f64 v[9:10], null, v[7:8], v[7:8], 1.0
	v_div_scale_f64 v[42:43], vcc_lo, 1.0, v[7:8], 1.0
	v_rcp_f64_e32 v[21:22], v[9:10]
	s_delay_alu instid0(TRANS32_DEP_1) | instskip(NEXT) | instid1(VALU_DEP_1)
	v_fma_f64 v[40:41], -v[9:10], v[21:22], 1.0
	v_fma_f64 v[21:22], v[21:22], v[40:41], v[21:22]
	s_delay_alu instid0(VALU_DEP_1) | instskip(NEXT) | instid1(VALU_DEP_1)
	v_fma_f64 v[40:41], -v[9:10], v[21:22], 1.0
	v_fma_f64 v[21:22], v[21:22], v[40:41], v[21:22]
	s_delay_alu instid0(VALU_DEP_1) | instskip(NEXT) | instid1(VALU_DEP_1)
	v_mul_f64_e32 v[40:41], v[42:43], v[21:22]
	v_fma_f64 v[9:10], -v[9:10], v[40:41], v[42:43]
	s_wait_alu 0xfffd
	s_delay_alu instid0(VALU_DEP_1) | instskip(SKIP_1) | instid1(VALU_DEP_2)
	v_div_fmas_f64 v[9:10], v[9:10], v[21:22], v[40:41]
	v_fma_f64 v[21:22], v[19:20], v[25:26], v[23:24]
	v_div_fixup_f64 v[7:8], v[9:10], v[7:8], 1.0
	v_fma_f64 v[9:10], -v[19:20], v[23:24], v[25:26]
	s_delay_alu instid0(VALU_DEP_2) | instskip(NEXT) | instid1(VALU_DEP_2)
	v_mul_f64_e32 v[19:20], v[21:22], v[7:8]
	v_mul_f64_e32 v[21:22], v[9:10], v[7:8]
.LBB233_128:                            ;   in Loop: Header=BB233_114 Depth=2
	v_mov_b32_e32 v31, s36
	ds_load_b128 v[7:10], v31 offset:448
	ds_load_b128 v[23:26], v31 offset:464
	s_wait_dscnt 0x1
	v_mul_f64_e32 v[40:41], v[13:14], v[9:10]
	v_mul_f64_e32 v[9:10], v[11:12], v[9:10]
	s_wait_dscnt 0x0
	v_mul_f64_e32 v[42:43], v[17:18], v[25:26]
	v_mul_f64_e32 v[25:26], v[15:16], v[25:26]
	s_delay_alu instid0(VALU_DEP_4) | instskip(NEXT) | instid1(VALU_DEP_4)
	v_fma_f64 v[40:41], v[11:12], v[7:8], -v[40:41]
	v_fma_f64 v[44:45], v[13:14], v[7:8], v[9:10]
	ds_load_b128 v[11:14], v31 offset:480
	ds_load_b128 v[7:10], v31 offset:496
	v_fma_f64 v[15:16], v[15:16], v[23:24], -v[42:43]
	v_fma_f64 v[17:18], v[17:18], v[23:24], v[25:26]
	ds_store_b128 v30, v[19:22] offset:896
	s_wait_dscnt 0x2
	v_mul_f64_e32 v[46:47], v[21:22], v[13:14]
	v_mul_f64_e32 v[13:14], v[19:20], v[13:14]
	s_wait_dscnt 0x1
	v_cmp_ngt_f64_e64 s36, |v[7:8]|, |v[9:10]|
	v_add_f64_e64 v[3:4], v[3:4], -v[40:41]
	v_add_f64_e64 v[5:6], v[5:6], -v[44:45]
	v_fma_f64 v[23:24], v[19:20], v[11:12], -v[46:47]
	v_fma_f64 v[13:14], v[21:22], v[11:12], v[13:14]
	s_and_b32 vcc_lo, exec_lo, s36
	s_mov_b32 s36, -1
	s_delay_alu instid0(VALU_DEP_4) | instskip(NEXT) | instid1(VALU_DEP_4)
	v_add_f64_e64 v[3:4], v[3:4], -v[15:16]
	v_add_f64_e64 v[5:6], v[5:6], -v[17:18]
	s_delay_alu instid0(VALU_DEP_2) | instskip(NEXT) | instid1(VALU_DEP_2)
	v_add_f64_e64 v[11:12], v[3:4], -v[23:24]
	v_add_f64_e64 v[13:14], v[5:6], -v[13:14]
                                        ; implicit-def: $vgpr5_vgpr6
	s_wait_alu 0xfffe
	s_cbranch_vccz .LBB233_130
; %bb.129:                              ;   in Loop: Header=BB233_114 Depth=2
	v_div_scale_f64 v[3:4], null, v[9:10], v[9:10], v[7:8]
	v_div_scale_f64 v[17:18], vcc_lo, v[7:8], v[9:10], v[7:8]
	s_mov_b32 s36, 0
	v_rcp_f64_e32 v[5:6], v[3:4]
	s_delay_alu instid0(TRANS32_DEP_1) | instskip(NEXT) | instid1(VALU_DEP_1)
	v_fma_f64 v[15:16], -v[3:4], v[5:6], 1.0
	v_fma_f64 v[5:6], v[5:6], v[15:16], v[5:6]
	s_delay_alu instid0(VALU_DEP_1) | instskip(NEXT) | instid1(VALU_DEP_1)
	v_fma_f64 v[15:16], -v[3:4], v[5:6], 1.0
	v_fma_f64 v[5:6], v[5:6], v[15:16], v[5:6]
	s_delay_alu instid0(VALU_DEP_1) | instskip(NEXT) | instid1(VALU_DEP_1)
	v_mul_f64_e32 v[15:16], v[17:18], v[5:6]
	v_fma_f64 v[3:4], -v[3:4], v[15:16], v[17:18]
	s_wait_alu 0xfffd
	s_delay_alu instid0(VALU_DEP_1) | instskip(NEXT) | instid1(VALU_DEP_1)
	v_div_fmas_f64 v[3:4], v[3:4], v[5:6], v[15:16]
	v_div_fixup_f64 v[3:4], v[3:4], v[9:10], v[7:8]
	s_delay_alu instid0(VALU_DEP_1) | instskip(NEXT) | instid1(VALU_DEP_1)
	v_fma_f64 v[5:6], v[7:8], v[3:4], v[9:10]
	v_div_scale_f64 v[15:16], null, v[5:6], v[5:6], 1.0
	v_div_scale_f64 v[21:22], vcc_lo, 1.0, v[5:6], 1.0
	s_delay_alu instid0(VALU_DEP_2) | instskip(NEXT) | instid1(TRANS32_DEP_1)
	v_rcp_f64_e32 v[17:18], v[15:16]
	v_fma_f64 v[19:20], -v[15:16], v[17:18], 1.0
	s_delay_alu instid0(VALU_DEP_1) | instskip(NEXT) | instid1(VALU_DEP_1)
	v_fma_f64 v[17:18], v[17:18], v[19:20], v[17:18]
	v_fma_f64 v[19:20], -v[15:16], v[17:18], 1.0
	s_delay_alu instid0(VALU_DEP_1) | instskip(NEXT) | instid1(VALU_DEP_1)
	v_fma_f64 v[17:18], v[17:18], v[19:20], v[17:18]
	v_mul_f64_e32 v[19:20], v[21:22], v[17:18]
	s_delay_alu instid0(VALU_DEP_1) | instskip(SKIP_1) | instid1(VALU_DEP_1)
	v_fma_f64 v[15:16], -v[15:16], v[19:20], v[21:22]
	s_wait_alu 0xfffd
	v_div_fmas_f64 v[15:16], v[15:16], v[17:18], v[19:20]
	v_fma_f64 v[17:18], v[3:4], v[11:12], v[13:14]
	s_delay_alu instid0(VALU_DEP_2) | instskip(SKIP_1) | instid1(VALU_DEP_2)
	v_div_fixup_f64 v[5:6], v[15:16], v[5:6], 1.0
	v_fma_f64 v[15:16], v[3:4], v[13:14], -v[11:12]
	v_mul_f64_e32 v[3:4], v[17:18], v[5:6]
	s_delay_alu instid0(VALU_DEP_2)
	v_mul_f64_e32 v[5:6], v[15:16], v[5:6]
.LBB233_130:                            ;   in Loop: Header=BB233_114 Depth=2
	s_wait_alu 0xfffe
	s_and_not1_b32 vcc_lo, exec_lo, s36
	s_wait_alu 0xfffe
	s_cbranch_vccnz .LBB233_132
; %bb.131:                              ;   in Loop: Header=BB233_114 Depth=2
	v_div_scale_f64 v[3:4], null, v[7:8], v[7:8], v[9:10]
	v_div_scale_f64 v[17:18], vcc_lo, v[9:10], v[7:8], v[9:10]
	s_delay_alu instid0(VALU_DEP_2) | instskip(NEXT) | instid1(TRANS32_DEP_1)
	v_rcp_f64_e32 v[5:6], v[3:4]
	v_fma_f64 v[15:16], -v[3:4], v[5:6], 1.0
	s_delay_alu instid0(VALU_DEP_1) | instskip(NEXT) | instid1(VALU_DEP_1)
	v_fma_f64 v[5:6], v[5:6], v[15:16], v[5:6]
	v_fma_f64 v[15:16], -v[3:4], v[5:6], 1.0
	s_delay_alu instid0(VALU_DEP_1) | instskip(NEXT) | instid1(VALU_DEP_1)
	v_fma_f64 v[5:6], v[5:6], v[15:16], v[5:6]
	v_mul_f64_e32 v[15:16], v[17:18], v[5:6]
	s_delay_alu instid0(VALU_DEP_1) | instskip(SKIP_1) | instid1(VALU_DEP_1)
	v_fma_f64 v[3:4], -v[3:4], v[15:16], v[17:18]
	s_wait_alu 0xfffd
	v_div_fmas_f64 v[3:4], v[3:4], v[5:6], v[15:16]
	s_delay_alu instid0(VALU_DEP_1) | instskip(NEXT) | instid1(VALU_DEP_1)
	v_div_fixup_f64 v[3:4], v[3:4], v[7:8], v[9:10]
	v_fma_f64 v[5:6], v[9:10], v[3:4], v[7:8]
	s_delay_alu instid0(VALU_DEP_1) | instskip(SKIP_1) | instid1(VALU_DEP_2)
	v_div_scale_f64 v[7:8], null, v[5:6], v[5:6], 1.0
	v_div_scale_f64 v[17:18], vcc_lo, 1.0, v[5:6], 1.0
	v_rcp_f64_e32 v[9:10], v[7:8]
	s_delay_alu instid0(TRANS32_DEP_1) | instskip(NEXT) | instid1(VALU_DEP_1)
	v_fma_f64 v[15:16], -v[7:8], v[9:10], 1.0
	v_fma_f64 v[9:10], v[9:10], v[15:16], v[9:10]
	s_delay_alu instid0(VALU_DEP_1) | instskip(NEXT) | instid1(VALU_DEP_1)
	v_fma_f64 v[15:16], -v[7:8], v[9:10], 1.0
	v_fma_f64 v[9:10], v[9:10], v[15:16], v[9:10]
	s_delay_alu instid0(VALU_DEP_1) | instskip(NEXT) | instid1(VALU_DEP_1)
	v_mul_f64_e32 v[15:16], v[17:18], v[9:10]
	v_fma_f64 v[7:8], -v[7:8], v[15:16], v[17:18]
	s_wait_alu 0xfffd
	s_delay_alu instid0(VALU_DEP_1) | instskip(SKIP_1) | instid1(VALU_DEP_2)
	v_div_fmas_f64 v[7:8], v[7:8], v[9:10], v[15:16]
	v_fma_f64 v[9:10], v[3:4], v[13:14], v[11:12]
	v_div_fixup_f64 v[5:6], v[7:8], v[5:6], 1.0
	v_fma_f64 v[7:8], -v[3:4], v[11:12], v[13:14]
	s_delay_alu instid0(VALU_DEP_2) | instskip(NEXT) | instid1(VALU_DEP_2)
	v_mul_f64_e32 v[3:4], v[9:10], v[5:6]
	v_mul_f64_e32 v[5:6], v[7:8], v[5:6]
.LBB233_132:                            ;   in Loop: Header=BB233_114 Depth=2
	s_add_co_i32 s36, s21, 4
	s_add_co_i32 s21, s21, 7
	s_addk_co_i32 s20, 0x700
	s_wait_alu 0xfffe
	s_cmp_ge_i32 s21, s26
	ds_store_b128 v30, v[3:6] offset:1344
	s_cbranch_scc1 .LBB233_134
; %bb.133:                              ;   in Loop: Header=BB233_114 Depth=2
	s_mov_b32 s21, s36
	s_branch .LBB233_114
.LBB233_134:                            ;   in Loop: Header=BB233_3 Depth=1
	s_cmp_ge_i32 s36, s26
	s_cbranch_scc1 .LBB233_143
; %bb.135:                              ;   in Loop: Header=BB233_3 Depth=1
	s_mul_i32 s20, s36, 0x1c0
	s_branch .LBB233_137
.LBB233_136:                            ;   in Loop: Header=BB233_137 Depth=2
	s_add_co_i32 s36, s36, 1
	s_addk_co_i32 s20, 0x1c0
	s_wait_alu 0xfffe
	s_cmp_ge_i32 s36, s26
	ds_store_b128 v15, v[11:14]
	s_cbranch_scc1 .LBB233_143
.LBB233_137:                            ;   Parent Loop BB233_3 Depth=1
                                        ; =>  This Loop Header: Depth=2
                                        ;       Child Loop BB233_138 Depth 3
	v_mad_co_u64_u32 v[15:16], null, 0x1c0, s36, v[27:28]
	v_mov_b32_e32 v7, v27
	s_cmp_eq_u32 s36, 0
	s_wait_alu 0xfffe
	s_mov_b32 s21, s20
	s_mov_b32 s37, s36
	ds_load_b128 v[3:6], v15
	s_cbranch_scc1 .LBB233_139
.LBB233_138:                            ;   Parent Loop BB233_3 Depth=1
                                        ;     Parent Loop BB233_137 Depth=2
                                        ; =>    This Inner Loop Header: Depth=3
	s_wait_alu 0xfffe
	v_mov_b32_e32 v12, s21
	s_add_co_i32 s37, s37, -1
	s_add_co_i32 s21, s21, 16
	s_wait_alu 0xfffe
	s_cmp_eq_u32 s37, 0
	ds_load_b128 v[8:11], v7
	ds_load_b128 v[16:19], v12
	v_add_nc_u32_e32 v7, 0x1c0, v7
	s_wait_dscnt 0x0
	v_mul_f64_e32 v[12:13], v[18:19], v[10:11]
	v_mul_f64_e32 v[10:11], v[16:17], v[10:11]
	s_delay_alu instid0(VALU_DEP_2) | instskip(NEXT) | instid1(VALU_DEP_2)
	v_fma_f64 v[12:13], v[16:17], v[8:9], -v[12:13]
	v_fma_f64 v[8:9], v[18:19], v[8:9], v[10:11]
	s_delay_alu instid0(VALU_DEP_2) | instskip(NEXT) | instid1(VALU_DEP_2)
	v_add_f64_e64 v[3:4], v[3:4], -v[12:13]
	v_add_f64_e64 v[5:6], v[5:6], -v[8:9]
	s_cbranch_scc0 .LBB233_138
.LBB233_139:                            ;   in Loop: Header=BB233_137 Depth=2
	s_mul_i32 s21, s36, 0x1d0
                                        ; implicit-def: $vgpr11_vgpr12
	s_wait_alu 0xfffe
	v_mov_b32_e32 v7, s21
	ds_load_b128 v[7:10], v7
	s_wait_dscnt 0x0
	v_cmp_ngt_f64_e64 s21, |v[7:8]|, |v[9:10]|
	s_and_b32 vcc_lo, exec_lo, s21
	s_mov_b32 s21, -1
	s_wait_alu 0xfffe
	s_cbranch_vccz .LBB233_141
; %bb.140:                              ;   in Loop: Header=BB233_137 Depth=2
	v_div_scale_f64 v[11:12], null, v[9:10], v[9:10], v[7:8]
	v_div_scale_f64 v[18:19], vcc_lo, v[7:8], v[9:10], v[7:8]
	s_mov_b32 s21, 0
	v_rcp_f64_e32 v[13:14], v[11:12]
	s_delay_alu instid0(TRANS32_DEP_1) | instskip(NEXT) | instid1(VALU_DEP_1)
	v_fma_f64 v[16:17], -v[11:12], v[13:14], 1.0
	v_fma_f64 v[13:14], v[13:14], v[16:17], v[13:14]
	s_delay_alu instid0(VALU_DEP_1) | instskip(NEXT) | instid1(VALU_DEP_1)
	v_fma_f64 v[16:17], -v[11:12], v[13:14], 1.0
	v_fma_f64 v[13:14], v[13:14], v[16:17], v[13:14]
	s_delay_alu instid0(VALU_DEP_1) | instskip(NEXT) | instid1(VALU_DEP_1)
	v_mul_f64_e32 v[16:17], v[18:19], v[13:14]
	v_fma_f64 v[11:12], -v[11:12], v[16:17], v[18:19]
	s_wait_alu 0xfffd
	s_delay_alu instid0(VALU_DEP_1) | instskip(NEXT) | instid1(VALU_DEP_1)
	v_div_fmas_f64 v[11:12], v[11:12], v[13:14], v[16:17]
	v_div_fixup_f64 v[11:12], v[11:12], v[9:10], v[7:8]
	s_delay_alu instid0(VALU_DEP_1) | instskip(NEXT) | instid1(VALU_DEP_1)
	v_fma_f64 v[13:14], v[7:8], v[11:12], v[9:10]
	v_div_scale_f64 v[16:17], null, v[13:14], v[13:14], 1.0
	v_div_scale_f64 v[22:23], vcc_lo, 1.0, v[13:14], 1.0
	s_delay_alu instid0(VALU_DEP_2) | instskip(NEXT) | instid1(TRANS32_DEP_1)
	v_rcp_f64_e32 v[18:19], v[16:17]
	v_fma_f64 v[20:21], -v[16:17], v[18:19], 1.0
	s_delay_alu instid0(VALU_DEP_1) | instskip(NEXT) | instid1(VALU_DEP_1)
	v_fma_f64 v[18:19], v[18:19], v[20:21], v[18:19]
	v_fma_f64 v[20:21], -v[16:17], v[18:19], 1.0
	s_delay_alu instid0(VALU_DEP_1) | instskip(NEXT) | instid1(VALU_DEP_1)
	v_fma_f64 v[18:19], v[18:19], v[20:21], v[18:19]
	v_mul_f64_e32 v[20:21], v[22:23], v[18:19]
	s_delay_alu instid0(VALU_DEP_1) | instskip(SKIP_1) | instid1(VALU_DEP_1)
	v_fma_f64 v[16:17], -v[16:17], v[20:21], v[22:23]
	s_wait_alu 0xfffd
	v_div_fmas_f64 v[16:17], v[16:17], v[18:19], v[20:21]
	v_fma_f64 v[18:19], v[3:4], v[11:12], v[5:6]
	s_delay_alu instid0(VALU_DEP_2) | instskip(SKIP_1) | instid1(VALU_DEP_2)
	v_div_fixup_f64 v[13:14], v[16:17], v[13:14], 1.0
	v_fma_f64 v[16:17], v[5:6], v[11:12], -v[3:4]
	v_mul_f64_e32 v[11:12], v[18:19], v[13:14]
	s_delay_alu instid0(VALU_DEP_2)
	v_mul_f64_e32 v[13:14], v[16:17], v[13:14]
.LBB233_141:                            ;   in Loop: Header=BB233_137 Depth=2
	s_wait_alu 0xfffe
	s_and_not1_b32 vcc_lo, exec_lo, s21
	s_wait_alu 0xfffe
	s_cbranch_vccnz .LBB233_136
; %bb.142:                              ;   in Loop: Header=BB233_137 Depth=2
	v_div_scale_f64 v[11:12], null, v[7:8], v[7:8], v[9:10]
	v_div_scale_f64 v[18:19], vcc_lo, v[9:10], v[7:8], v[9:10]
	s_delay_alu instid0(VALU_DEP_2) | instskip(NEXT) | instid1(TRANS32_DEP_1)
	v_rcp_f64_e32 v[13:14], v[11:12]
	v_fma_f64 v[16:17], -v[11:12], v[13:14], 1.0
	s_delay_alu instid0(VALU_DEP_1) | instskip(NEXT) | instid1(VALU_DEP_1)
	v_fma_f64 v[13:14], v[13:14], v[16:17], v[13:14]
	v_fma_f64 v[16:17], -v[11:12], v[13:14], 1.0
	s_delay_alu instid0(VALU_DEP_1) | instskip(NEXT) | instid1(VALU_DEP_1)
	v_fma_f64 v[13:14], v[13:14], v[16:17], v[13:14]
	v_mul_f64_e32 v[16:17], v[18:19], v[13:14]
	s_delay_alu instid0(VALU_DEP_1) | instskip(SKIP_1) | instid1(VALU_DEP_1)
	v_fma_f64 v[11:12], -v[11:12], v[16:17], v[18:19]
	s_wait_alu 0xfffd
	v_div_fmas_f64 v[11:12], v[11:12], v[13:14], v[16:17]
	s_delay_alu instid0(VALU_DEP_1) | instskip(NEXT) | instid1(VALU_DEP_1)
	v_div_fixup_f64 v[11:12], v[11:12], v[7:8], v[9:10]
	v_fma_f64 v[7:8], v[9:10], v[11:12], v[7:8]
	s_delay_alu instid0(VALU_DEP_1) | instskip(SKIP_1) | instid1(VALU_DEP_2)
	v_div_scale_f64 v[9:10], null, v[7:8], v[7:8], 1.0
	v_div_scale_f64 v[18:19], vcc_lo, 1.0, v[7:8], 1.0
	v_rcp_f64_e32 v[13:14], v[9:10]
	s_delay_alu instid0(TRANS32_DEP_1) | instskip(NEXT) | instid1(VALU_DEP_1)
	v_fma_f64 v[16:17], -v[9:10], v[13:14], 1.0
	v_fma_f64 v[13:14], v[13:14], v[16:17], v[13:14]
	s_delay_alu instid0(VALU_DEP_1) | instskip(NEXT) | instid1(VALU_DEP_1)
	v_fma_f64 v[16:17], -v[9:10], v[13:14], 1.0
	v_fma_f64 v[13:14], v[13:14], v[16:17], v[13:14]
	s_delay_alu instid0(VALU_DEP_1) | instskip(NEXT) | instid1(VALU_DEP_1)
	v_mul_f64_e32 v[16:17], v[18:19], v[13:14]
	v_fma_f64 v[9:10], -v[9:10], v[16:17], v[18:19]
	s_wait_alu 0xfffd
	s_delay_alu instid0(VALU_DEP_1) | instskip(SKIP_2) | instid1(VALU_DEP_3)
	v_div_fmas_f64 v[9:10], v[9:10], v[13:14], v[16:17]
	v_fma_f64 v[13:14], v[5:6], v[11:12], v[3:4]
	v_fma_f64 v[3:4], -v[3:4], v[11:12], v[5:6]
	v_div_fixup_f64 v[7:8], v[9:10], v[7:8], 1.0
	s_delay_alu instid0(VALU_DEP_1) | instskip(NEXT) | instid1(VALU_DEP_3)
	v_mul_f64_e32 v[11:12], v[13:14], v[7:8]
	v_mul_f64_e32 v[13:14], v[3:4], v[7:8]
	s_branch .LBB233_136
.LBB233_143:                            ;   in Loop: Header=BB233_3 Depth=1
	s_and_saveexec_b32 s20, s23
	s_cbranch_execz .LBB233_2
; %bb.144:                              ;   in Loop: Header=BB233_3 Depth=1
	v_add_co_u32 v3, vcc_lo, v28, s10
	s_wait_alu 0xfffd
	v_add_co_ci_u32_e64 v4, null, s11, v29, vcc_lo
	v_mov_b32_e32 v5, v27
	s_delay_alu instid0(VALU_DEP_3) | instskip(SKIP_1) | instid1(VALU_DEP_3)
	v_add_co_u32 v3, vcc_lo, v3, s16
	s_wait_alu 0xfffd
	v_add_co_ci_u32_e64 v4, null, s17, v4, vcc_lo
	s_mov_b32 s21, s25
	v_add_co_u32 v3, vcc_lo, v3, v0
	s_wait_alu 0xfffd
	v_add_co_ci_u32_e64 v4, null, 0, v4, vcc_lo
.LBB233_145:                            ;   Parent Loop BB233_3 Depth=1
                                        ; =>  This Inner Loop Header: Depth=2
	ds_load_2addr_b64 v[6:9], v5 offset1:1
	v_add_nc_u32_e32 v5, 0x1c0, v5
	s_wait_alu 0xfffe
	s_add_co_i32 s21, s21, -1
	s_wait_alu 0xfffe
	s_cmp_lg_u32 s21, 0
	s_wait_dscnt 0x0
	flat_store_b128 v[3:4], v[6:9]
	v_add_co_u32 v3, vcc_lo, v3, s18
	s_wait_alu 0xfffd
	v_add_co_ci_u32_e64 v4, null, s19, v4, vcc_lo
	s_cbranch_scc1 .LBB233_145
	s_branch .LBB233_2
.LBB233_146:
	s_endpgm
	.section	.rodata,"a",@progbits
	.p2align	6, 0x0
	.amdhsa_kernel _ZL31rocblas_trsm_small_right_deviceI19rocblas_complex_numIdES1_PKPKS1_PKPS1_Li28EEv13rocblas_fill_18rocblas_operation_17rocblas_diagonal_iiT0_T1_lilT2_lili
		.amdhsa_group_segment_fixed_size 25088
		.amdhsa_private_segment_fixed_size 0
		.amdhsa_kernarg_size 368
		.amdhsa_user_sgpr_count 2
		.amdhsa_user_sgpr_dispatch_ptr 0
		.amdhsa_user_sgpr_queue_ptr 0
		.amdhsa_user_sgpr_kernarg_segment_ptr 1
		.amdhsa_user_sgpr_dispatch_id 0
		.amdhsa_user_sgpr_private_segment_size 0
		.amdhsa_wavefront_size32 1
		.amdhsa_uses_dynamic_stack 0
		.amdhsa_enable_private_segment 0
		.amdhsa_system_sgpr_workgroup_id_x 1
		.amdhsa_system_sgpr_workgroup_id_y 0
		.amdhsa_system_sgpr_workgroup_id_z 1
		.amdhsa_system_sgpr_workgroup_info 0
		.amdhsa_system_vgpr_workitem_id 0
		.amdhsa_next_free_vgpr 241
		.amdhsa_next_free_sgpr 42
		.amdhsa_reserve_vcc 1
		.amdhsa_float_round_mode_32 0
		.amdhsa_float_round_mode_16_64 0
		.amdhsa_float_denorm_mode_32 3
		.amdhsa_float_denorm_mode_16_64 3
		.amdhsa_fp16_overflow 0
		.amdhsa_workgroup_processor_mode 1
		.amdhsa_memory_ordered 1
		.amdhsa_forward_progress 1
		.amdhsa_inst_pref_size 129
		.amdhsa_round_robin_scheduling 0
		.amdhsa_exception_fp_ieee_invalid_op 0
		.amdhsa_exception_fp_denorm_src 0
		.amdhsa_exception_fp_ieee_div_zero 0
		.amdhsa_exception_fp_ieee_overflow 0
		.amdhsa_exception_fp_ieee_underflow 0
		.amdhsa_exception_fp_ieee_inexact 0
		.amdhsa_exception_int_div_zero 0
	.end_amdhsa_kernel
	.section	.text._ZL31rocblas_trsm_small_right_deviceI19rocblas_complex_numIdES1_PKPKS1_PKPS1_Li28EEv13rocblas_fill_18rocblas_operation_17rocblas_diagonal_iiT0_T1_lilT2_lili,"axG",@progbits,_ZL31rocblas_trsm_small_right_deviceI19rocblas_complex_numIdES1_PKPKS1_PKPS1_Li28EEv13rocblas_fill_18rocblas_operation_17rocblas_diagonal_iiT0_T1_lilT2_lili,comdat
.Lfunc_end233:
	.size	_ZL31rocblas_trsm_small_right_deviceI19rocblas_complex_numIdES1_PKPKS1_PKPS1_Li28EEv13rocblas_fill_18rocblas_operation_17rocblas_diagonal_iiT0_T1_lilT2_lili, .Lfunc_end233-_ZL31rocblas_trsm_small_right_deviceI19rocblas_complex_numIdES1_PKPKS1_PKPS1_Li28EEv13rocblas_fill_18rocblas_operation_17rocblas_diagonal_iiT0_T1_lilT2_lili
                                        ; -- End function
	.set _ZL31rocblas_trsm_small_right_deviceI19rocblas_complex_numIdES1_PKPKS1_PKPS1_Li28EEv13rocblas_fill_18rocblas_operation_17rocblas_diagonal_iiT0_T1_lilT2_lili.num_vgpr, 64
	.set _ZL31rocblas_trsm_small_right_deviceI19rocblas_complex_numIdES1_PKPKS1_PKPS1_Li28EEv13rocblas_fill_18rocblas_operation_17rocblas_diagonal_iiT0_T1_lilT2_lili.num_agpr, 0
	.set _ZL31rocblas_trsm_small_right_deviceI19rocblas_complex_numIdES1_PKPKS1_PKPS1_Li28EEv13rocblas_fill_18rocblas_operation_17rocblas_diagonal_iiT0_T1_lilT2_lili.numbered_sgpr, 42
	.set _ZL31rocblas_trsm_small_right_deviceI19rocblas_complex_numIdES1_PKPKS1_PKPS1_Li28EEv13rocblas_fill_18rocblas_operation_17rocblas_diagonal_iiT0_T1_lilT2_lili.num_named_barrier, 0
	.set _ZL31rocblas_trsm_small_right_deviceI19rocblas_complex_numIdES1_PKPKS1_PKPS1_Li28EEv13rocblas_fill_18rocblas_operation_17rocblas_diagonal_iiT0_T1_lilT2_lili.private_seg_size, 0
	.set _ZL31rocblas_trsm_small_right_deviceI19rocblas_complex_numIdES1_PKPKS1_PKPS1_Li28EEv13rocblas_fill_18rocblas_operation_17rocblas_diagonal_iiT0_T1_lilT2_lili.uses_vcc, 1
	.set _ZL31rocblas_trsm_small_right_deviceI19rocblas_complex_numIdES1_PKPKS1_PKPS1_Li28EEv13rocblas_fill_18rocblas_operation_17rocblas_diagonal_iiT0_T1_lilT2_lili.uses_flat_scratch, 0
	.set _ZL31rocblas_trsm_small_right_deviceI19rocblas_complex_numIdES1_PKPKS1_PKPS1_Li28EEv13rocblas_fill_18rocblas_operation_17rocblas_diagonal_iiT0_T1_lilT2_lili.has_dyn_sized_stack, 0
	.set _ZL31rocblas_trsm_small_right_deviceI19rocblas_complex_numIdES1_PKPKS1_PKPS1_Li28EEv13rocblas_fill_18rocblas_operation_17rocblas_diagonal_iiT0_T1_lilT2_lili.has_recursion, 0
	.set _ZL31rocblas_trsm_small_right_deviceI19rocblas_complex_numIdES1_PKPKS1_PKPS1_Li28EEv13rocblas_fill_18rocblas_operation_17rocblas_diagonal_iiT0_T1_lilT2_lili.has_indirect_call, 0
	.section	.AMDGPU.csdata,"",@progbits
; Kernel info:
; codeLenInByte = 16472
; TotalNumSgprs: 44
; NumVgprs: 64
; ScratchSize: 0
; MemoryBound: 0
; FloatMode: 240
; IeeeMode: 1
; LDSByteSize: 25088 bytes/workgroup (compile time only)
; SGPRBlocks: 0
; VGPRBlocks: 30
; NumSGPRsForWavesPerEU: 44
; NumVGPRsForWavesPerEU: 241
; Occupancy: 2
; WaveLimiterHint : 0
; COMPUTE_PGM_RSRC2:SCRATCH_EN: 0
; COMPUTE_PGM_RSRC2:USER_SGPR: 2
; COMPUTE_PGM_RSRC2:TRAP_HANDLER: 0
; COMPUTE_PGM_RSRC2:TGID_X_EN: 1
; COMPUTE_PGM_RSRC2:TGID_Y_EN: 0
; COMPUTE_PGM_RSRC2:TGID_Z_EN: 1
; COMPUTE_PGM_RSRC2:TIDIG_COMP_CNT: 0
	.section	.text._ZL38rocblas_trsm_small_left_device_sharedBILi32ELi32ELb0E19rocblas_complex_numIdES1_PKPKS1_PKPS1_Ev13rocblas_fill_18rocblas_operation_17rocblas_diagonal_iiT3_T4_lilT5_lili,"axG",@progbits,_ZL38rocblas_trsm_small_left_device_sharedBILi32ELi32ELb0E19rocblas_complex_numIdES1_PKPKS1_PKPS1_Ev13rocblas_fill_18rocblas_operation_17rocblas_diagonal_iiT3_T4_lilT5_lili,comdat
	.globl	_ZL38rocblas_trsm_small_left_device_sharedBILi32ELi32ELb0E19rocblas_complex_numIdES1_PKPKS1_PKPS1_Ev13rocblas_fill_18rocblas_operation_17rocblas_diagonal_iiT3_T4_lilT5_lili ; -- Begin function _ZL38rocblas_trsm_small_left_device_sharedBILi32ELi32ELb0E19rocblas_complex_numIdES1_PKPKS1_PKPS1_Ev13rocblas_fill_18rocblas_operation_17rocblas_diagonal_iiT3_T4_lilT5_lili
	.p2align	8
	.type	_ZL38rocblas_trsm_small_left_device_sharedBILi32ELi32ELb0E19rocblas_complex_numIdES1_PKPKS1_PKPS1_Ev13rocblas_fill_18rocblas_operation_17rocblas_diagonal_iiT3_T4_lilT5_lili,@function
_ZL38rocblas_trsm_small_left_device_sharedBILi32ELi32ELb0E19rocblas_complex_numIdES1_PKPKS1_PKPS1_Ev13rocblas_fill_18rocblas_operation_17rocblas_diagonal_iiT3_T4_lilT5_lili: ; @_ZL38rocblas_trsm_small_left_device_sharedBILi32ELi32ELb0E19rocblas_complex_numIdES1_PKPKS1_PKPS1_Ev13rocblas_fill_18rocblas_operation_17rocblas_diagonal_iiT3_T4_lilT5_lili
; %bb.0:
	s_load_b32 s24, s[0:1], 0x68
	s_lshr_b32 s2, ttmp7, 16
	s_wait_kmcnt 0x0
	s_cmp_ge_u32 s2, s24
	s_cbranch_scc1 .LBB234_62
; %bb.1:
	s_clause 0x5
	s_load_b32 s22, s[0:1], 0x38
	s_load_b32 s34, s[0:1], 0x58
	s_load_b128 s[16:19], s[0:1], 0x4
	s_load_b32 s3, s[0:1], 0x70
	s_load_b128 s[12:15], s[0:1], 0x48
	s_load_b256 s[4:11], s[0:1], 0x18
	v_dual_mov_b32 v13, 0 :: v_dual_lshlrev_b32 v12, 4, v0
	v_lshlrev_b32_e32 v5, 9, v0
	s_mov_b32 s21, 0
	s_delay_alu instid0(VALU_DEP_2) | instskip(NEXT) | instid1(VALU_DEP_2)
	v_or_b32_e32 v14, 0x4000, v12
	v_add_nc_u32_e32 v19, v12, v5
	s_wait_kmcnt 0x0
	s_ashr_i32 s23, s22, 31
	s_ashr_i32 s35, s34, 31
	s_cmp_eq_u32 s16, 0x71
	v_mad_co_i64_i32 v[1:2], null, s34, v0, 0
	s_cselect_b32 s0, -1, 0
	s_min_i32 s25, s18, 32
	s_lshl_b32 s30, ttmp9, 5
	s_add_co_i32 s3, s3, -1
	s_add_co_i32 s26, s25, -1
	s_sub_co_i32 s1, s19, s30
	s_cmp_ge_u32 ttmp9, s3
	v_lshlrev_b64_e32 v[8:9], 4, v[1:2]
	s_cselect_b32 s1, s1, 32
	s_ashr_i32 s31, s30, 31
	s_cmp_lg_u32 s17, 0x84
	v_cmp_gt_i32_e32 vcc_lo, s1, v0
	s_cselect_b32 s27, -1, 0
	s_cmp_gt_i32 s18, 0
	v_cmp_gt_i32_e64 s1, s25, v0
	s_cselect_b32 s3, -1, 0
	s_cmp_lg_u32 s16, 0x6f
	s_mul_u64 s[18:19], s[34:35], s[30:31]
	s_cselect_b32 s28, -1, 0
	s_lshl_b64 s[16:17], s[30:31], 4
	s_lshl_b64 s[30:31], s[10:11], 4
	v_or_b32_e32 v0, s16, v12
	s_lshl_b64 s[10:11], s[14:15], 4
	s_and_b32 s29, vcc_lo, s3
	s_lshl_b64 s[14:15], s[22:23], 4
	s_delay_alu instid0(VALU_DEP_1) | instskip(SKIP_2) | instid1(VALU_DEP_1)
	v_mul_lo_u32 v6, v0, s35
	v_mad_co_u64_u32 v[3:4], null, v0, s34, s[10:11]
	v_add_co_u32 v0, s3, s30, v12
	v_add_co_ci_u32_e64 v15, null, s31, 0, s3
	s_mul_i32 s3, s17, s34
	v_or_b32_e32 v16, 8, v0
	s_wait_alu 0xfffe
	v_add3_u32 v17, s3, v4, v6
	v_or_b32_e32 v18, 8, v3
	s_lshl_b32 s3, s25, 9
	s_or_b32 s30, 0, 8
	s_wait_alu 0xfffe
	s_add_co_i32 s22, s3, 0xfffffe00
	s_lshl_b64 s[16:17], s[18:19], 4
	s_branch .LBB234_3
.LBB234_2:                              ;   in Loop: Header=BB234_3 Depth=1
	s_wait_alu 0xfffe
	s_or_b32 exec_lo, exec_lo, s3
	s_add_co_i32 s2, s2, 0x10000
	s_wait_alu 0xfffe
	s_cmp_lt_u32 s2, s24
	s_cbranch_scc0 .LBB234_62
.LBB234_3:                              ; =>This Loop Header: Depth=1
                                        ;     Child Loop BB234_5 Depth 2
                                        ;     Child Loop BB234_16 Depth 2
	;; [unrolled: 1-line block ×3, first 2 shown]
                                        ;       Child Loop BB234_23 Depth 3
                                        ;         Child Loop BB234_24 Depth 4
                                        ;         Child Loop BB234_27 Depth 4
                                        ;           Child Loop BB234_28 Depth 5
                                        ;         Child Loop BB234_32 Depth 4
                                        ;           Child Loop BB234_34 Depth 5
                                        ;     Child Loop BB234_42 Depth 2
                                        ;       Child Loop BB234_45 Depth 3
                                        ;         Child Loop BB234_46 Depth 4
                                        ;         Child Loop BB234_48 Depth 4
                                        ;           Child Loop BB234_49 Depth 5
                                        ;         Child Loop BB234_53 Depth 4
                                        ;           Child Loop BB234_55 Depth 5
                                        ;     Child Loop BB234_61 Depth 2
	s_mov_b32 s3, s21
	s_wait_alu 0xfffe
	s_lshl_b64 s[18:19], s[2:3], 3
	s_delay_alu instid0(SALU_CYCLE_1)
	s_add_nc_u64 s[34:35], s[12:13], s[18:19]
	global_load_b64 v[10:11], v13, s[34:35]
	s_and_saveexec_b32 s3, s1
	s_cbranch_execz .LBB234_14
; %bb.4:                                ;   in Loop: Header=BB234_3 Depth=1
	s_add_nc_u64 s[18:19], s[8:9], s[18:19]
	v_mov_b32_e32 v2, v12
	global_load_b64 v[0:1], v13, s[18:19]
	s_mov_b32 s18, s25
	s_wait_loadcnt 0x0
	v_add_co_u32 v0, vcc_lo, v0, v16
	s_wait_alu 0xfffd
	v_add_co_ci_u32_e64 v1, null, v1, v15, vcc_lo
.LBB234_5:                              ;   Parent Loop BB234_3 Depth=1
                                        ; =>  This Inner Loop Header: Depth=2
	flat_load_b128 v[3:6], v[0:1] offset:-8
	v_add_co_u32 v0, vcc_lo, v0, s14
	s_wait_alu 0xfffd
	v_add_co_ci_u32_e64 v1, null, s15, v1, vcc_lo
	s_add_co_i32 s18, s18, -1
	s_delay_alu instid0(SALU_CYCLE_1) | instskip(SKIP_2) | instid1(VALU_DEP_1)
	s_cmp_eq_u32 s18, 0
	s_wait_loadcnt_dscnt 0x0
	v_xor_b32_e32 v7, 0x80000000, v6
	v_cndmask_b32_e64 v6, v6, v7, s0
	ds_store_b128 v2, v[3:6]
	v_add_nc_u32_e32 v2, 0x200, v2
	s_cbranch_scc0 .LBB234_5
; %bb.6:                                ;   in Loop: Header=BB234_3 Depth=1
	s_and_b32 vcc_lo, exec_lo, s27
	s_wait_alu 0xfffe
	s_cbranch_vccz .LBB234_12
; %bb.7:                                ;   in Loop: Header=BB234_3 Depth=1
	ds_load_b128 v[0:3], v19
                                        ; implicit-def: $vgpr6_vgpr7
	s_wait_dscnt 0x0
	v_cmp_ngt_f64_e64 s18, |v[0:1]|, |v[2:3]|
	s_and_saveexec_b32 s19, s18
	s_delay_alu instid0(SALU_CYCLE_1)
	s_xor_b32 s18, exec_lo, s19
	s_cbranch_execz .LBB234_9
; %bb.8:                                ;   in Loop: Header=BB234_3 Depth=1
	v_div_scale_f64 v[4:5], null, v[2:3], v[2:3], v[0:1]
	v_div_scale_f64 v[22:23], vcc_lo, v[0:1], v[2:3], v[0:1]
	s_delay_alu instid0(VALU_DEP_2) | instskip(NEXT) | instid1(TRANS32_DEP_1)
	v_rcp_f64_e32 v[6:7], v[4:5]
	v_fma_f64 v[20:21], -v[4:5], v[6:7], 1.0
	s_delay_alu instid0(VALU_DEP_1) | instskip(NEXT) | instid1(VALU_DEP_1)
	v_fma_f64 v[6:7], v[6:7], v[20:21], v[6:7]
	v_fma_f64 v[20:21], -v[4:5], v[6:7], 1.0
	s_delay_alu instid0(VALU_DEP_1) | instskip(NEXT) | instid1(VALU_DEP_1)
	v_fma_f64 v[6:7], v[6:7], v[20:21], v[6:7]
	v_mul_f64_e32 v[20:21], v[22:23], v[6:7]
	s_delay_alu instid0(VALU_DEP_1) | instskip(SKIP_1) | instid1(VALU_DEP_1)
	v_fma_f64 v[4:5], -v[4:5], v[20:21], v[22:23]
	s_wait_alu 0xfffd
	v_div_fmas_f64 v[4:5], v[4:5], v[6:7], v[20:21]
	s_delay_alu instid0(VALU_DEP_1) | instskip(NEXT) | instid1(VALU_DEP_1)
	v_div_fixup_f64 v[4:5], v[4:5], v[2:3], v[0:1]
	v_fma_f64 v[0:1], v[0:1], v[4:5], v[2:3]
	s_delay_alu instid0(VALU_DEP_1) | instskip(SKIP_1) | instid1(VALU_DEP_2)
	v_div_scale_f64 v[2:3], null, v[0:1], v[0:1], 1.0
	v_div_scale_f64 v[22:23], vcc_lo, 1.0, v[0:1], 1.0
	v_rcp_f64_e32 v[6:7], v[2:3]
	s_delay_alu instid0(TRANS32_DEP_1) | instskip(NEXT) | instid1(VALU_DEP_1)
	v_fma_f64 v[20:21], -v[2:3], v[6:7], 1.0
	v_fma_f64 v[6:7], v[6:7], v[20:21], v[6:7]
	s_delay_alu instid0(VALU_DEP_1) | instskip(NEXT) | instid1(VALU_DEP_1)
	v_fma_f64 v[20:21], -v[2:3], v[6:7], 1.0
	v_fma_f64 v[6:7], v[6:7], v[20:21], v[6:7]
	s_delay_alu instid0(VALU_DEP_1) | instskip(NEXT) | instid1(VALU_DEP_1)
	v_mul_f64_e32 v[20:21], v[22:23], v[6:7]
	v_fma_f64 v[2:3], -v[2:3], v[20:21], v[22:23]
	s_wait_alu 0xfffd
	s_delay_alu instid0(VALU_DEP_1) | instskip(SKIP_1) | instid1(VALU_DEP_2)
	v_div_fmas_f64 v[2:3], v[2:3], v[6:7], v[20:21]
	v_add_f64_e32 v[6:7], 0, v[4:5]
	v_div_fixup_f64 v[0:1], v[2:3], v[0:1], 1.0
	v_fma_f64 v[2:3], v[4:5], 0, -1.0
	s_delay_alu instid0(VALU_DEP_2) | instskip(NEXT) | instid1(VALU_DEP_2)
	v_mul_f64_e32 v[4:5], v[6:7], v[0:1]
	v_mul_f64_e32 v[6:7], v[2:3], v[0:1]
                                        ; implicit-def: $vgpr0_vgpr1
.LBB234_9:                              ;   in Loop: Header=BB234_3 Depth=1
	s_and_not1_saveexec_b32 s18, s18
	s_cbranch_execz .LBB234_11
; %bb.10:                               ;   in Loop: Header=BB234_3 Depth=1
	v_div_scale_f64 v[4:5], null, v[0:1], v[0:1], v[2:3]
	v_div_scale_f64 v[22:23], vcc_lo, v[2:3], v[0:1], v[2:3]
	s_delay_alu instid0(VALU_DEP_2) | instskip(NEXT) | instid1(TRANS32_DEP_1)
	v_rcp_f64_e32 v[6:7], v[4:5]
	v_fma_f64 v[20:21], -v[4:5], v[6:7], 1.0
	s_delay_alu instid0(VALU_DEP_1) | instskip(NEXT) | instid1(VALU_DEP_1)
	v_fma_f64 v[6:7], v[6:7], v[20:21], v[6:7]
	v_fma_f64 v[20:21], -v[4:5], v[6:7], 1.0
	s_delay_alu instid0(VALU_DEP_1) | instskip(NEXT) | instid1(VALU_DEP_1)
	v_fma_f64 v[6:7], v[6:7], v[20:21], v[6:7]
	v_mul_f64_e32 v[20:21], v[22:23], v[6:7]
	s_delay_alu instid0(VALU_DEP_1) | instskip(SKIP_1) | instid1(VALU_DEP_1)
	v_fma_f64 v[4:5], -v[4:5], v[20:21], v[22:23]
	s_wait_alu 0xfffd
	v_div_fmas_f64 v[4:5], v[4:5], v[6:7], v[20:21]
	s_delay_alu instid0(VALU_DEP_1) | instskip(NEXT) | instid1(VALU_DEP_1)
	v_div_fixup_f64 v[4:5], v[4:5], v[0:1], v[2:3]
	v_fma_f64 v[0:1], v[2:3], v[4:5], v[0:1]
	s_delay_alu instid0(VALU_DEP_1) | instskip(SKIP_1) | instid1(VALU_DEP_2)
	v_div_scale_f64 v[2:3], null, v[0:1], v[0:1], 1.0
	v_div_scale_f64 v[22:23], vcc_lo, 1.0, v[0:1], 1.0
	v_rcp_f64_e32 v[6:7], v[2:3]
	s_delay_alu instid0(TRANS32_DEP_1) | instskip(NEXT) | instid1(VALU_DEP_1)
	v_fma_f64 v[20:21], -v[2:3], v[6:7], 1.0
	v_fma_f64 v[6:7], v[6:7], v[20:21], v[6:7]
	s_delay_alu instid0(VALU_DEP_1) | instskip(NEXT) | instid1(VALU_DEP_1)
	v_fma_f64 v[20:21], -v[2:3], v[6:7], 1.0
	v_fma_f64 v[6:7], v[6:7], v[20:21], v[6:7]
	s_delay_alu instid0(VALU_DEP_1) | instskip(NEXT) | instid1(VALU_DEP_1)
	v_mul_f64_e32 v[20:21], v[22:23], v[6:7]
	v_fma_f64 v[2:3], -v[2:3], v[20:21], v[22:23]
	s_wait_alu 0xfffd
	s_delay_alu instid0(VALU_DEP_1) | instskip(SKIP_1) | instid1(VALU_DEP_2)
	v_div_fmas_f64 v[2:3], v[2:3], v[6:7], v[20:21]
	v_fma_f64 v[6:7], v[4:5], 0, 1.0
	v_div_fixup_f64 v[0:1], v[2:3], v[0:1], 1.0
	v_add_f64_e64 v[2:3], -v[4:5], 0
	s_delay_alu instid0(VALU_DEP_2) | instskip(NEXT) | instid1(VALU_DEP_2)
	v_mul_f64_e32 v[4:5], v[6:7], v[0:1]
	v_mul_f64_e32 v[6:7], v[2:3], v[0:1]
.LBB234_11:                             ;   in Loop: Header=BB234_3 Depth=1
	s_or_b32 exec_lo, exec_lo, s18
	s_branch .LBB234_13
.LBB234_12:                             ;   in Loop: Header=BB234_3 Depth=1
	v_mov_b32_e32 v6, 0
	v_dual_mov_b32 v7, 0 :: v_dual_mov_b32 v4, 0
	v_mov_b32_e32 v5, 0x3ff00000
.LBB234_13:                             ;   in Loop: Header=BB234_3 Depth=1
	ds_store_b128 v19, v[4:7]
.LBB234_14:                             ;   in Loop: Header=BB234_3 Depth=1
	s_wait_alu 0xfffe
	s_or_b32 exec_lo, exec_lo, s3
	s_and_saveexec_b32 s3, s29
	s_cbranch_execz .LBB234_17
; %bb.15:                               ;   in Loop: Header=BB234_3 Depth=1
	s_wait_loadcnt 0x0
	v_add_co_u32 v0, vcc_lo, v10, v18
	s_wait_alu 0xfffd
	v_add_co_ci_u32_e64 v1, null, v11, v17, vcc_lo
	v_mov_b32_e32 v2, v14
	s_mov_b32 s18, s25
.LBB234_16:                             ;   Parent Loop BB234_3 Depth=1
                                        ; =>  This Inner Loop Header: Depth=2
	flat_load_b128 v[3:6], v[0:1] offset:-8
	v_add_co_u32 v0, vcc_lo, v0, 16
	s_wait_alu 0xfffd
	v_add_co_ci_u32_e64 v1, null, 0, v1, vcc_lo
	s_add_co_i32 s18, s18, -1
	s_delay_alu instid0(SALU_CYCLE_1) | instskip(SKIP_3) | instid1(VALU_DEP_2)
	s_cmp_lg_u32 s18, 0
	s_wait_loadcnt_dscnt 0x0
	v_mul_f64_e32 v[20:21], s[6:7], v[5:6]
	v_mul_f64_e32 v[5:6], s[4:5], v[5:6]
	v_fma_f64 v[20:21], s[4:5], v[3:4], -v[20:21]
	s_delay_alu instid0(VALU_DEP_2)
	v_fma_f64 v[22:23], s[6:7], v[3:4], v[5:6]
	ds_store_b128 v2, v[20:23]
	v_add_nc_u32_e32 v2, 0x200, v2
	s_cbranch_scc1 .LBB234_16
.LBB234_17:                             ;   in Loop: Header=BB234_3 Depth=1
	s_wait_alu 0xfffe
	s_or_b32 exec_lo, exec_lo, s3
	s_delay_alu instid0(SALU_CYCLE_1)
	s_and_not1_b32 vcc_lo, exec_lo, s28
	s_mov_b32 s3, -1
	; wave barrier
	s_wait_loadcnt_dscnt 0x0
	global_inv scope:SCOPE_SE
	s_wait_alu 0xfffe
	s_cbranch_vccnz .LBB234_39
; %bb.18:                               ;   in Loop: Header=BB234_3 Depth=1
	s_mov_b32 s20, 0
	s_delay_alu instid0(SALU_CYCLE_1)
	s_mov_b32 s3, s20
	s_branch .LBB234_20
.LBB234_19:                             ;   in Loop: Header=BB234_20 Depth=2
	s_cmp_lt_i32 s3, s25
	s_cselect_b32 s18, -1, 0
	s_add_co_i32 s19, s20, 1
	s_cmp_lt_u32 s20, 2
	s_cselect_b32 s20, -1, 0
	s_delay_alu instid0(SALU_CYCLE_1)
	s_and_b32 s18, s18, s20
	s_mov_b32 s20, s19
	s_and_b32 vcc_lo, exec_lo, s18
	s_wait_alu 0xfffe
	s_cbranch_vccz .LBB234_38
.LBB234_20:                             ;   Parent Loop BB234_3 Depth=1
                                        ; =>  This Loop Header: Depth=2
                                        ;       Child Loop BB234_23 Depth 3
                                        ;         Child Loop BB234_24 Depth 4
                                        ;         Child Loop BB234_27 Depth 4
                                        ;           Child Loop BB234_28 Depth 5
                                        ;         Child Loop BB234_32 Depth 4
                                        ;           Child Loop BB234_34 Depth 5
	s_getpc_b64 s[18:19]
	s_sext_i32_i16 s19, s19
	s_add_co_u32 s18, s18, __const._ZL38rocblas_trsm_small_left_device_sharedBILi32ELi32ELb0E19rocblas_complex_numIdES1_PKPKS1_PKPS1_Ev13rocblas_fill_18rocblas_operation_17rocblas_diagonal_iiT3_T4_lilT5_lili.step_sizes@rel32@lo+8
	s_add_co_ci_u32 s19, s19, __const._ZL38rocblas_trsm_small_left_device_sharedBILi32ELi32ELb0E19rocblas_complex_numIdES1_PKPKS1_PKPS1_Ev13rocblas_fill_18rocblas_operation_17rocblas_diagonal_iiT3_T4_lilT5_lili.step_sizes@rel32@hi+16
	s_lshl_b64 s[34:35], s[20:21], 2
	s_wait_alu 0xfffe
	s_add_nc_u64 s[18:19], s[18:19], s[34:35]
	s_load_b32 s18, s[18:19], 0x0
	s_wait_kmcnt 0x0
	s_add_co_i32 s19, s18, -1
	s_delay_alu instid0(SALU_CYCLE_1)
	s_add_co_i32 s23, s19, s3
	s_wait_alu 0xfffe
	s_cmp_ge_i32 s23, s25
	s_cbranch_scc1 .LBB234_19
; %bb.21:                               ;   in Loop: Header=BB234_20 Depth=2
	s_lshl_b32 s23, s3, 9
	s_max_i32 s31, s18, 1
	s_wait_alu 0xfffe
	v_add_nc_u32_e32 v4, s23, v14
	s_lshl_b32 s33, s18, 9
	s_mul_i32 s34, s3, 0x210
	s_mul_i32 s35, s18, 0x210
	s_branch .LBB234_23
.LBB234_22:                             ;   in Loop: Header=BB234_23 Depth=3
	s_add_co_i32 s3, s3, s18
	v_add_nc_u32_e32 v4, s33, v4
	s_wait_alu 0xfffe
	s_add_co_i32 s36, s19, s3
	s_add_co_i32 s23, s23, s33
	;; [unrolled: 1-line block ×3, first 2 shown]
	s_wait_alu 0xfffe
	s_cmp_ge_i32 s36, s25
	s_cbranch_scc1 .LBB234_19
.LBB234_23:                             ;   Parent Loop BB234_3 Depth=1
                                        ;     Parent Loop BB234_20 Depth=2
                                        ; =>    This Loop Header: Depth=3
                                        ;         Child Loop BB234_24 Depth 4
                                        ;         Child Loop BB234_27 Depth 4
                                        ;           Child Loop BB234_28 Depth 5
                                        ;         Child Loop BB234_32 Depth 4
                                        ;           Child Loop BB234_34 Depth 5
	v_mov_b32_e32 v0, v4
	s_mov_b32 s36, 0
	s_wait_alu 0xfffe
	s_mov_b32 s37, s31
.LBB234_24:                             ;   Parent Loop BB234_3 Depth=1
                                        ;     Parent Loop BB234_20 Depth=2
                                        ;       Parent Loop BB234_23 Depth=3
                                        ; =>      This Inner Loop Header: Depth=4
	ds_load_b128 v[20:23], v0
	v_add_nc_u32_e32 v0, 0x200, v0
	s_wait_alu 0xfffe
	s_add_co_i32 s37, s37, -1
	s_wait_dscnt 0x0
	scratch_store_b128 off, v[20:23], s36
	s_add_co_i32 s36, s36, 16
	s_wait_alu 0xfffe
	s_cmp_eq_u32 s37, 0
	s_cbranch_scc0 .LBB234_24
; %bb.25:                               ;   in Loop: Header=BB234_23 Depth=3
	s_cmp_lt_i32 s3, 1
	s_cbranch_scc1 .LBB234_30
; %bb.26:                               ;   in Loop: Header=BB234_23 Depth=3
	s_mov_b32 s36, 0
	s_mov_b32 s37, s23
.LBB234_27:                             ;   Parent Loop BB234_3 Depth=1
                                        ;     Parent Loop BB234_20 Depth=2
                                        ;       Parent Loop BB234_23 Depth=3
                                        ; =>      This Loop Header: Depth=4
                                        ;           Child Loop BB234_28 Depth 5
	s_wait_alu 0xfffe
	v_lshl_add_u32 v0, s36, 9, v14
	s_mov_b32 s38, s30
	s_mov_b32 s39, s37
	;; [unrolled: 1-line block ×3, first 2 shown]
	ds_load_b128 v[0:3], v0
.LBB234_28:                             ;   Parent Loop BB234_3 Depth=1
                                        ;     Parent Loop BB234_20 Depth=2
                                        ;       Parent Loop BB234_23 Depth=3
                                        ;         Parent Loop BB234_27 Depth=4
                                        ; =>        This Inner Loop Header: Depth=5
	scratch_load_b128 v[20:23], off, s38 offset:-8
	s_wait_alu 0xfffe
	v_mov_b32_e32 v5, s39
	s_add_co_i32 s40, s40, -1
	s_addk_co_i32 s39, 0x200
	ds_load_b128 v[24:27], v5
	s_wait_dscnt 0x0
	v_mul_f64_e32 v[5:6], v[2:3], v[26:27]
	v_mul_f64_e32 v[26:27], v[0:1], v[26:27]
	s_delay_alu instid0(VALU_DEP_2) | instskip(NEXT) | instid1(VALU_DEP_2)
	v_fma_f64 v[5:6], v[0:1], v[24:25], -v[5:6]
	v_fma_f64 v[24:25], v[2:3], v[24:25], v[26:27]
	s_wait_loadcnt 0x0
	s_delay_alu instid0(VALU_DEP_2) | instskip(NEXT) | instid1(VALU_DEP_2)
	v_add_f64_e64 v[20:21], v[20:21], -v[5:6]
	v_add_f64_e64 v[22:23], v[22:23], -v[24:25]
	scratch_store_b128 off, v[20:23], s38 offset:-8
	s_add_co_i32 s38, s38, 16
	s_wait_alu 0xfffe
	s_cmp_eq_u32 s40, 0
	s_cbranch_scc0 .LBB234_28
; %bb.29:                               ;   in Loop: Header=BB234_27 Depth=4
	s_add_co_i32 s36, s36, 1
	s_add_co_i32 s37, s37, 16
	s_wait_alu 0xfffe
	s_cmp_eq_u32 s36, s3
	s_cbranch_scc0 .LBB234_27
.LBB234_30:                             ;   in Loop: Header=BB234_23 Depth=3
	s_lshl_b32 s36, s3, 9
	s_mov_b32 s37, 0
	s_mov_b32 s38, s34
	s_branch .LBB234_32
.LBB234_31:                             ;   in Loop: Header=BB234_32 Depth=4
	s_wait_alu 0xfffe
	s_mulk_i32 s40, 0x210
	s_addk_co_i32 s38, 0x200
	s_wait_alu 0xfffe
	v_mov_b32_e32 v5, s40
	s_lshl_b32 s40, s37, 4
	s_add_co_i32 s37, s37, 1
	s_wait_alu 0xfffe
	s_cmp_eq_u32 s37, s31
	ds_load_b128 v[20:23], v5
	s_wait_loadcnt_dscnt 0x0
	v_mul_f64_e32 v[5:6], v[22:23], v[2:3]
	v_mul_f64_e32 v[2:3], v[20:21], v[2:3]
	s_delay_alu instid0(VALU_DEP_2) | instskip(NEXT) | instid1(VALU_DEP_2)
	v_fma_f64 v[20:21], v[20:21], v[0:1], -v[5:6]
	v_fma_f64 v[22:23], v[22:23], v[0:1], v[2:3]
	v_add_nc_u32_e32 v0, s39, v14
	scratch_store_b128 off, v[20:23], s40
	ds_store_b128 v0, v[20:23]
	s_cbranch_scc1 .LBB234_22
.LBB234_32:                             ;   Parent Loop BB234_3 Depth=1
                                        ;     Parent Loop BB234_20 Depth=2
                                        ;       Parent Loop BB234_23 Depth=3
                                        ; =>      This Loop Header: Depth=4
                                        ;           Child Loop BB234_34 Depth 5
	s_wait_alu 0xfffe
	s_cmp_lg_u32 s37, 0
	s_cbranch_scc0 .LBB234_36
; %bb.33:                               ;   in Loop: Header=BB234_32 Depth=4
	s_lshl_b32 s41, s37, 4
	s_add_co_i32 s40, s37, s3
	scratch_load_b128 v[0:3], off, s41
	s_wait_alu 0xfffe
	s_lshl_b32 s39, s40, 9
	s_mov_b32 s42, s38
	s_mov_b32 s43, s30
	;; [unrolled: 1-line block ×3, first 2 shown]
.LBB234_34:                             ;   Parent Loop BB234_3 Depth=1
                                        ;     Parent Loop BB234_20 Depth=2
                                        ;       Parent Loop BB234_23 Depth=3
                                        ;         Parent Loop BB234_32 Depth=4
                                        ; =>        This Inner Loop Header: Depth=5
	scratch_load_b128 v[20:23], off, s43 offset:-8
	s_wait_alu 0xfffe
	v_mov_b32_e32 v5, s42
	s_add_co_i32 s44, s44, -1
	s_add_co_i32 s43, s43, 16
	s_add_co_i32 s42, s42, 16
	s_cmp_eq_u32 s44, 0
	ds_load_b128 v[24:27], v5
	s_wait_loadcnt_dscnt 0x0
	v_mul_f64_e32 v[5:6], v[26:27], v[22:23]
	v_mul_f64_e32 v[22:23], v[24:25], v[22:23]
	s_delay_alu instid0(VALU_DEP_2) | instskip(NEXT) | instid1(VALU_DEP_2)
	v_fma_f64 v[5:6], v[24:25], v[20:21], -v[5:6]
	v_fma_f64 v[20:21], v[26:27], v[20:21], v[22:23]
	s_delay_alu instid0(VALU_DEP_2) | instskip(NEXT) | instid1(VALU_DEP_2)
	v_add_f64_e64 v[0:1], v[0:1], -v[5:6]
	v_add_f64_e64 v[2:3], v[2:3], -v[20:21]
	scratch_store_b128 off, v[0:3], s41
	s_cbranch_scc0 .LBB234_34
; %bb.35:                               ;   in Loop: Header=BB234_32 Depth=4
	s_branch .LBB234_31
.LBB234_36:                             ;   in Loop: Header=BB234_32 Depth=4
                                        ; implicit-def: $vgpr0_vgpr1
                                        ; implicit-def: $sgpr40
                                        ; implicit-def: $sgpr39
	s_cbranch_execz .LBB234_31
; %bb.37:                               ;   in Loop: Header=BB234_32 Depth=4
	scratch_load_b128 v[0:3], off, off
	s_mov_b32 s39, s36
	s_mov_b32 s40, s3
	s_branch .LBB234_31
.LBB234_38:                             ;   in Loop: Header=BB234_3 Depth=1
	s_mov_b32 s3, 0
.LBB234_39:                             ;   in Loop: Header=BB234_3 Depth=1
	s_wait_alu 0xfffe
	s_and_b32 vcc_lo, exec_lo, s3
	s_wait_alu 0xfffe
	s_cbranch_vccz .LBB234_59
; %bb.40:                               ;   in Loop: Header=BB234_3 Depth=1
	s_mov_b32 s20, 0
	s_mov_b32 s3, s26
	s_branch .LBB234_42
.LBB234_41:                             ;   in Loop: Header=BB234_42 Depth=2
	s_cmp_gt_i32 s3, -1
	s_cselect_b32 s18, -1, 0
	s_add_co_i32 s19, s20, 1
	s_cmp_lt_u32 s20, 2
	s_cselect_b32 s20, -1, 0
	s_delay_alu instid0(SALU_CYCLE_1)
	s_and_b32 s18, s18, s20
	s_mov_b32 s20, s19
	s_and_not1_b32 vcc_lo, exec_lo, s18
	s_wait_alu 0xfffe
	s_cbranch_vccnz .LBB234_59
.LBB234_42:                             ;   Parent Loop BB234_3 Depth=1
                                        ; =>  This Loop Header: Depth=2
                                        ;       Child Loop BB234_45 Depth 3
                                        ;         Child Loop BB234_46 Depth 4
                                        ;         Child Loop BB234_48 Depth 4
                                        ;           Child Loop BB234_49 Depth 5
                                        ;         Child Loop BB234_53 Depth 4
                                        ;           Child Loop BB234_55 Depth 5
	s_getpc_b64 s[18:19]
	s_sext_i32_i16 s19, s19
	s_add_co_u32 s18, s18, __const._ZL38rocblas_trsm_small_left_device_sharedBILi32ELi32ELb0E19rocblas_complex_numIdES1_PKPKS1_PKPS1_Ev13rocblas_fill_18rocblas_operation_17rocblas_diagonal_iiT3_T4_lilT5_lili.step_sizes@rel32@lo+8
	s_add_co_ci_u32 s19, s19, __const._ZL38rocblas_trsm_small_left_device_sharedBILi32ELi32ELb0E19rocblas_complex_numIdES1_PKPKS1_PKPS1_Ev13rocblas_fill_18rocblas_operation_17rocblas_diagonal_iiT3_T4_lilT5_lili.step_sizes@rel32@hi+16
	s_lshl_b64 s[34:35], s[20:21], 2
	s_wait_alu 0xfffe
	s_add_nc_u64 s[18:19], s[18:19], s[34:35]
	s_load_b32 s18, s[18:19], 0x0
	s_wait_kmcnt 0x0
	s_add_co_i32 s19, s18, -1
	s_delay_alu instid0(SALU_CYCLE_1)
	s_cmp_lt_i32 s3, s19
	s_cbranch_scc1 .LBB234_41
; %bb.43:                               ;   in Loop: Header=BB234_42 Depth=2
	v_lshl_add_u32 v4, s3, 9, v14
	s_lshl_b32 s31, s18, 9
	s_lshl_b32 s33, s3, 4
	;; [unrolled: 1-line block ×3, first 2 shown]
	s_max_i32 s23, s18, 1
	s_wait_alu 0xfffe
	s_sub_co_i32 s31, 0, s31
	s_add_co_i32 s33, s22, s33
	s_sub_co_i32 s34, 0, s34
	s_mul_i32 s35, s3, 0x210
	s_mul_i32 s36, s18, 0xfffffdf0
	s_branch .LBB234_45
.LBB234_44:                             ;   in Loop: Header=BB234_45 Depth=3
	v_add_nc_u32_e32 v4, s31, v4
	s_sub_co_i32 s3, s3, s18
	s_add_co_i32 s33, s33, s34
	s_add_co_i32 s35, s35, s36
	s_wait_alu 0xfffe
	s_cmp_lt_i32 s3, s19
	s_cbranch_scc1 .LBB234_41
.LBB234_45:                             ;   Parent Loop BB234_3 Depth=1
                                        ;     Parent Loop BB234_42 Depth=2
                                        ; =>    This Loop Header: Depth=3
                                        ;         Child Loop BB234_46 Depth 4
                                        ;         Child Loop BB234_48 Depth 4
                                        ;           Child Loop BB234_49 Depth 5
                                        ;         Child Loop BB234_53 Depth 4
                                        ;           Child Loop BB234_55 Depth 5
	v_mov_b32_e32 v0, v4
	s_mov_b32 s37, 0
	s_mov_b32 s38, s23
.LBB234_46:                             ;   Parent Loop BB234_3 Depth=1
                                        ;     Parent Loop BB234_42 Depth=2
                                        ;       Parent Loop BB234_45 Depth=3
                                        ; =>      This Inner Loop Header: Depth=4
	ds_load_b128 v[20:23], v0
	v_add_nc_u32_e32 v0, 0xfffffe00, v0
	s_wait_alu 0xfffe
	s_add_co_i32 s38, s38, -1
	s_wait_dscnt 0x0
	scratch_store_b128 off, v[20:23], s37
	s_add_co_i32 s37, s37, 16
	s_wait_alu 0xfffe
	s_cmp_eq_u32 s38, 0
	s_cbranch_scc0 .LBB234_46
; %bb.47:                               ;   in Loop: Header=BB234_45 Depth=3
	s_cmp_le_i32 s26, s3
	s_mov_b32 s37, s33
	s_mov_b32 s38, s26
	s_cbranch_scc1 .LBB234_51
.LBB234_48:                             ;   Parent Loop BB234_3 Depth=1
                                        ;     Parent Loop BB234_42 Depth=2
                                        ;       Parent Loop BB234_45 Depth=3
                                        ; =>      This Loop Header: Depth=4
                                        ;           Child Loop BB234_49 Depth 5
	s_wait_alu 0xfffe
	v_lshl_add_u32 v0, s38, 9, v14
	s_mov_b32 s39, s30
	s_mov_b32 s40, s37
	s_mov_b32 s41, s23
	ds_load_b128 v[0:3], v0
.LBB234_49:                             ;   Parent Loop BB234_3 Depth=1
                                        ;     Parent Loop BB234_42 Depth=2
                                        ;       Parent Loop BB234_45 Depth=3
                                        ;         Parent Loop BB234_48 Depth=4
                                        ; =>        This Inner Loop Header: Depth=5
	scratch_load_b128 v[20:23], off, s39 offset:-8
	s_wait_alu 0xfffe
	v_mov_b32_e32 v5, s40
	s_add_co_i32 s41, s41, -1
	s_add_co_i32 s40, s40, -16
	ds_load_b128 v[24:27], v5
	s_wait_dscnt 0x0
	v_mul_f64_e32 v[5:6], v[2:3], v[26:27]
	v_mul_f64_e32 v[26:27], v[0:1], v[26:27]
	s_delay_alu instid0(VALU_DEP_2) | instskip(NEXT) | instid1(VALU_DEP_2)
	v_fma_f64 v[5:6], v[0:1], v[24:25], -v[5:6]
	v_fma_f64 v[24:25], v[2:3], v[24:25], v[26:27]
	s_wait_loadcnt 0x0
	s_delay_alu instid0(VALU_DEP_2) | instskip(NEXT) | instid1(VALU_DEP_2)
	v_add_f64_e64 v[20:21], v[20:21], -v[5:6]
	v_add_f64_e64 v[22:23], v[22:23], -v[24:25]
	scratch_store_b128 off, v[20:23], s39 offset:-8
	s_add_co_i32 s39, s39, 16
	s_wait_alu 0xfffe
	s_cmp_eq_u32 s41, 0
	s_cbranch_scc0 .LBB234_49
; %bb.50:                               ;   in Loop: Header=BB234_48 Depth=4
	s_add_co_i32 s38, s38, -1
	s_addk_co_i32 s37, 0xfe00
	s_wait_alu 0xfffe
	s_cmp_le_i32 s38, s3
	s_cbranch_scc0 .LBB234_48
.LBB234_51:                             ;   in Loop: Header=BB234_45 Depth=3
	s_mov_b32 s37, 0
	s_mov_b32 s38, s35
	s_branch .LBB234_53
.LBB234_52:                             ;   in Loop: Header=BB234_53 Depth=4
	s_wait_alu 0xfffe
	s_mul_i32 s40, s39, 0x210
	s_add_co_i32 s38, s38, -16
	s_wait_alu 0xfffe
	v_mov_b32_e32 v5, s40
	s_lshl_b32 s40, s37, 4
	s_add_co_i32 s37, s37, 1
	s_wait_alu 0xfffe
	s_cmp_eq_u32 s37, s23
	ds_load_b128 v[20:23], v5
	s_wait_loadcnt_dscnt 0x0
	v_mul_f64_e32 v[5:6], v[22:23], v[2:3]
	v_mul_f64_e32 v[2:3], v[20:21], v[2:3]
	s_delay_alu instid0(VALU_DEP_2) | instskip(NEXT) | instid1(VALU_DEP_2)
	v_fma_f64 v[20:21], v[20:21], v[0:1], -v[5:6]
	v_fma_f64 v[22:23], v[22:23], v[0:1], v[2:3]
	v_lshl_add_u32 v0, s39, 9, v14
	scratch_store_b128 off, v[20:23], s40
	ds_store_b128 v0, v[20:23]
	s_cbranch_scc1 .LBB234_44
.LBB234_53:                             ;   Parent Loop BB234_3 Depth=1
                                        ;     Parent Loop BB234_42 Depth=2
                                        ;       Parent Loop BB234_45 Depth=3
                                        ; =>      This Loop Header: Depth=4
                                        ;           Child Loop BB234_55 Depth 5
	s_wait_alu 0xfffe
	s_cmp_lg_u32 s37, 0
	s_cbranch_scc0 .LBB234_57
; %bb.54:                               ;   in Loop: Header=BB234_53 Depth=4
	s_lshl_b32 s40, s37, 4
	s_sub_co_i32 s39, s3, s37
	scratch_load_b128 v[0:3], off, s40
	s_mov_b32 s41, s30
	s_mov_b32 s42, s38
	s_mov_b32 s43, s37
.LBB234_55:                             ;   Parent Loop BB234_3 Depth=1
                                        ;     Parent Loop BB234_42 Depth=2
                                        ;       Parent Loop BB234_45 Depth=3
                                        ;         Parent Loop BB234_53 Depth=4
                                        ; =>        This Inner Loop Header: Depth=5
	scratch_load_b128 v[20:23], off, s41 offset:-8
	s_wait_alu 0xfffe
	v_mov_b32_e32 v5, s42
	s_add_co_i32 s43, s43, -1
	s_addk_co_i32 s42, 0xfe00
	s_add_co_i32 s41, s41, 16
	s_wait_alu 0xfffe
	s_cmp_eq_u32 s43, 0
	ds_load_b128 v[24:27], v5
	s_wait_loadcnt_dscnt 0x0
	v_mul_f64_e32 v[5:6], v[26:27], v[22:23]
	v_mul_f64_e32 v[22:23], v[24:25], v[22:23]
	s_delay_alu instid0(VALU_DEP_2) | instskip(NEXT) | instid1(VALU_DEP_2)
	v_fma_f64 v[5:6], v[24:25], v[20:21], -v[5:6]
	v_fma_f64 v[20:21], v[26:27], v[20:21], v[22:23]
	s_delay_alu instid0(VALU_DEP_2) | instskip(NEXT) | instid1(VALU_DEP_2)
	v_add_f64_e64 v[0:1], v[0:1], -v[5:6]
	v_add_f64_e64 v[2:3], v[2:3], -v[20:21]
	scratch_store_b128 off, v[0:3], s40
	s_cbranch_scc0 .LBB234_55
; %bb.56:                               ;   in Loop: Header=BB234_53 Depth=4
	s_branch .LBB234_52
.LBB234_57:                             ;   in Loop: Header=BB234_53 Depth=4
                                        ; implicit-def: $vgpr0_vgpr1
                                        ; implicit-def: $sgpr39
	s_cbranch_execz .LBB234_52
; %bb.58:                               ;   in Loop: Header=BB234_53 Depth=4
	scratch_load_b128 v[0:3], off, off
	s_mov_b32 s39, s3
	s_branch .LBB234_52
.LBB234_59:                             ;   in Loop: Header=BB234_3 Depth=1
	s_wait_storecnt 0x0
	; wave barrier
	s_wait_loadcnt_dscnt 0x0
	global_inv scope:SCOPE_SE
	s_and_saveexec_b32 s3, s29
	s_cbranch_execz .LBB234_2
; %bb.60:                               ;   in Loop: Header=BB234_3 Depth=1
	v_add_co_u32 v0, vcc_lo, v10, s10
	s_wait_alu 0xfffd
	v_add_co_ci_u32_e64 v1, null, s11, v11, vcc_lo
	v_mov_b32_e32 v2, v14
	s_delay_alu instid0(VALU_DEP_3) | instskip(SKIP_1) | instid1(VALU_DEP_3)
	v_add_co_u32 v0, vcc_lo, v0, s16
	s_wait_alu 0xfffd
	v_add_co_ci_u32_e64 v1, null, s17, v1, vcc_lo
	s_mov_b32 s18, s25
	v_add_co_u32 v0, vcc_lo, v0, v8
	s_wait_alu 0xfffd
	v_add_co_ci_u32_e64 v1, null, v1, v9, vcc_lo
.LBB234_61:                             ;   Parent Loop BB234_3 Depth=1
                                        ; =>  This Inner Loop Header: Depth=2
	ds_load_2addr_b64 v[3:6], v2 offset1:1
	v_add_nc_u32_e32 v2, 0x200, v2
	s_add_co_i32 s18, s18, -1
	s_delay_alu instid0(SALU_CYCLE_1)
	s_cmp_lg_u32 s18, 0
	s_wait_dscnt 0x0
	flat_store_b128 v[0:1], v[3:6]
	v_add_co_u32 v0, vcc_lo, v0, 16
	s_wait_alu 0xfffd
	v_add_co_ci_u32_e64 v1, null, 0, v1, vcc_lo
	s_cbranch_scc1 .LBB234_61
	s_branch .LBB234_2
.LBB234_62:
	s_endpgm
	.section	.rodata,"a",@progbits
	.p2align	6, 0x0
	.amdhsa_kernel _ZL38rocblas_trsm_small_left_device_sharedBILi32ELi32ELb0E19rocblas_complex_numIdES1_PKPKS1_PKPS1_Ev13rocblas_fill_18rocblas_operation_17rocblas_diagonal_iiT3_T4_lilT5_lili
		.amdhsa_group_segment_fixed_size 32768
		.amdhsa_private_segment_fixed_size 528
		.amdhsa_kernarg_size 368
		.amdhsa_user_sgpr_count 2
		.amdhsa_user_sgpr_dispatch_ptr 0
		.amdhsa_user_sgpr_queue_ptr 0
		.amdhsa_user_sgpr_kernarg_segment_ptr 1
		.amdhsa_user_sgpr_dispatch_id 0
		.amdhsa_user_sgpr_private_segment_size 0
		.amdhsa_wavefront_size32 1
		.amdhsa_uses_dynamic_stack 0
		.amdhsa_enable_private_segment 1
		.amdhsa_system_sgpr_workgroup_id_x 1
		.amdhsa_system_sgpr_workgroup_id_y 0
		.amdhsa_system_sgpr_workgroup_id_z 1
		.amdhsa_system_sgpr_workgroup_info 0
		.amdhsa_system_vgpr_workitem_id 0
		.amdhsa_next_free_vgpr 241
		.amdhsa_next_free_sgpr 45
		.amdhsa_reserve_vcc 1
		.amdhsa_float_round_mode_32 0
		.amdhsa_float_round_mode_16_64 0
		.amdhsa_float_denorm_mode_32 3
		.amdhsa_float_denorm_mode_16_64 3
		.amdhsa_fp16_overflow 0
		.amdhsa_workgroup_processor_mode 1
		.amdhsa_memory_ordered 1
		.amdhsa_forward_progress 1
		.amdhsa_inst_pref_size 24
		.amdhsa_round_robin_scheduling 0
		.amdhsa_exception_fp_ieee_invalid_op 0
		.amdhsa_exception_fp_denorm_src 0
		.amdhsa_exception_fp_ieee_div_zero 0
		.amdhsa_exception_fp_ieee_overflow 0
		.amdhsa_exception_fp_ieee_underflow 0
		.amdhsa_exception_fp_ieee_inexact 0
		.amdhsa_exception_int_div_zero 0
	.end_amdhsa_kernel
	.section	.text._ZL38rocblas_trsm_small_left_device_sharedBILi32ELi32ELb0E19rocblas_complex_numIdES1_PKPKS1_PKPS1_Ev13rocblas_fill_18rocblas_operation_17rocblas_diagonal_iiT3_T4_lilT5_lili,"axG",@progbits,_ZL38rocblas_trsm_small_left_device_sharedBILi32ELi32ELb0E19rocblas_complex_numIdES1_PKPKS1_PKPS1_Ev13rocblas_fill_18rocblas_operation_17rocblas_diagonal_iiT3_T4_lilT5_lili,comdat
.Lfunc_end234:
	.size	_ZL38rocblas_trsm_small_left_device_sharedBILi32ELi32ELb0E19rocblas_complex_numIdES1_PKPKS1_PKPS1_Ev13rocblas_fill_18rocblas_operation_17rocblas_diagonal_iiT3_T4_lilT5_lili, .Lfunc_end234-_ZL38rocblas_trsm_small_left_device_sharedBILi32ELi32ELb0E19rocblas_complex_numIdES1_PKPKS1_PKPS1_Ev13rocblas_fill_18rocblas_operation_17rocblas_diagonal_iiT3_T4_lilT5_lili
                                        ; -- End function
	.set _ZL38rocblas_trsm_small_left_device_sharedBILi32ELi32ELb0E19rocblas_complex_numIdES1_PKPKS1_PKPS1_Ev13rocblas_fill_18rocblas_operation_17rocblas_diagonal_iiT3_T4_lilT5_lili.num_vgpr, 28
	.set _ZL38rocblas_trsm_small_left_device_sharedBILi32ELi32ELb0E19rocblas_complex_numIdES1_PKPKS1_PKPS1_Ev13rocblas_fill_18rocblas_operation_17rocblas_diagonal_iiT3_T4_lilT5_lili.num_agpr, 0
	.set _ZL38rocblas_trsm_small_left_device_sharedBILi32ELi32ELb0E19rocblas_complex_numIdES1_PKPKS1_PKPS1_Ev13rocblas_fill_18rocblas_operation_17rocblas_diagonal_iiT3_T4_lilT5_lili.numbered_sgpr, 45
	.set _ZL38rocblas_trsm_small_left_device_sharedBILi32ELi32ELb0E19rocblas_complex_numIdES1_PKPKS1_PKPS1_Ev13rocblas_fill_18rocblas_operation_17rocblas_diagonal_iiT3_T4_lilT5_lili.num_named_barrier, 0
	.set _ZL38rocblas_trsm_small_left_device_sharedBILi32ELi32ELb0E19rocblas_complex_numIdES1_PKPKS1_PKPS1_Ev13rocblas_fill_18rocblas_operation_17rocblas_diagonal_iiT3_T4_lilT5_lili.private_seg_size, 528
	.set _ZL38rocblas_trsm_small_left_device_sharedBILi32ELi32ELb0E19rocblas_complex_numIdES1_PKPKS1_PKPS1_Ev13rocblas_fill_18rocblas_operation_17rocblas_diagonal_iiT3_T4_lilT5_lili.uses_vcc, 1
	.set _ZL38rocblas_trsm_small_left_device_sharedBILi32ELi32ELb0E19rocblas_complex_numIdES1_PKPKS1_PKPS1_Ev13rocblas_fill_18rocblas_operation_17rocblas_diagonal_iiT3_T4_lilT5_lili.uses_flat_scratch, 0
	.set _ZL38rocblas_trsm_small_left_device_sharedBILi32ELi32ELb0E19rocblas_complex_numIdES1_PKPKS1_PKPS1_Ev13rocblas_fill_18rocblas_operation_17rocblas_diagonal_iiT3_T4_lilT5_lili.has_dyn_sized_stack, 0
	.set _ZL38rocblas_trsm_small_left_device_sharedBILi32ELi32ELb0E19rocblas_complex_numIdES1_PKPKS1_PKPS1_Ev13rocblas_fill_18rocblas_operation_17rocblas_diagonal_iiT3_T4_lilT5_lili.has_recursion, 0
	.set _ZL38rocblas_trsm_small_left_device_sharedBILi32ELi32ELb0E19rocblas_complex_numIdES1_PKPKS1_PKPS1_Ev13rocblas_fill_18rocblas_operation_17rocblas_diagonal_iiT3_T4_lilT5_lili.has_indirect_call, 0
	.section	.AMDGPU.csdata,"",@progbits
; Kernel info:
; codeLenInByte = 3056
; TotalNumSgprs: 47
; NumVgprs: 28
; ScratchSize: 528
; MemoryBound: 0
; FloatMode: 240
; IeeeMode: 1
; LDSByteSize: 32768 bytes/workgroup (compile time only)
; SGPRBlocks: 0
; VGPRBlocks: 30
; NumSGPRsForWavesPerEU: 47
; NumVGPRsForWavesPerEU: 241
; Occupancy: 1
; WaveLimiterHint : 0
; COMPUTE_PGM_RSRC2:SCRATCH_EN: 1
; COMPUTE_PGM_RSRC2:USER_SGPR: 2
; COMPUTE_PGM_RSRC2:TRAP_HANDLER: 0
; COMPUTE_PGM_RSRC2:TGID_X_EN: 1
; COMPUTE_PGM_RSRC2:TGID_Y_EN: 0
; COMPUTE_PGM_RSRC2:TGID_Z_EN: 1
; COMPUTE_PGM_RSRC2:TIDIG_COMP_CNT: 0
	.section	.text._ZL30rocblas_trsm_small_left_deviceILi32ELi32ELb0E19rocblas_complex_numIdES1_PKPKS1_PKPS1_Ev13rocblas_fill_18rocblas_operation_17rocblas_diagonal_iiT3_T4_lilT5_lili,"axG",@progbits,_ZL30rocblas_trsm_small_left_deviceILi32ELi32ELb0E19rocblas_complex_numIdES1_PKPKS1_PKPS1_Ev13rocblas_fill_18rocblas_operation_17rocblas_diagonal_iiT3_T4_lilT5_lili,comdat
	.globl	_ZL30rocblas_trsm_small_left_deviceILi32ELi32ELb0E19rocblas_complex_numIdES1_PKPKS1_PKPS1_Ev13rocblas_fill_18rocblas_operation_17rocblas_diagonal_iiT3_T4_lilT5_lili ; -- Begin function _ZL30rocblas_trsm_small_left_deviceILi32ELi32ELb0E19rocblas_complex_numIdES1_PKPKS1_PKPS1_Ev13rocblas_fill_18rocblas_operation_17rocblas_diagonal_iiT3_T4_lilT5_lili
	.p2align	8
	.type	_ZL30rocblas_trsm_small_left_deviceILi32ELi32ELb0E19rocblas_complex_numIdES1_PKPKS1_PKPS1_Ev13rocblas_fill_18rocblas_operation_17rocblas_diagonal_iiT3_T4_lilT5_lili,@function
_ZL30rocblas_trsm_small_left_deviceILi32ELi32ELb0E19rocblas_complex_numIdES1_PKPKS1_PKPS1_Ev13rocblas_fill_18rocblas_operation_17rocblas_diagonal_iiT3_T4_lilT5_lili: ; @_ZL30rocblas_trsm_small_left_deviceILi32ELi32ELb0E19rocblas_complex_numIdES1_PKPKS1_PKPS1_Ev13rocblas_fill_18rocblas_operation_17rocblas_diagonal_iiT3_T4_lilT5_lili
; %bb.0:
	s_load_b32 s3, s[0:1], 0x68
	s_lshr_b32 s20, ttmp7, 16
	s_wait_kmcnt 0x0
	s_cmp_ge_u32 s20, s3
	s_cbranch_scc1 .LBB235_59
; %bb.1:
	s_clause 0x4
	s_load_b32 s22, s[0:1], 0x38
	s_load_b128 s[16:19], s[0:1], 0x4
	s_load_b32 s2, s[0:1], 0x70
	s_load_b128 s[12:15], s[0:1], 0x48
	s_load_b32 s21, s[0:1], 0x58
	v_dual_mov_b32 v13, 0 :: v_dual_lshlrev_b32 v12, 4, v0
	v_lshlrev_b32_e32 v1, 9, v0
	s_load_b256 s[4:11], s[0:1], 0x18
	s_mov_b32 s37, 0
                                        ; implicit-def: $sgpr38
                                        ; implicit-def: $sgpr39
	s_delay_alu instid0(VALU_DEP_1)
	v_add_nc_u32_e32 v14, v12, v1
	s_wait_kmcnt 0x0
	s_ashr_i32 s23, s22, 31
	s_cmp_eq_u32 s16, 0x71
	s_cselect_b32 s0, -1, 0
	s_lshl_b32 s1, ttmp9, 5
	s_min_i32 s30, s18, 32
	v_or_b32_e32 v1, s1, v0
	s_add_co_i32 s2, s2, -1
	s_add_co_i32 s31, s30, -1
	s_sub_co_i32 s18, s19, s1
	s_cmp_ge_u32 ttmp9, s2
	v_mad_co_i64_i32 v[1:2], null, s21, v1, 0
	s_cselect_b32 s2, s18, 32
	s_cmp_lg_u32 s17, 0x84
	v_cmp_gt_i32_e64 s1, s30, v0
	s_cselect_b32 s33, -1, 0
	s_cmp_lg_u32 s16, 0x6f
	v_cmp_gt_i32_e64 s2, s2, v0
	v_lshlrev_b64_e32 v[8:9], 4, v[1:2]
	s_cselect_b32 s34, -1, 0
	s_lshl_b64 s[16:17], s[10:11], 4
	s_lshl_b64 s[14:15], s[14:15], 4
	v_add_co_u32 v0, s16, s16, v12
	s_delay_alu instid0(VALU_DEP_2) | instskip(SKIP_2) | instid1(VALU_DEP_3)
	v_add_co_u32 v1, vcc_lo, v8, s14
	s_wait_alu 0xf1ff
	v_add_co_ci_u32_e64 v15, null, s17, 0, s16
	v_or_b32_e32 v16, 8, v0
	v_add_co_ci_u32_e64 v17, null, s15, v9, vcc_lo
	v_or_b32_e32 v18, 8, v1
	s_lshl_b32 s36, s30, 9
	s_or_b32 s35, 0, 8
	s_lshl_b64 s[10:11], s[22:23], 4
	s_addk_co_i32 s36, 0xfe00
	s_mov_b32 s17, 0
	s_branch .LBB235_4
.LBB235_2:                              ;   in Loop: Header=BB235_4 Depth=1
	s_add_co_i32 s20, s20, 0x10000
	s_wait_alu 0xfffe
	s_cmp_ge_u32 s20, s3
	s_cselect_b32 s16, -1, 0
	s_and_not1_b32 s39, s39, exec_lo
	s_wait_alu 0xfffe
	s_or_not1_b32 s16, s16, exec_lo
.LBB235_3:                              ;   in Loop: Header=BB235_4 Depth=1
	s_wait_alu 0xfffe
	s_or_b32 exec_lo, exec_lo, s21
	s_delay_alu instid0(SALU_CYCLE_1)
	s_and_b32 s16, exec_lo, s16
	s_wait_alu 0xfffe
	s_or_b32 s37, s16, s37
	s_and_not1_b32 s16, s38, exec_lo
	s_and_b32 s18, s39, exec_lo
	s_wait_alu 0xfffe
	s_or_b32 s38, s16, s18
	s_and_not1_b32 exec_lo, exec_lo, s37
	s_cbranch_execz .LBB235_58
.LBB235_4:                              ; =>This Loop Header: Depth=1
                                        ;     Child Loop BB235_6 Depth 2
                                        ;     Child Loop BB235_19 Depth 2
                                        ;       Child Loop BB235_22 Depth 3
                                        ;         Child Loop BB235_23 Depth 4
                                        ;         Child Loop BB235_26 Depth 4
                                        ;           Child Loop BB235_27 Depth 5
                                        ;         Child Loop BB235_31 Depth 4
                                        ;           Child Loop BB235_33 Depth 5
                                        ;     Child Loop BB235_41 Depth 2
                                        ;       Child Loop BB235_44 Depth 3
                                        ;         Child Loop BB235_45 Depth 4
                                        ;         Child Loop BB235_47 Depth 4
                                        ;           Child Loop BB235_48 Depth 5
                                        ;         Child Loop BB235_52 Depth 4
                                        ;           Child Loop BB235_54 Depth 5
	s_wait_alu 0xfffe
	s_mov_b32 s21, s17
	s_wait_alu 0xfffe
	s_lshl_b64 s[18:19], s[20:21], 3
	s_delay_alu instid0(SALU_CYCLE_1)
	s_add_nc_u64 s[22:23], s[12:13], s[18:19]
	global_load_b64 v[10:11], v13, s[22:23]
	s_and_saveexec_b32 s16, s1
	s_cbranch_execz .LBB235_15
; %bb.5:                                ;   in Loop: Header=BB235_4 Depth=1
	s_add_nc_u64 s[18:19], s[8:9], s[18:19]
	v_mov_b32_e32 v2, v12
	global_load_b64 v[0:1], v13, s[18:19]
	s_mov_b32 s18, s30
	s_wait_loadcnt 0x0
	v_add_co_u32 v0, vcc_lo, v0, v16
	s_wait_alu 0xfffd
	v_add_co_ci_u32_e64 v1, null, v1, v15, vcc_lo
.LBB235_6:                              ;   Parent Loop BB235_4 Depth=1
                                        ; =>  This Inner Loop Header: Depth=2
	flat_load_b128 v[3:6], v[0:1] offset:-8
	v_add_co_u32 v0, vcc_lo, v0, s10
	s_wait_alu 0xfffd
	v_add_co_ci_u32_e64 v1, null, s11, v1, vcc_lo
	s_add_co_i32 s18, s18, -1
	s_delay_alu instid0(SALU_CYCLE_1) | instskip(SKIP_2) | instid1(VALU_DEP_1)
	s_cmp_eq_u32 s18, 0
	s_wait_loadcnt_dscnt 0x0
	v_xor_b32_e32 v7, 0x80000000, v6
	v_cndmask_b32_e64 v6, v6, v7, s0
	ds_store_b128 v2, v[3:6]
	v_add_nc_u32_e32 v2, 0x200, v2
	s_cbranch_scc0 .LBB235_6
; %bb.7:                                ;   in Loop: Header=BB235_4 Depth=1
	s_and_b32 vcc_lo, exec_lo, s33
	s_wait_alu 0xfffe
	s_cbranch_vccz .LBB235_13
; %bb.8:                                ;   in Loop: Header=BB235_4 Depth=1
	ds_load_b128 v[0:3], v14
                                        ; implicit-def: $vgpr6_vgpr7
	s_wait_dscnt 0x0
	v_cmp_ngt_f64_e64 s18, |v[0:1]|, |v[2:3]|
	s_and_saveexec_b32 s19, s18
	s_delay_alu instid0(SALU_CYCLE_1)
	s_xor_b32 s18, exec_lo, s19
	s_cbranch_execz .LBB235_10
; %bb.9:                                ;   in Loop: Header=BB235_4 Depth=1
	v_div_scale_f64 v[4:5], null, v[2:3], v[2:3], v[0:1]
	v_div_scale_f64 v[21:22], vcc_lo, v[0:1], v[2:3], v[0:1]
	s_delay_alu instid0(VALU_DEP_2) | instskip(NEXT) | instid1(TRANS32_DEP_1)
	v_rcp_f64_e32 v[6:7], v[4:5]
	v_fma_f64 v[19:20], -v[4:5], v[6:7], 1.0
	s_delay_alu instid0(VALU_DEP_1) | instskip(NEXT) | instid1(VALU_DEP_1)
	v_fma_f64 v[6:7], v[6:7], v[19:20], v[6:7]
	v_fma_f64 v[19:20], -v[4:5], v[6:7], 1.0
	s_delay_alu instid0(VALU_DEP_1) | instskip(NEXT) | instid1(VALU_DEP_1)
	v_fma_f64 v[6:7], v[6:7], v[19:20], v[6:7]
	v_mul_f64_e32 v[19:20], v[21:22], v[6:7]
	s_delay_alu instid0(VALU_DEP_1) | instskip(SKIP_1) | instid1(VALU_DEP_1)
	v_fma_f64 v[4:5], -v[4:5], v[19:20], v[21:22]
	s_wait_alu 0xfffd
	v_div_fmas_f64 v[4:5], v[4:5], v[6:7], v[19:20]
	s_delay_alu instid0(VALU_DEP_1) | instskip(NEXT) | instid1(VALU_DEP_1)
	v_div_fixup_f64 v[4:5], v[4:5], v[2:3], v[0:1]
	v_fma_f64 v[0:1], v[0:1], v[4:5], v[2:3]
	s_delay_alu instid0(VALU_DEP_1) | instskip(SKIP_1) | instid1(VALU_DEP_2)
	v_div_scale_f64 v[2:3], null, v[0:1], v[0:1], 1.0
	v_div_scale_f64 v[21:22], vcc_lo, 1.0, v[0:1], 1.0
	v_rcp_f64_e32 v[6:7], v[2:3]
	s_delay_alu instid0(TRANS32_DEP_1) | instskip(NEXT) | instid1(VALU_DEP_1)
	v_fma_f64 v[19:20], -v[2:3], v[6:7], 1.0
	v_fma_f64 v[6:7], v[6:7], v[19:20], v[6:7]
	s_delay_alu instid0(VALU_DEP_1) | instskip(NEXT) | instid1(VALU_DEP_1)
	v_fma_f64 v[19:20], -v[2:3], v[6:7], 1.0
	v_fma_f64 v[6:7], v[6:7], v[19:20], v[6:7]
	s_delay_alu instid0(VALU_DEP_1) | instskip(NEXT) | instid1(VALU_DEP_1)
	v_mul_f64_e32 v[19:20], v[21:22], v[6:7]
	v_fma_f64 v[2:3], -v[2:3], v[19:20], v[21:22]
	s_wait_alu 0xfffd
	s_delay_alu instid0(VALU_DEP_1) | instskip(SKIP_1) | instid1(VALU_DEP_2)
	v_div_fmas_f64 v[2:3], v[2:3], v[6:7], v[19:20]
	v_add_f64_e32 v[6:7], 0, v[4:5]
	v_div_fixup_f64 v[0:1], v[2:3], v[0:1], 1.0
	v_fma_f64 v[2:3], v[4:5], 0, -1.0
	s_delay_alu instid0(VALU_DEP_2) | instskip(NEXT) | instid1(VALU_DEP_2)
	v_mul_f64_e32 v[4:5], v[6:7], v[0:1]
	v_mul_f64_e32 v[6:7], v[2:3], v[0:1]
                                        ; implicit-def: $vgpr0_vgpr1
.LBB235_10:                             ;   in Loop: Header=BB235_4 Depth=1
	s_and_not1_saveexec_b32 s18, s18
	s_cbranch_execz .LBB235_12
; %bb.11:                               ;   in Loop: Header=BB235_4 Depth=1
	v_div_scale_f64 v[4:5], null, v[0:1], v[0:1], v[2:3]
	v_div_scale_f64 v[21:22], vcc_lo, v[2:3], v[0:1], v[2:3]
	s_delay_alu instid0(VALU_DEP_2) | instskip(NEXT) | instid1(TRANS32_DEP_1)
	v_rcp_f64_e32 v[6:7], v[4:5]
	v_fma_f64 v[19:20], -v[4:5], v[6:7], 1.0
	s_delay_alu instid0(VALU_DEP_1) | instskip(NEXT) | instid1(VALU_DEP_1)
	v_fma_f64 v[6:7], v[6:7], v[19:20], v[6:7]
	v_fma_f64 v[19:20], -v[4:5], v[6:7], 1.0
	s_delay_alu instid0(VALU_DEP_1) | instskip(NEXT) | instid1(VALU_DEP_1)
	v_fma_f64 v[6:7], v[6:7], v[19:20], v[6:7]
	v_mul_f64_e32 v[19:20], v[21:22], v[6:7]
	s_delay_alu instid0(VALU_DEP_1) | instskip(SKIP_1) | instid1(VALU_DEP_1)
	v_fma_f64 v[4:5], -v[4:5], v[19:20], v[21:22]
	s_wait_alu 0xfffd
	v_div_fmas_f64 v[4:5], v[4:5], v[6:7], v[19:20]
	s_delay_alu instid0(VALU_DEP_1) | instskip(NEXT) | instid1(VALU_DEP_1)
	v_div_fixup_f64 v[4:5], v[4:5], v[0:1], v[2:3]
	v_fma_f64 v[0:1], v[2:3], v[4:5], v[0:1]
	s_delay_alu instid0(VALU_DEP_1) | instskip(SKIP_1) | instid1(VALU_DEP_2)
	v_div_scale_f64 v[2:3], null, v[0:1], v[0:1], 1.0
	v_div_scale_f64 v[21:22], vcc_lo, 1.0, v[0:1], 1.0
	v_rcp_f64_e32 v[6:7], v[2:3]
	s_delay_alu instid0(TRANS32_DEP_1) | instskip(NEXT) | instid1(VALU_DEP_1)
	v_fma_f64 v[19:20], -v[2:3], v[6:7], 1.0
	v_fma_f64 v[6:7], v[6:7], v[19:20], v[6:7]
	s_delay_alu instid0(VALU_DEP_1) | instskip(NEXT) | instid1(VALU_DEP_1)
	v_fma_f64 v[19:20], -v[2:3], v[6:7], 1.0
	v_fma_f64 v[6:7], v[6:7], v[19:20], v[6:7]
	s_delay_alu instid0(VALU_DEP_1) | instskip(NEXT) | instid1(VALU_DEP_1)
	v_mul_f64_e32 v[19:20], v[21:22], v[6:7]
	v_fma_f64 v[2:3], -v[2:3], v[19:20], v[21:22]
	s_wait_alu 0xfffd
	s_delay_alu instid0(VALU_DEP_1) | instskip(SKIP_1) | instid1(VALU_DEP_2)
	v_div_fmas_f64 v[2:3], v[2:3], v[6:7], v[19:20]
	v_fma_f64 v[6:7], v[4:5], 0, 1.0
	v_div_fixup_f64 v[0:1], v[2:3], v[0:1], 1.0
	v_add_f64_e64 v[2:3], -v[4:5], 0
	s_delay_alu instid0(VALU_DEP_2) | instskip(NEXT) | instid1(VALU_DEP_2)
	v_mul_f64_e32 v[4:5], v[6:7], v[0:1]
	v_mul_f64_e32 v[6:7], v[2:3], v[0:1]
.LBB235_12:                             ;   in Loop: Header=BB235_4 Depth=1
	s_or_b32 exec_lo, exec_lo, s18
	s_branch .LBB235_14
.LBB235_13:                             ;   in Loop: Header=BB235_4 Depth=1
	v_mov_b32_e32 v6, 0
	v_dual_mov_b32 v7, 0 :: v_dual_mov_b32 v4, 0
	v_mov_b32_e32 v5, 0x3ff00000
.LBB235_14:                             ;   in Loop: Header=BB235_4 Depth=1
	ds_store_b128 v14, v[4:7]
.LBB235_15:                             ;   in Loop: Header=BB235_4 Depth=1
	s_wait_alu 0xfffe
	s_or_b32 exec_lo, exec_lo, s16
	s_mov_b32 s16, -1
	s_or_b32 s39, s39, exec_lo
	; wave barrier
	s_wait_loadcnt_dscnt 0x0
	global_inv scope:SCOPE_SE
	s_and_saveexec_b32 s21, s2
	s_cbranch_execz .LBB235_3
; %bb.16:                               ;   in Loop: Header=BB235_4 Depth=1
	v_add_co_u32 v0, vcc_lo, v10, s14
	s_wait_alu 0xfffd
	v_add_co_ci_u32_e64 v1, null, s15, v11, vcc_lo
	s_delay_alu instid0(VALU_DEP_2) | instskip(SKIP_1) | instid1(VALU_DEP_2)
	v_add_co_u32 v6, vcc_lo, v0, v8
	s_wait_alu 0xfffd
	v_add_co_ci_u32_e64 v7, null, v1, v9, vcc_lo
	s_and_not1_b32 vcc_lo, exec_lo, s34
	s_wait_alu 0xfffe
	s_cbranch_vccnz .LBB235_38
; %bb.17:                               ;   in Loop: Header=BB235_4 Depth=1
	v_add_co_u32 v19, vcc_lo, v10, v18
	s_wait_alu 0xfffd
	v_add_co_ci_u32_e64 v20, null, v11, v17, vcc_lo
	s_mov_b32 s22, 0
	s_mov_b32 s18, 0
	s_branch .LBB235_19
.LBB235_18:                             ;   in Loop: Header=BB235_19 Depth=2
	s_cmp_lt_i32 s18, s30
	s_cselect_b32 s16, -1, 0
	s_add_co_i32 s19, s22, 1
	s_cmp_lt_u32 s22, 2
	s_cselect_b32 s22, -1, 0
	s_wait_alu 0xfffe
	s_and_b32 s16, s16, s22
	s_mov_b32 s22, s19
	s_wait_alu 0xfffe
	s_and_b32 vcc_lo, exec_lo, s16
	s_wait_alu 0xfffe
	s_cbranch_vccz .LBB235_37
.LBB235_19:                             ;   Parent Loop BB235_4 Depth=1
                                        ; =>  This Loop Header: Depth=2
                                        ;       Child Loop BB235_22 Depth 3
                                        ;         Child Loop BB235_23 Depth 4
                                        ;         Child Loop BB235_26 Depth 4
                                        ;           Child Loop BB235_27 Depth 5
                                        ;         Child Loop BB235_31 Depth 4
                                        ;           Child Loop BB235_33 Depth 5
	s_mov_b32 s23, s17
	s_getpc_b64 s[24:25]
	s_wait_alu 0xfffe
	s_sext_i32_i16 s25, s25
	s_add_co_u32 s24, s24, __const._ZL30rocblas_trsm_small_left_deviceILi32ELi32ELb0E19rocblas_complex_numIdES1_PKPKS1_PKPS1_Ev13rocblas_fill_18rocblas_operation_17rocblas_diagonal_iiT3_T4_lilT5_lili.step_sizes@rel32@lo+12
	s_wait_alu 0xfffe
	s_add_co_ci_u32 s25, s25, __const._ZL30rocblas_trsm_small_left_deviceILi32ELi32ELb0E19rocblas_complex_numIdES1_PKPKS1_PKPS1_Ev13rocblas_fill_18rocblas_operation_17rocblas_diagonal_iiT3_T4_lilT5_lili.step_sizes@rel32@hi+24
	s_lshl_b64 s[26:27], s[22:23], 2
	s_wait_alu 0xfffe
	s_add_nc_u64 s[24:25], s[24:25], s[26:27]
	s_load_b32 s24, s[24:25], 0x0
	s_wait_kmcnt 0x0
	s_add_co_i32 s23, s24, -1
	s_wait_alu 0xfffe
	s_add_co_i32 s16, s23, s18
	s_wait_alu 0xfffe
	s_cmp_ge_i32 s16, s30
	s_cbranch_scc1 .LBB235_18
; %bb.20:                               ;   in Loop: Header=BB235_19 Depth=2
	s_ashr_i32 s19, s18, 31
	s_ashr_i32 s25, s24, 31
	s_lshl_b64 s[26:27], s[18:19], 4
	s_max_i32 s40, s24, 1
	s_wait_alu 0xfffe
	v_add_co_u32 v4, vcc_lo, v19, s26
	s_wait_alu 0xfffd
	v_add_co_ci_u32_e64 v5, null, s27, v20, vcc_lo
	s_lshl_b64 s[26:27], s[24:25], 4
	s_lshl_b32 s19, s18, 9
	s_lshl_b32 s25, s24, 9
	s_mul_i32 s41, s18, 0x210
	s_mul_i32 s42, s24, 0x210
	s_branch .LBB235_22
.LBB235_21:                             ;   in Loop: Header=BB235_22 Depth=3
	v_add_co_u32 v4, vcc_lo, v4, s26
	s_add_co_i32 s18, s18, s24
	s_wait_alu 0xfffd
	v_add_co_ci_u32_e64 v5, null, s27, v5, vcc_lo
	s_add_co_i32 s16, s23, s18
	s_add_co_i32 s19, s19, s25
	;; [unrolled: 1-line block ×3, first 2 shown]
	s_wait_alu 0xfffe
	s_cmp_ge_i32 s16, s30
	s_cbranch_scc1 .LBB235_18
.LBB235_22:                             ;   Parent Loop BB235_4 Depth=1
                                        ;     Parent Loop BB235_19 Depth=2
                                        ; =>    This Loop Header: Depth=3
                                        ;         Child Loop BB235_23 Depth 4
                                        ;         Child Loop BB235_26 Depth 4
                                        ;           Child Loop BB235_27 Depth 5
                                        ;         Child Loop BB235_31 Depth 4
                                        ;           Child Loop BB235_33 Depth 5
	v_dual_mov_b32 v0, v4 :: v_dual_mov_b32 v1, v5
	s_mov_b32 s16, 8
	s_mov_b32 s28, s40
.LBB235_23:                             ;   Parent Loop BB235_4 Depth=1
                                        ;     Parent Loop BB235_19 Depth=2
                                        ;       Parent Loop BB235_22 Depth=3
                                        ; =>      This Inner Loop Header: Depth=4
	flat_load_b128 v[21:24], v[0:1] offset:-8
	v_add_co_u32 v0, vcc_lo, v0, 16
	s_wait_alu 0xfffd
	v_add_co_ci_u32_e64 v1, null, 0, v1, vcc_lo
	s_wait_alu 0xfffe
	s_add_co_i32 s28, s28, -1
	s_mov_b32 s29, s16
	s_add_co_i32 s16, s16, 16
	s_wait_alu 0xfffe
	s_cmp_eq_u32 s28, 0
	s_wait_loadcnt_dscnt 0x0
	v_mul_f64_e32 v[2:3], s[6:7], v[23:24]
	v_mul_f64_e32 v[25:26], s[4:5], v[23:24]
	s_delay_alu instid0(VALU_DEP_2) | instskip(NEXT) | instid1(VALU_DEP_2)
	v_fma_f64 v[23:24], s[4:5], v[21:22], -v[2:3]
	v_fma_f64 v[25:26], s[6:7], v[21:22], v[25:26]
	scratch_store_b128 off, v[23:26], s29 offset:-8
	s_cbranch_scc0 .LBB235_23
; %bb.24:                               ;   in Loop: Header=BB235_22 Depth=3
	s_cmp_lt_i32 s18, 1
	s_cbranch_scc1 .LBB235_29
; %bb.25:                               ;   in Loop: Header=BB235_22 Depth=3
	s_mov_b32 s16, 0
	s_mov_b32 s28, s19
.LBB235_26:                             ;   Parent Loop BB235_4 Depth=1
                                        ;     Parent Loop BB235_19 Depth=2
                                        ;       Parent Loop BB235_22 Depth=3
                                        ; =>      This Loop Header: Depth=4
                                        ;           Child Loop BB235_27 Depth 5
	s_wait_alu 0xfffe
	s_lshl_b64 s[44:45], s[16:17], 4
	s_mov_b32 s29, s35
	s_wait_alu 0xfffe
	v_add_co_u32 v0, vcc_lo, v6, s44
	s_wait_alu 0xfffd
	v_add_co_ci_u32_e64 v1, null, s45, v7, vcc_lo
	s_mov_b32 s43, s28
	s_mov_b32 s44, s40
	flat_load_b128 v[0:3], v[0:1]
.LBB235_27:                             ;   Parent Loop BB235_4 Depth=1
                                        ;     Parent Loop BB235_19 Depth=2
                                        ;       Parent Loop BB235_22 Depth=3
                                        ;         Parent Loop BB235_26 Depth=4
                                        ; =>        This Inner Loop Header: Depth=5
	scratch_load_b128 v[21:24], off, s29 offset:-8
	s_wait_alu 0xfffe
	v_mov_b32_e32 v25, s43
	s_add_co_i32 s44, s44, -1
	s_addk_co_i32 s43, 0x200
	ds_load_b128 v[25:28], v25
	s_wait_loadcnt_dscnt 0x100
	v_mul_f64_e32 v[29:30], v[2:3], v[27:28]
	v_mul_f64_e32 v[27:28], v[0:1], v[27:28]
	s_delay_alu instid0(VALU_DEP_2) | instskip(NEXT) | instid1(VALU_DEP_2)
	v_fma_f64 v[29:30], v[0:1], v[25:26], -v[29:30]
	v_fma_f64 v[25:26], v[2:3], v[25:26], v[27:28]
	s_wait_loadcnt 0x0
	s_delay_alu instid0(VALU_DEP_2) | instskip(NEXT) | instid1(VALU_DEP_2)
	v_add_f64_e64 v[21:22], v[21:22], -v[29:30]
	v_add_f64_e64 v[23:24], v[23:24], -v[25:26]
	scratch_store_b128 off, v[21:24], s29 offset:-8
	s_add_co_i32 s29, s29, 16
	s_wait_alu 0xfffe
	s_cmp_eq_u32 s44, 0
	s_cbranch_scc0 .LBB235_27
; %bb.28:                               ;   in Loop: Header=BB235_26 Depth=4
	s_add_co_i32 s16, s16, 1
	s_add_co_i32 s28, s28, 16
	s_wait_alu 0xfffe
	s_cmp_eq_u32 s16, s18
	s_cbranch_scc0 .LBB235_26
.LBB235_29:                             ;   in Loop: Header=BB235_22 Depth=3
	s_mov_b32 s16, 0
	s_mov_b32 s43, s41
	s_branch .LBB235_31
.LBB235_30:                             ;   in Loop: Header=BB235_31 Depth=4
	s_wait_alu 0xfffe
	s_mul_i32 s29, s28, 0x210
	s_lshl_b32 s44, s16, 4
	s_wait_alu 0xfffe
	v_mov_b32_e32 v21, s29
	s_ashr_i32 s29, s28, 31
	s_add_co_i32 s16, s16, 1
	s_wait_alu 0xfffe
	s_lshl_b64 s[28:29], s[28:29], 4
	s_addk_co_i32 s43, 0x200
	ds_load_b128 v[21:24], v21
	s_cmp_eq_u32 s16, s40
	s_wait_loadcnt_dscnt 0x0
	v_mul_f64_e32 v[25:26], v[23:24], v[2:3]
	v_mul_f64_e32 v[2:3], v[21:22], v[2:3]
	s_delay_alu instid0(VALU_DEP_2) | instskip(NEXT) | instid1(VALU_DEP_2)
	v_fma_f64 v[21:22], v[21:22], v[0:1], -v[25:26]
	v_fma_f64 v[23:24], v[23:24], v[0:1], v[2:3]
	s_wait_alu 0xfffe
	v_add_co_u32 v0, vcc_lo, v6, s28
	s_wait_alu 0xfffd
	v_add_co_ci_u32_e64 v1, null, s29, v7, vcc_lo
	scratch_store_b128 off, v[21:24], s44
	flat_store_b128 v[0:1], v[21:24]
	s_cbranch_scc1 .LBB235_21
.LBB235_31:                             ;   Parent Loop BB235_4 Depth=1
                                        ;     Parent Loop BB235_19 Depth=2
                                        ;       Parent Loop BB235_22 Depth=3
                                        ; =>      This Loop Header: Depth=4
                                        ;           Child Loop BB235_33 Depth 5
	s_wait_alu 0xfffe
	s_cmp_lg_u32 s16, 0
	s_cbranch_scc0 .LBB235_35
; %bb.32:                               ;   in Loop: Header=BB235_31 Depth=4
	s_lshl_b32 s29, s16, 4
	s_add_co_i32 s28, s16, s18
	scratch_load_b128 v[0:3], off, s29
	s_mov_b32 s44, s43
	s_mov_b32 s45, s35
	;; [unrolled: 1-line block ×3, first 2 shown]
.LBB235_33:                             ;   Parent Loop BB235_4 Depth=1
                                        ;     Parent Loop BB235_19 Depth=2
                                        ;       Parent Loop BB235_22 Depth=3
                                        ;         Parent Loop BB235_31 Depth=4
                                        ; =>        This Inner Loop Header: Depth=5
	scratch_load_b128 v[21:24], off, s45 offset:-8
	s_wait_alu 0xfffe
	v_mov_b32_e32 v25, s44
	s_add_co_i32 s46, s46, -1
	s_add_co_i32 s45, s45, 16
	s_add_co_i32 s44, s44, 16
	s_cmp_eq_u32 s46, 0
	ds_load_b128 v[25:28], v25
	s_wait_loadcnt_dscnt 0x0
	v_mul_f64_e32 v[29:30], v[27:28], v[23:24]
	v_mul_f64_e32 v[23:24], v[25:26], v[23:24]
	s_delay_alu instid0(VALU_DEP_2) | instskip(NEXT) | instid1(VALU_DEP_2)
	v_fma_f64 v[25:26], v[25:26], v[21:22], -v[29:30]
	v_fma_f64 v[21:22], v[27:28], v[21:22], v[23:24]
	s_delay_alu instid0(VALU_DEP_2) | instskip(NEXT) | instid1(VALU_DEP_2)
	v_add_f64_e64 v[0:1], v[0:1], -v[25:26]
	v_add_f64_e64 v[2:3], v[2:3], -v[21:22]
	scratch_store_b128 off, v[0:3], s29
	s_cbranch_scc0 .LBB235_33
; %bb.34:                               ;   in Loop: Header=BB235_31 Depth=4
	s_branch .LBB235_30
.LBB235_35:                             ;   in Loop: Header=BB235_31 Depth=4
                                        ; implicit-def: $vgpr0_vgpr1
                                        ; implicit-def: $sgpr28
	s_cbranch_execz .LBB235_30
; %bb.36:                               ;   in Loop: Header=BB235_31 Depth=4
	scratch_load_b128 v[0:3], off, off
	s_mov_b32 s28, s18
	s_branch .LBB235_30
.LBB235_37:                             ;   in Loop: Header=BB235_4 Depth=1
	s_mov_b32 s16, 0
.LBB235_38:                             ;   in Loop: Header=BB235_4 Depth=1
	s_wait_alu 0xfffe
	s_and_b32 vcc_lo, exec_lo, s16
	s_wait_alu 0xfffe
	s_cbranch_vccz .LBB235_2
; %bb.39:                               ;   in Loop: Header=BB235_4 Depth=1
	v_add_co_u32 v4, vcc_lo, v10, v18
	s_wait_alu 0xfffd
	v_add_co_ci_u32_e64 v5, null, v11, v17, vcc_lo
	s_mov_b32 s16, 0
	s_mov_b32 s18, s31
	s_branch .LBB235_41
.LBB235_40:                             ;   in Loop: Header=BB235_41 Depth=2
	s_cmp_gt_i32 s18, -1
	s_cselect_b32 s19, -1, 0
	s_add_co_i32 s22, s16, 1
	s_cmp_lt_u32 s16, 2
	s_cselect_b32 s16, -1, 0
	s_wait_alu 0xfffe
	s_and_b32 s16, s19, s16
	s_wait_alu 0xfffe
	s_and_not1_b32 vcc_lo, exec_lo, s16
	s_mov_b32 s16, s22
	s_wait_alu 0xfffe
	s_cbranch_vccnz .LBB235_2
.LBB235_41:                             ;   Parent Loop BB235_4 Depth=1
                                        ; =>  This Loop Header: Depth=2
                                        ;       Child Loop BB235_44 Depth 3
                                        ;         Child Loop BB235_45 Depth 4
                                        ;         Child Loop BB235_47 Depth 4
                                        ;           Child Loop BB235_48 Depth 5
                                        ;         Child Loop BB235_52 Depth 4
                                        ;           Child Loop BB235_54 Depth 5
	s_getpc_b64 s[22:23]
	s_wait_alu 0xfffe
	s_sext_i32_i16 s23, s23
	s_add_co_u32 s22, s22, __const._ZL30rocblas_trsm_small_left_deviceILi32ELi32ELb0E19rocblas_complex_numIdES1_PKPKS1_PKPS1_Ev13rocblas_fill_18rocblas_operation_17rocblas_diagonal_iiT3_T4_lilT5_lili.step_sizes@rel32@lo+12
	s_wait_alu 0xfffe
	s_add_co_ci_u32 s23, s23, __const._ZL30rocblas_trsm_small_left_deviceILi32ELi32ELb0E19rocblas_complex_numIdES1_PKPKS1_PKPS1_Ev13rocblas_fill_18rocblas_operation_17rocblas_diagonal_iiT3_T4_lilT5_lili.step_sizes@rel32@hi+24
	s_lshl_b64 s[24:25], s[16:17], 2
	s_wait_alu 0xfffe
	s_add_nc_u64 s[22:23], s[22:23], s[24:25]
	s_load_b32 s26, s[22:23], 0x0
	s_wait_kmcnt 0x0
	s_add_co_i32 s27, s26, -1
	s_wait_alu 0xfffe
	s_cmp_lt_i32 s18, s27
	s_cbranch_scc1 .LBB235_40
; %bb.42:                               ;   in Loop: Header=BB235_41 Depth=2
	s_lshl_b32 s19, s18, 4
	s_lshl_b32 s22, s26, 4
	s_max_i32 s28, s26, 1
	s_add_co_i32 s29, s36, s19
	s_wait_alu 0xfffe
	s_sub_co_i32 s40, 0, s22
	s_mul_i32 s41, s18, 0x210
	s_mul_i32 s42, s26, 0xfffffdf0
	s_branch .LBB235_44
.LBB235_43:                             ;   in Loop: Header=BB235_44 Depth=3
	s_sub_co_i32 s18, s18, s26
	s_add_co_i32 s29, s29, s40
	s_add_co_i32 s41, s41, s42
	s_cmp_lt_i32 s18, s27
	s_cbranch_scc1 .LBB235_40
.LBB235_44:                             ;   Parent Loop BB235_4 Depth=1
                                        ;     Parent Loop BB235_41 Depth=2
                                        ; =>    This Loop Header: Depth=3
                                        ;         Child Loop BB235_45 Depth 4
                                        ;         Child Loop BB235_47 Depth 4
                                        ;           Child Loop BB235_48 Depth 5
                                        ;         Child Loop BB235_52 Depth 4
                                        ;           Child Loop BB235_54 Depth 5
	s_ashr_i32 s19, s18, 31
	s_delay_alu instid0(SALU_CYCLE_1)
	s_lshl_b64 s[22:23], s[18:19], 4
	s_wait_alu 0xfffe
	v_add_co_u32 v0, vcc_lo, v4, s22
	s_wait_alu 0xfffd
	v_add_co_ci_u32_e64 v1, null, s23, v5, vcc_lo
	s_mov_b32 s22, 8
	s_mov_b32 s23, s28
.LBB235_45:                             ;   Parent Loop BB235_4 Depth=1
                                        ;     Parent Loop BB235_41 Depth=2
                                        ;       Parent Loop BB235_44 Depth=3
                                        ; =>      This Inner Loop Header: Depth=4
	flat_load_b128 v[19:22], v[0:1] offset:-8
	v_add_co_u32 v0, vcc_lo, v0, -16
	s_wait_alu 0xfffd
	v_add_co_ci_u32_e64 v1, null, -1, v1, vcc_lo
	s_wait_alu 0xfffe
	s_add_co_i32 s23, s23, -1
	s_mov_b32 s24, s22
	s_add_co_i32 s22, s22, 16
	s_wait_alu 0xfffe
	s_cmp_eq_u32 s23, 0
	s_wait_loadcnt_dscnt 0x0
	v_mul_f64_e32 v[2:3], s[6:7], v[21:22]
	v_mul_f64_e32 v[10:11], s[4:5], v[21:22]
	s_delay_alu instid0(VALU_DEP_2) | instskip(NEXT) | instid1(VALU_DEP_2)
	v_fma_f64 v[21:22], s[4:5], v[19:20], -v[2:3]
	v_fma_f64 v[23:24], s[6:7], v[19:20], v[10:11]
	scratch_store_b128 off, v[21:24], s24 offset:-8
	s_cbranch_scc0 .LBB235_45
; %bb.46:                               ;   in Loop: Header=BB235_44 Depth=3
	s_cmp_le_i32 s31, s18
	s_mov_b32 s24, s29
	s_mov_b32 s22, s31
	s_cbranch_scc1 .LBB235_50
.LBB235_47:                             ;   Parent Loop BB235_4 Depth=1
                                        ;     Parent Loop BB235_41 Depth=2
                                        ;       Parent Loop BB235_44 Depth=3
                                        ; =>      This Loop Header: Depth=4
                                        ;           Child Loop BB235_48 Depth 5
	s_wait_alu 0xfffe
	s_ashr_i32 s23, s22, 31
	s_mov_b32 s25, s24
	s_wait_alu 0xfffe
	s_lshl_b64 s[44:45], s[22:23], 4
	s_mov_b32 s23, s35
	s_wait_alu 0xfffe
	v_add_co_u32 v0, vcc_lo, v6, s44
	s_wait_alu 0xfffd
	v_add_co_ci_u32_e64 v1, null, s45, v7, vcc_lo
	s_mov_b32 s43, s28
	flat_load_b128 v[0:3], v[0:1]
.LBB235_48:                             ;   Parent Loop BB235_4 Depth=1
                                        ;     Parent Loop BB235_41 Depth=2
                                        ;       Parent Loop BB235_44 Depth=3
                                        ;         Parent Loop BB235_47 Depth=4
                                        ; =>        This Inner Loop Header: Depth=5
	scratch_load_b128 v[19:22], off, s23 offset:-8
	v_mov_b32_e32 v10, s25
	s_wait_alu 0xfffe
	s_add_co_i32 s43, s43, -1
	s_add_co_i32 s25, s25, -16
	ds_load_b128 v[23:26], v10
	s_wait_loadcnt_dscnt 0x100
	v_mul_f64_e32 v[10:11], v[2:3], v[25:26]
	v_mul_f64_e32 v[25:26], v[0:1], v[25:26]
	s_delay_alu instid0(VALU_DEP_2) | instskip(NEXT) | instid1(VALU_DEP_2)
	v_fma_f64 v[10:11], v[0:1], v[23:24], -v[10:11]
	v_fma_f64 v[23:24], v[2:3], v[23:24], v[25:26]
	s_wait_loadcnt 0x0
	s_delay_alu instid0(VALU_DEP_2) | instskip(NEXT) | instid1(VALU_DEP_2)
	v_add_f64_e64 v[19:20], v[19:20], -v[10:11]
	v_add_f64_e64 v[21:22], v[21:22], -v[23:24]
	scratch_store_b128 off, v[19:22], s23 offset:-8
	s_add_co_i32 s23, s23, 16
	s_wait_alu 0xfffe
	s_cmp_eq_u32 s43, 0
	s_cbranch_scc0 .LBB235_48
; %bb.49:                               ;   in Loop: Header=BB235_47 Depth=4
	s_add_co_i32 s22, s22, -1
	s_addk_co_i32 s24, 0xfe00
	s_wait_alu 0xfffe
	s_cmp_le_i32 s22, s18
	s_cbranch_scc0 .LBB235_47
.LBB235_50:                             ;   in Loop: Header=BB235_44 Depth=3
	s_mov_b32 s43, 0
	s_mov_b32 s44, s41
	s_branch .LBB235_52
.LBB235_51:                             ;   in Loop: Header=BB235_52 Depth=4
	s_wait_alu 0xfffe
	s_mulk_i32 s24, 0x210
	s_lshl_b64 s[22:23], s[22:23], 4
	s_wait_alu 0xfffe
	v_mov_b32_e32 v10, s24
	s_lshl_b32 s24, s43, 4
	s_add_co_i32 s43, s43, 1
	s_add_co_i32 s44, s44, -16
	s_wait_alu 0xfffe
	s_cmp_eq_u32 s43, s28
	ds_load_b128 v[19:22], v10
	s_wait_loadcnt_dscnt 0x0
	v_mul_f64_e32 v[10:11], v[21:22], v[2:3]
	v_mul_f64_e32 v[2:3], v[19:20], v[2:3]
	s_delay_alu instid0(VALU_DEP_2) | instskip(NEXT) | instid1(VALU_DEP_2)
	v_fma_f64 v[19:20], v[19:20], v[0:1], -v[10:11]
	v_fma_f64 v[21:22], v[21:22], v[0:1], v[2:3]
	v_add_co_u32 v0, vcc_lo, v6, s22
	s_wait_alu 0xfffd
	v_add_co_ci_u32_e64 v1, null, s23, v7, vcc_lo
	scratch_store_b128 off, v[19:22], s24
	flat_store_b128 v[0:1], v[19:22]
	s_cbranch_scc1 .LBB235_43
.LBB235_52:                             ;   Parent Loop BB235_4 Depth=1
                                        ;     Parent Loop BB235_41 Depth=2
                                        ;       Parent Loop BB235_44 Depth=3
                                        ; =>      This Loop Header: Depth=4
                                        ;           Child Loop BB235_54 Depth 5
	s_wait_alu 0xfffe
	s_cmp_lg_u32 s43, 0
	s_cbranch_scc0 .LBB235_56
; %bb.53:                               ;   in Loop: Header=BB235_52 Depth=4
	s_lshl_b32 s22, s43, 4
	s_mov_b32 s23, s35
	scratch_load_b128 v[0:3], off, s22
	s_mov_b32 s24, s44
	s_mov_b32 s25, s43
.LBB235_54:                             ;   Parent Loop BB235_4 Depth=1
                                        ;     Parent Loop BB235_41 Depth=2
                                        ;       Parent Loop BB235_44 Depth=3
                                        ;         Parent Loop BB235_52 Depth=4
                                        ; =>        This Inner Loop Header: Depth=5
	scratch_load_b128 v[19:22], off, s23 offset:-8
	s_wait_alu 0xfffe
	v_mov_b32_e32 v10, s24
	s_add_co_i32 s25, s25, -1
	s_addk_co_i32 s24, 0xfe00
	s_add_co_i32 s23, s23, 16
	s_wait_alu 0xfffe
	s_cmp_eq_u32 s25, 0
	ds_load_b128 v[23:26], v10
	s_wait_loadcnt_dscnt 0x0
	v_mul_f64_e32 v[10:11], v[25:26], v[21:22]
	v_mul_f64_e32 v[21:22], v[23:24], v[21:22]
	s_delay_alu instid0(VALU_DEP_2) | instskip(NEXT) | instid1(VALU_DEP_2)
	v_fma_f64 v[10:11], v[23:24], v[19:20], -v[10:11]
	v_fma_f64 v[19:20], v[25:26], v[19:20], v[21:22]
	s_delay_alu instid0(VALU_DEP_2) | instskip(NEXT) | instid1(VALU_DEP_2)
	v_add_f64_e64 v[0:1], v[0:1], -v[10:11]
	v_add_f64_e64 v[2:3], v[2:3], -v[19:20]
	scratch_store_b128 off, v[0:3], s22
	s_cbranch_scc0 .LBB235_54
; %bb.55:                               ;   in Loop: Header=BB235_52 Depth=4
	s_sub_co_i32 s24, s18, s43
	s_wait_alu 0xfffe
	s_ashr_i32 s25, s24, 31
	s_wait_alu 0xfffe
	s_mov_b64 s[22:23], s[24:25]
	s_branch .LBB235_51
.LBB235_56:                             ;   in Loop: Header=BB235_52 Depth=4
                                        ; implicit-def: $vgpr0_vgpr1
                                        ; implicit-def: $sgpr24
                                        ; implicit-def: $sgpr22_sgpr23
	s_cbranch_execz .LBB235_51
; %bb.57:                               ;   in Loop: Header=BB235_52 Depth=4
	scratch_load_b128 v[0:3], off, off
	s_mov_b64 s[22:23], s[18:19]
	s_mov_b32 s24, s18
	s_branch .LBB235_51
.LBB235_58:
	s_or_b32 exec_lo, exec_lo, s37
	s_and_saveexec_b32 s0, s38
	s_wait_alu 0xfffe
	s_xor_b32 s0, exec_lo, s0
.LBB235_59:
	s_endpgm
	.section	.rodata,"a",@progbits
	.p2align	6, 0x0
	.amdhsa_kernel _ZL30rocblas_trsm_small_left_deviceILi32ELi32ELb0E19rocblas_complex_numIdES1_PKPKS1_PKPS1_Ev13rocblas_fill_18rocblas_operation_17rocblas_diagonal_iiT3_T4_lilT5_lili
		.amdhsa_group_segment_fixed_size 16384
		.amdhsa_private_segment_fixed_size 528
		.amdhsa_kernarg_size 368
		.amdhsa_user_sgpr_count 2
		.amdhsa_user_sgpr_dispatch_ptr 0
		.amdhsa_user_sgpr_queue_ptr 0
		.amdhsa_user_sgpr_kernarg_segment_ptr 1
		.amdhsa_user_sgpr_dispatch_id 0
		.amdhsa_user_sgpr_private_segment_size 0
		.amdhsa_wavefront_size32 1
		.amdhsa_uses_dynamic_stack 0
		.amdhsa_enable_private_segment 1
		.amdhsa_system_sgpr_workgroup_id_x 1
		.amdhsa_system_sgpr_workgroup_id_y 0
		.amdhsa_system_sgpr_workgroup_id_z 1
		.amdhsa_system_sgpr_workgroup_info 0
		.amdhsa_system_vgpr_workitem_id 0
		.amdhsa_next_free_vgpr 241
		.amdhsa_next_free_sgpr 47
		.amdhsa_reserve_vcc 1
		.amdhsa_float_round_mode_32 0
		.amdhsa_float_round_mode_16_64 0
		.amdhsa_float_denorm_mode_32 3
		.amdhsa_float_denorm_mode_16_64 3
		.amdhsa_fp16_overflow 0
		.amdhsa_workgroup_processor_mode 1
		.amdhsa_memory_ordered 1
		.amdhsa_forward_progress 1
		.amdhsa_inst_pref_size 25
		.amdhsa_round_robin_scheduling 0
		.amdhsa_exception_fp_ieee_invalid_op 0
		.amdhsa_exception_fp_denorm_src 0
		.amdhsa_exception_fp_ieee_div_zero 0
		.amdhsa_exception_fp_ieee_overflow 0
		.amdhsa_exception_fp_ieee_underflow 0
		.amdhsa_exception_fp_ieee_inexact 0
		.amdhsa_exception_int_div_zero 0
	.end_amdhsa_kernel
	.section	.text._ZL30rocblas_trsm_small_left_deviceILi32ELi32ELb0E19rocblas_complex_numIdES1_PKPKS1_PKPS1_Ev13rocblas_fill_18rocblas_operation_17rocblas_diagonal_iiT3_T4_lilT5_lili,"axG",@progbits,_ZL30rocblas_trsm_small_left_deviceILi32ELi32ELb0E19rocblas_complex_numIdES1_PKPKS1_PKPS1_Ev13rocblas_fill_18rocblas_operation_17rocblas_diagonal_iiT3_T4_lilT5_lili,comdat
.Lfunc_end235:
	.size	_ZL30rocblas_trsm_small_left_deviceILi32ELi32ELb0E19rocblas_complex_numIdES1_PKPKS1_PKPS1_Ev13rocblas_fill_18rocblas_operation_17rocblas_diagonal_iiT3_T4_lilT5_lili, .Lfunc_end235-_ZL30rocblas_trsm_small_left_deviceILi32ELi32ELb0E19rocblas_complex_numIdES1_PKPKS1_PKPS1_Ev13rocblas_fill_18rocblas_operation_17rocblas_diagonal_iiT3_T4_lilT5_lili
                                        ; -- End function
	.set _ZL30rocblas_trsm_small_left_deviceILi32ELi32ELb0E19rocblas_complex_numIdES1_PKPKS1_PKPS1_Ev13rocblas_fill_18rocblas_operation_17rocblas_diagonal_iiT3_T4_lilT5_lili.num_vgpr, 31
	.set _ZL30rocblas_trsm_small_left_deviceILi32ELi32ELb0E19rocblas_complex_numIdES1_PKPKS1_PKPS1_Ev13rocblas_fill_18rocblas_operation_17rocblas_diagonal_iiT3_T4_lilT5_lili.num_agpr, 0
	.set _ZL30rocblas_trsm_small_left_deviceILi32ELi32ELb0E19rocblas_complex_numIdES1_PKPKS1_PKPS1_Ev13rocblas_fill_18rocblas_operation_17rocblas_diagonal_iiT3_T4_lilT5_lili.numbered_sgpr, 47
	.set _ZL30rocblas_trsm_small_left_deviceILi32ELi32ELb0E19rocblas_complex_numIdES1_PKPKS1_PKPS1_Ev13rocblas_fill_18rocblas_operation_17rocblas_diagonal_iiT3_T4_lilT5_lili.num_named_barrier, 0
	.set _ZL30rocblas_trsm_small_left_deviceILi32ELi32ELb0E19rocblas_complex_numIdES1_PKPKS1_PKPS1_Ev13rocblas_fill_18rocblas_operation_17rocblas_diagonal_iiT3_T4_lilT5_lili.private_seg_size, 528
	.set _ZL30rocblas_trsm_small_left_deviceILi32ELi32ELb0E19rocblas_complex_numIdES1_PKPKS1_PKPS1_Ev13rocblas_fill_18rocblas_operation_17rocblas_diagonal_iiT3_T4_lilT5_lili.uses_vcc, 1
	.set _ZL30rocblas_trsm_small_left_deviceILi32ELi32ELb0E19rocblas_complex_numIdES1_PKPKS1_PKPS1_Ev13rocblas_fill_18rocblas_operation_17rocblas_diagonal_iiT3_T4_lilT5_lili.uses_flat_scratch, 0
	.set _ZL30rocblas_trsm_small_left_deviceILi32ELi32ELb0E19rocblas_complex_numIdES1_PKPKS1_PKPS1_Ev13rocblas_fill_18rocblas_operation_17rocblas_diagonal_iiT3_T4_lilT5_lili.has_dyn_sized_stack, 0
	.set _ZL30rocblas_trsm_small_left_deviceILi32ELi32ELb0E19rocblas_complex_numIdES1_PKPKS1_PKPS1_Ev13rocblas_fill_18rocblas_operation_17rocblas_diagonal_iiT3_T4_lilT5_lili.has_recursion, 0
	.set _ZL30rocblas_trsm_small_left_deviceILi32ELi32ELb0E19rocblas_complex_numIdES1_PKPKS1_PKPS1_Ev13rocblas_fill_18rocblas_operation_17rocblas_diagonal_iiT3_T4_lilT5_lili.has_indirect_call, 0
	.section	.AMDGPU.csdata,"",@progbits
; Kernel info:
; codeLenInByte = 3136
; TotalNumSgprs: 49
; NumVgprs: 31
; ScratchSize: 528
; MemoryBound: 0
; FloatMode: 240
; IeeeMode: 1
; LDSByteSize: 16384 bytes/workgroup (compile time only)
; SGPRBlocks: 0
; VGPRBlocks: 30
; NumSGPRsForWavesPerEU: 49
; NumVGPRsForWavesPerEU: 241
; Occupancy: 2
; WaveLimiterHint : 1
; COMPUTE_PGM_RSRC2:SCRATCH_EN: 1
; COMPUTE_PGM_RSRC2:USER_SGPR: 2
; COMPUTE_PGM_RSRC2:TRAP_HANDLER: 0
; COMPUTE_PGM_RSRC2:TGID_X_EN: 1
; COMPUTE_PGM_RSRC2:TGID_Y_EN: 0
; COMPUTE_PGM_RSRC2:TGID_Z_EN: 1
; COMPUTE_PGM_RSRC2:TIDIG_COMP_CNT: 0
	.section	.text._ZL38rocblas_trsm_small_left_device_sharedBILi32ELi32ELb1E19rocblas_complex_numIdES1_PKPKS1_PKPS1_Ev13rocblas_fill_18rocblas_operation_17rocblas_diagonal_iiT3_T4_lilT5_lili,"axG",@progbits,_ZL38rocblas_trsm_small_left_device_sharedBILi32ELi32ELb1E19rocblas_complex_numIdES1_PKPKS1_PKPS1_Ev13rocblas_fill_18rocblas_operation_17rocblas_diagonal_iiT3_T4_lilT5_lili,comdat
	.globl	_ZL38rocblas_trsm_small_left_device_sharedBILi32ELi32ELb1E19rocblas_complex_numIdES1_PKPKS1_PKPS1_Ev13rocblas_fill_18rocblas_operation_17rocblas_diagonal_iiT3_T4_lilT5_lili ; -- Begin function _ZL38rocblas_trsm_small_left_device_sharedBILi32ELi32ELb1E19rocblas_complex_numIdES1_PKPKS1_PKPS1_Ev13rocblas_fill_18rocblas_operation_17rocblas_diagonal_iiT3_T4_lilT5_lili
	.p2align	8
	.type	_ZL38rocblas_trsm_small_left_device_sharedBILi32ELi32ELb1E19rocblas_complex_numIdES1_PKPKS1_PKPS1_Ev13rocblas_fill_18rocblas_operation_17rocblas_diagonal_iiT3_T4_lilT5_lili,@function
_ZL38rocblas_trsm_small_left_device_sharedBILi32ELi32ELb1E19rocblas_complex_numIdES1_PKPKS1_PKPS1_Ev13rocblas_fill_18rocblas_operation_17rocblas_diagonal_iiT3_T4_lilT5_lili: ; @_ZL38rocblas_trsm_small_left_device_sharedBILi32ELi32ELb1E19rocblas_complex_numIdES1_PKPKS1_PKPS1_Ev13rocblas_fill_18rocblas_operation_17rocblas_diagonal_iiT3_T4_lilT5_lili
; %bb.0:
	s_load_b32 s24, s[0:1], 0x68
	s_lshr_b32 s2, ttmp7, 16
	s_wait_kmcnt 0x0
	s_cmp_ge_u32 s2, s24
	s_cbranch_scc1 .LBB236_62
; %bb.1:
	s_clause 0x5
	s_load_b32 s22, s[0:1], 0x38
	s_load_b32 s34, s[0:1], 0x58
	s_load_b128 s[16:19], s[0:1], 0x4
	s_load_b32 s3, s[0:1], 0x70
	s_load_b128 s[12:15], s[0:1], 0x48
	s_load_b256 s[4:11], s[0:1], 0x18
	v_dual_mov_b32 v13, 0 :: v_dual_lshlrev_b32 v12, 4, v0
	v_lshlrev_b32_e32 v5, 9, v0
	s_mov_b32 s21, 0
	s_delay_alu instid0(VALU_DEP_2) | instskip(NEXT) | instid1(VALU_DEP_2)
	v_or_b32_e32 v14, 0x4000, v12
	v_add_nc_u32_e32 v19, v12, v5
	s_wait_kmcnt 0x0
	s_ashr_i32 s23, s22, 31
	s_ashr_i32 s35, s34, 31
	s_cmp_eq_u32 s16, 0x71
	v_mad_co_i64_i32 v[1:2], null, s34, v0, 0
	s_cselect_b32 s0, -1, 0
	s_min_i32 s25, s18, 32
	s_lshl_b32 s30, ttmp9, 5
	s_add_co_i32 s3, s3, -1
	s_add_co_i32 s26, s25, -1
	s_sub_co_i32 s1, s19, s30
	s_cmp_ge_u32 ttmp9, s3
	v_lshlrev_b64_e32 v[8:9], 4, v[1:2]
	s_cselect_b32 s1, s1, 32
	s_ashr_i32 s31, s30, 31
	s_cmp_lg_u32 s17, 0x84
	v_cmp_gt_i32_e32 vcc_lo, s1, v0
	s_cselect_b32 s27, -1, 0
	s_cmp_gt_i32 s18, 0
	v_cmp_gt_i32_e64 s1, s25, v0
	s_cselect_b32 s3, -1, 0
	s_cmp_lg_u32 s16, 0x6f
	s_mul_u64 s[18:19], s[34:35], s[30:31]
	s_cselect_b32 s28, -1, 0
	s_lshl_b64 s[16:17], s[30:31], 4
	s_lshl_b64 s[30:31], s[10:11], 4
	v_or_b32_e32 v0, s16, v12
	s_lshl_b64 s[10:11], s[14:15], 4
	s_and_b32 s29, vcc_lo, s3
	s_lshl_b64 s[14:15], s[22:23], 4
	s_delay_alu instid0(VALU_DEP_1) | instskip(SKIP_2) | instid1(VALU_DEP_1)
	v_mul_lo_u32 v6, v0, s35
	v_mad_co_u64_u32 v[3:4], null, v0, s34, s[10:11]
	v_add_co_u32 v0, s3, s30, v12
	v_add_co_ci_u32_e64 v15, null, s31, 0, s3
	s_mul_i32 s3, s17, s34
	v_or_b32_e32 v16, 8, v0
	s_wait_alu 0xfffe
	v_add3_u32 v17, s3, v4, v6
	v_or_b32_e32 v18, 8, v3
	s_lshl_b32 s3, s25, 4
	s_or_b32 s30, 0, 8
	s_wait_alu 0xfffe
	s_add_co_i32 s22, s3, -16
	s_lshl_b64 s[16:17], s[18:19], 4
	s_branch .LBB236_3
.LBB236_2:                              ;   in Loop: Header=BB236_3 Depth=1
	s_wait_alu 0xfffe
	s_or_b32 exec_lo, exec_lo, s3
	s_add_co_i32 s2, s2, 0x10000
	s_wait_alu 0xfffe
	s_cmp_lt_u32 s2, s24
	s_cbranch_scc0 .LBB236_62
.LBB236_3:                              ; =>This Loop Header: Depth=1
                                        ;     Child Loop BB236_5 Depth 2
                                        ;     Child Loop BB236_16 Depth 2
	;; [unrolled: 1-line block ×3, first 2 shown]
                                        ;       Child Loop BB236_23 Depth 3
                                        ;         Child Loop BB236_24 Depth 4
                                        ;         Child Loop BB236_26 Depth 4
                                        ;           Child Loop BB236_27 Depth 5
                                        ;         Child Loop BB236_31 Depth 4
                                        ;           Child Loop BB236_33 Depth 5
                                        ;     Child Loop BB236_41 Depth 2
                                        ;       Child Loop BB236_44 Depth 3
                                        ;         Child Loop BB236_45 Depth 4
                                        ;         Child Loop BB236_48 Depth 4
                                        ;           Child Loop BB236_49 Depth 5
                                        ;         Child Loop BB236_53 Depth 4
                                        ;           Child Loop BB236_55 Depth 5
                                        ;     Child Loop BB236_61 Depth 2
	s_mov_b32 s3, s21
	s_wait_alu 0xfffe
	s_lshl_b64 s[18:19], s[2:3], 3
	s_delay_alu instid0(SALU_CYCLE_1)
	s_add_nc_u64 s[34:35], s[12:13], s[18:19]
	global_load_b64 v[10:11], v13, s[34:35]
	s_and_saveexec_b32 s3, s1
	s_cbranch_execz .LBB236_14
; %bb.4:                                ;   in Loop: Header=BB236_3 Depth=1
	s_add_nc_u64 s[18:19], s[8:9], s[18:19]
	v_mov_b32_e32 v2, v12
	global_load_b64 v[0:1], v13, s[18:19]
	s_mov_b32 s18, s25
	s_wait_loadcnt 0x0
	v_add_co_u32 v0, vcc_lo, v0, v16
	s_wait_alu 0xfffd
	v_add_co_ci_u32_e64 v1, null, v1, v15, vcc_lo
.LBB236_5:                              ;   Parent Loop BB236_3 Depth=1
                                        ; =>  This Inner Loop Header: Depth=2
	flat_load_b128 v[3:6], v[0:1] offset:-8
	v_add_co_u32 v0, vcc_lo, v0, s14
	s_wait_alu 0xfffd
	v_add_co_ci_u32_e64 v1, null, s15, v1, vcc_lo
	s_add_co_i32 s18, s18, -1
	s_delay_alu instid0(SALU_CYCLE_1) | instskip(SKIP_2) | instid1(VALU_DEP_1)
	s_cmp_eq_u32 s18, 0
	s_wait_loadcnt_dscnt 0x0
	v_xor_b32_e32 v7, 0x80000000, v6
	v_cndmask_b32_e64 v6, v6, v7, s0
	ds_store_b128 v2, v[3:6]
	v_add_nc_u32_e32 v2, 0x200, v2
	s_cbranch_scc0 .LBB236_5
; %bb.6:                                ;   in Loop: Header=BB236_3 Depth=1
	s_and_b32 vcc_lo, exec_lo, s27
	s_wait_alu 0xfffe
	s_cbranch_vccz .LBB236_12
; %bb.7:                                ;   in Loop: Header=BB236_3 Depth=1
	ds_load_b128 v[0:3], v19
                                        ; implicit-def: $vgpr6_vgpr7
	s_wait_dscnt 0x0
	v_cmp_ngt_f64_e64 s18, |v[0:1]|, |v[2:3]|
	s_and_saveexec_b32 s19, s18
	s_delay_alu instid0(SALU_CYCLE_1)
	s_xor_b32 s18, exec_lo, s19
	s_cbranch_execz .LBB236_9
; %bb.8:                                ;   in Loop: Header=BB236_3 Depth=1
	v_div_scale_f64 v[4:5], null, v[2:3], v[2:3], v[0:1]
	v_div_scale_f64 v[22:23], vcc_lo, v[0:1], v[2:3], v[0:1]
	s_delay_alu instid0(VALU_DEP_2) | instskip(NEXT) | instid1(TRANS32_DEP_1)
	v_rcp_f64_e32 v[6:7], v[4:5]
	v_fma_f64 v[20:21], -v[4:5], v[6:7], 1.0
	s_delay_alu instid0(VALU_DEP_1) | instskip(NEXT) | instid1(VALU_DEP_1)
	v_fma_f64 v[6:7], v[6:7], v[20:21], v[6:7]
	v_fma_f64 v[20:21], -v[4:5], v[6:7], 1.0
	s_delay_alu instid0(VALU_DEP_1) | instskip(NEXT) | instid1(VALU_DEP_1)
	v_fma_f64 v[6:7], v[6:7], v[20:21], v[6:7]
	v_mul_f64_e32 v[20:21], v[22:23], v[6:7]
	s_delay_alu instid0(VALU_DEP_1) | instskip(SKIP_1) | instid1(VALU_DEP_1)
	v_fma_f64 v[4:5], -v[4:5], v[20:21], v[22:23]
	s_wait_alu 0xfffd
	v_div_fmas_f64 v[4:5], v[4:5], v[6:7], v[20:21]
	s_delay_alu instid0(VALU_DEP_1) | instskip(NEXT) | instid1(VALU_DEP_1)
	v_div_fixup_f64 v[4:5], v[4:5], v[2:3], v[0:1]
	v_fma_f64 v[0:1], v[0:1], v[4:5], v[2:3]
	s_delay_alu instid0(VALU_DEP_1) | instskip(SKIP_1) | instid1(VALU_DEP_2)
	v_div_scale_f64 v[2:3], null, v[0:1], v[0:1], 1.0
	v_div_scale_f64 v[22:23], vcc_lo, 1.0, v[0:1], 1.0
	v_rcp_f64_e32 v[6:7], v[2:3]
	s_delay_alu instid0(TRANS32_DEP_1) | instskip(NEXT) | instid1(VALU_DEP_1)
	v_fma_f64 v[20:21], -v[2:3], v[6:7], 1.0
	v_fma_f64 v[6:7], v[6:7], v[20:21], v[6:7]
	s_delay_alu instid0(VALU_DEP_1) | instskip(NEXT) | instid1(VALU_DEP_1)
	v_fma_f64 v[20:21], -v[2:3], v[6:7], 1.0
	v_fma_f64 v[6:7], v[6:7], v[20:21], v[6:7]
	s_delay_alu instid0(VALU_DEP_1) | instskip(NEXT) | instid1(VALU_DEP_1)
	v_mul_f64_e32 v[20:21], v[22:23], v[6:7]
	v_fma_f64 v[2:3], -v[2:3], v[20:21], v[22:23]
	s_wait_alu 0xfffd
	s_delay_alu instid0(VALU_DEP_1) | instskip(SKIP_1) | instid1(VALU_DEP_2)
	v_div_fmas_f64 v[2:3], v[2:3], v[6:7], v[20:21]
	v_add_f64_e32 v[6:7], 0, v[4:5]
	v_div_fixup_f64 v[0:1], v[2:3], v[0:1], 1.0
	v_fma_f64 v[2:3], v[4:5], 0, -1.0
	s_delay_alu instid0(VALU_DEP_2) | instskip(NEXT) | instid1(VALU_DEP_2)
	v_mul_f64_e32 v[4:5], v[6:7], v[0:1]
	v_mul_f64_e32 v[6:7], v[2:3], v[0:1]
                                        ; implicit-def: $vgpr0_vgpr1
.LBB236_9:                              ;   in Loop: Header=BB236_3 Depth=1
	s_and_not1_saveexec_b32 s18, s18
	s_cbranch_execz .LBB236_11
; %bb.10:                               ;   in Loop: Header=BB236_3 Depth=1
	v_div_scale_f64 v[4:5], null, v[0:1], v[0:1], v[2:3]
	v_div_scale_f64 v[22:23], vcc_lo, v[2:3], v[0:1], v[2:3]
	s_delay_alu instid0(VALU_DEP_2) | instskip(NEXT) | instid1(TRANS32_DEP_1)
	v_rcp_f64_e32 v[6:7], v[4:5]
	v_fma_f64 v[20:21], -v[4:5], v[6:7], 1.0
	s_delay_alu instid0(VALU_DEP_1) | instskip(NEXT) | instid1(VALU_DEP_1)
	v_fma_f64 v[6:7], v[6:7], v[20:21], v[6:7]
	v_fma_f64 v[20:21], -v[4:5], v[6:7], 1.0
	s_delay_alu instid0(VALU_DEP_1) | instskip(NEXT) | instid1(VALU_DEP_1)
	v_fma_f64 v[6:7], v[6:7], v[20:21], v[6:7]
	v_mul_f64_e32 v[20:21], v[22:23], v[6:7]
	s_delay_alu instid0(VALU_DEP_1) | instskip(SKIP_1) | instid1(VALU_DEP_1)
	v_fma_f64 v[4:5], -v[4:5], v[20:21], v[22:23]
	s_wait_alu 0xfffd
	v_div_fmas_f64 v[4:5], v[4:5], v[6:7], v[20:21]
	s_delay_alu instid0(VALU_DEP_1) | instskip(NEXT) | instid1(VALU_DEP_1)
	v_div_fixup_f64 v[4:5], v[4:5], v[0:1], v[2:3]
	v_fma_f64 v[0:1], v[2:3], v[4:5], v[0:1]
	s_delay_alu instid0(VALU_DEP_1) | instskip(SKIP_1) | instid1(VALU_DEP_2)
	v_div_scale_f64 v[2:3], null, v[0:1], v[0:1], 1.0
	v_div_scale_f64 v[22:23], vcc_lo, 1.0, v[0:1], 1.0
	v_rcp_f64_e32 v[6:7], v[2:3]
	s_delay_alu instid0(TRANS32_DEP_1) | instskip(NEXT) | instid1(VALU_DEP_1)
	v_fma_f64 v[20:21], -v[2:3], v[6:7], 1.0
	v_fma_f64 v[6:7], v[6:7], v[20:21], v[6:7]
	s_delay_alu instid0(VALU_DEP_1) | instskip(NEXT) | instid1(VALU_DEP_1)
	v_fma_f64 v[20:21], -v[2:3], v[6:7], 1.0
	v_fma_f64 v[6:7], v[6:7], v[20:21], v[6:7]
	s_delay_alu instid0(VALU_DEP_1) | instskip(NEXT) | instid1(VALU_DEP_1)
	v_mul_f64_e32 v[20:21], v[22:23], v[6:7]
	v_fma_f64 v[2:3], -v[2:3], v[20:21], v[22:23]
	s_wait_alu 0xfffd
	s_delay_alu instid0(VALU_DEP_1) | instskip(SKIP_1) | instid1(VALU_DEP_2)
	v_div_fmas_f64 v[2:3], v[2:3], v[6:7], v[20:21]
	v_fma_f64 v[6:7], v[4:5], 0, 1.0
	v_div_fixup_f64 v[0:1], v[2:3], v[0:1], 1.0
	v_add_f64_e64 v[2:3], -v[4:5], 0
	s_delay_alu instid0(VALU_DEP_2) | instskip(NEXT) | instid1(VALU_DEP_2)
	v_mul_f64_e32 v[4:5], v[6:7], v[0:1]
	v_mul_f64_e32 v[6:7], v[2:3], v[0:1]
.LBB236_11:                             ;   in Loop: Header=BB236_3 Depth=1
	s_or_b32 exec_lo, exec_lo, s18
	s_branch .LBB236_13
.LBB236_12:                             ;   in Loop: Header=BB236_3 Depth=1
	v_mov_b32_e32 v6, 0
	v_dual_mov_b32 v7, 0 :: v_dual_mov_b32 v4, 0
	v_mov_b32_e32 v5, 0x3ff00000
.LBB236_13:                             ;   in Loop: Header=BB236_3 Depth=1
	ds_store_b128 v19, v[4:7]
.LBB236_14:                             ;   in Loop: Header=BB236_3 Depth=1
	s_wait_alu 0xfffe
	s_or_b32 exec_lo, exec_lo, s3
	s_and_saveexec_b32 s3, s29
	s_cbranch_execz .LBB236_17
; %bb.15:                               ;   in Loop: Header=BB236_3 Depth=1
	s_wait_loadcnt 0x0
	v_add_co_u32 v0, vcc_lo, v10, v18
	s_wait_alu 0xfffd
	v_add_co_ci_u32_e64 v1, null, v11, v17, vcc_lo
	v_mov_b32_e32 v2, v14
	s_mov_b32 s18, s25
.LBB236_16:                             ;   Parent Loop BB236_3 Depth=1
                                        ; =>  This Inner Loop Header: Depth=2
	flat_load_b128 v[3:6], v[0:1] offset:-8
	v_add_co_u32 v0, vcc_lo, v0, 16
	s_wait_alu 0xfffd
	v_add_co_ci_u32_e64 v1, null, 0, v1, vcc_lo
	s_add_co_i32 s18, s18, -1
	s_delay_alu instid0(SALU_CYCLE_1) | instskip(SKIP_3) | instid1(VALU_DEP_2)
	s_cmp_lg_u32 s18, 0
	s_wait_loadcnt_dscnt 0x0
	v_mul_f64_e32 v[20:21], s[6:7], v[5:6]
	v_mul_f64_e32 v[5:6], s[4:5], v[5:6]
	v_fma_f64 v[20:21], s[4:5], v[3:4], -v[20:21]
	s_delay_alu instid0(VALU_DEP_2)
	v_fma_f64 v[22:23], s[6:7], v[3:4], v[5:6]
	ds_store_b128 v2, v[20:23]
	v_add_nc_u32_e32 v2, 0x200, v2
	s_cbranch_scc1 .LBB236_16
.LBB236_17:                             ;   in Loop: Header=BB236_3 Depth=1
	s_wait_alu 0xfffe
	s_or_b32 exec_lo, exec_lo, s3
	s_delay_alu instid0(SALU_CYCLE_1)
	s_and_not1_b32 vcc_lo, exec_lo, s28
	s_mov_b32 s3, -1
	; wave barrier
	s_wait_loadcnt_dscnt 0x0
	global_inv scope:SCOPE_SE
	s_wait_alu 0xfffe
	s_cbranch_vccnz .LBB236_38
; %bb.18:                               ;   in Loop: Header=BB236_3 Depth=1
	s_mov_b32 s20, 0
	s_mov_b32 s3, s26
	s_branch .LBB236_20
.LBB236_19:                             ;   in Loop: Header=BB236_20 Depth=2
	s_cmp_gt_i32 s3, -1
	s_cselect_b32 s18, -1, 0
	s_add_co_i32 s19, s20, 1
	s_cmp_lt_u32 s20, 2
	s_cselect_b32 s20, -1, 0
	s_delay_alu instid0(SALU_CYCLE_1)
	s_and_b32 s18, s18, s20
	s_mov_b32 s20, s19
	s_and_b32 vcc_lo, exec_lo, s18
	s_wait_alu 0xfffe
	s_cbranch_vccz .LBB236_37
.LBB236_20:                             ;   Parent Loop BB236_3 Depth=1
                                        ; =>  This Loop Header: Depth=2
                                        ;       Child Loop BB236_23 Depth 3
                                        ;         Child Loop BB236_24 Depth 4
                                        ;         Child Loop BB236_26 Depth 4
                                        ;           Child Loop BB236_27 Depth 5
                                        ;         Child Loop BB236_31 Depth 4
                                        ;           Child Loop BB236_33 Depth 5
	s_getpc_b64 s[18:19]
	s_sext_i32_i16 s19, s19
	s_add_co_u32 s18, s18, __const._ZL38rocblas_trsm_small_left_device_sharedBILi32ELi32ELb1E19rocblas_complex_numIdES1_PKPKS1_PKPS1_Ev13rocblas_fill_18rocblas_operation_17rocblas_diagonal_iiT3_T4_lilT5_lili.step_sizes@rel32@lo+8
	s_add_co_ci_u32 s19, s19, __const._ZL38rocblas_trsm_small_left_device_sharedBILi32ELi32ELb1E19rocblas_complex_numIdES1_PKPKS1_PKPS1_Ev13rocblas_fill_18rocblas_operation_17rocblas_diagonal_iiT3_T4_lilT5_lili.step_sizes@rel32@hi+16
	s_lshl_b64 s[34:35], s[20:21], 2
	s_wait_alu 0xfffe
	s_add_nc_u64 s[18:19], s[18:19], s[34:35]
	s_load_b32 s18, s[18:19], 0x0
	s_wait_kmcnt 0x0
	s_add_co_i32 s19, s18, -1
	s_delay_alu instid0(SALU_CYCLE_1)
	s_cmp_lt_i32 s3, s19
	s_cbranch_scc1 .LBB236_19
; %bb.21:                               ;   in Loop: Header=BB236_20 Depth=2
	s_lshl_b32 s33, s3, 9
	s_lshl_b32 s31, s18, 9
	s_wait_alu 0xfffe
	v_add_nc_u32_e32 v4, s33, v14
	s_max_i32 s23, s18, 1
	s_sub_co_i32 s31, 0, s31
	s_add_co_i32 s33, s22, s33
	s_mul_i32 s34, s3, 0x210
	s_mul_i32 s35, s18, 0xfffffdf0
	s_branch .LBB236_23
.LBB236_22:                             ;   in Loop: Header=BB236_23 Depth=3
	v_add_nc_u32_e32 v4, s31, v4
	s_sub_co_i32 s3, s3, s18
	s_add_co_i32 s33, s33, s31
	s_add_co_i32 s34, s34, s35
	s_wait_alu 0xfffe
	s_cmp_lt_i32 s3, s19
	s_cbranch_scc1 .LBB236_19
.LBB236_23:                             ;   Parent Loop BB236_3 Depth=1
                                        ;     Parent Loop BB236_20 Depth=2
                                        ; =>    This Loop Header: Depth=3
                                        ;         Child Loop BB236_24 Depth 4
                                        ;         Child Loop BB236_26 Depth 4
                                        ;           Child Loop BB236_27 Depth 5
                                        ;         Child Loop BB236_31 Depth 4
                                        ;           Child Loop BB236_33 Depth 5
	v_mov_b32_e32 v0, v4
	s_mov_b32 s36, 0
	s_mov_b32 s37, s23
.LBB236_24:                             ;   Parent Loop BB236_3 Depth=1
                                        ;     Parent Loop BB236_20 Depth=2
                                        ;       Parent Loop BB236_23 Depth=3
                                        ; =>      This Inner Loop Header: Depth=4
	ds_load_b128 v[20:23], v0
	v_add_nc_u32_e32 v0, 0xfffffe00, v0
	s_wait_alu 0xfffe
	s_add_co_i32 s37, s37, -1
	s_wait_dscnt 0x0
	scratch_store_b128 off, v[20:23], s36
	s_add_co_i32 s36, s36, 16
	s_wait_alu 0xfffe
	s_cmp_eq_u32 s37, 0
	s_cbranch_scc0 .LBB236_24
; %bb.25:                               ;   in Loop: Header=BB236_23 Depth=3
	s_cmp_le_i32 s26, s3
	s_mov_b32 s36, s33
	s_mov_b32 s37, s26
	s_cbranch_scc1 .LBB236_29
.LBB236_26:                             ;   Parent Loop BB236_3 Depth=1
                                        ;     Parent Loop BB236_20 Depth=2
                                        ;       Parent Loop BB236_23 Depth=3
                                        ; =>      This Loop Header: Depth=4
                                        ;           Child Loop BB236_27 Depth 5
	s_wait_alu 0xfffe
	v_lshl_add_u32 v0, s37, 9, v14
	s_mov_b32 s38, s30
	s_mov_b32 s39, s36
	;; [unrolled: 1-line block ×3, first 2 shown]
	ds_load_b128 v[0:3], v0
.LBB236_27:                             ;   Parent Loop BB236_3 Depth=1
                                        ;     Parent Loop BB236_20 Depth=2
                                        ;       Parent Loop BB236_23 Depth=3
                                        ;         Parent Loop BB236_26 Depth=4
                                        ; =>        This Inner Loop Header: Depth=5
	scratch_load_b128 v[20:23], off, s38 offset:-8
	s_wait_alu 0xfffe
	v_mov_b32_e32 v5, s39
	s_add_co_i32 s40, s40, -1
	s_addk_co_i32 s39, 0xfe00
	ds_load_b128 v[24:27], v5
	s_wait_dscnt 0x0
	v_mul_f64_e32 v[5:6], v[2:3], v[26:27]
	v_mul_f64_e32 v[26:27], v[0:1], v[26:27]
	s_delay_alu instid0(VALU_DEP_2) | instskip(NEXT) | instid1(VALU_DEP_2)
	v_fma_f64 v[5:6], v[0:1], v[24:25], -v[5:6]
	v_fma_f64 v[24:25], v[2:3], v[24:25], v[26:27]
	s_wait_loadcnt 0x0
	s_delay_alu instid0(VALU_DEP_2) | instskip(NEXT) | instid1(VALU_DEP_2)
	v_add_f64_e64 v[20:21], v[20:21], -v[5:6]
	v_add_f64_e64 v[22:23], v[22:23], -v[24:25]
	scratch_store_b128 off, v[20:23], s38 offset:-8
	s_add_co_i32 s38, s38, 16
	s_wait_alu 0xfffe
	s_cmp_eq_u32 s40, 0
	s_cbranch_scc0 .LBB236_27
; %bb.28:                               ;   in Loop: Header=BB236_26 Depth=4
	s_add_co_i32 s37, s37, -1
	s_add_co_i32 s36, s36, -16
	s_wait_alu 0xfffe
	s_cmp_le_i32 s37, s3
	s_cbranch_scc0 .LBB236_26
.LBB236_29:                             ;   in Loop: Header=BB236_23 Depth=3
	s_lshl_b32 s36, s3, 9
	s_mov_b32 s37, 0
	s_mov_b32 s38, s34
	s_branch .LBB236_31
.LBB236_30:                             ;   in Loop: Header=BB236_31 Depth=4
	s_wait_alu 0xfffe
	s_mulk_i32 s40, 0x210
	s_addk_co_i32 s38, 0xfe00
	s_wait_alu 0xfffe
	v_mov_b32_e32 v5, s40
	s_lshl_b32 s40, s37, 4
	s_add_co_i32 s37, s37, 1
	s_wait_alu 0xfffe
	s_cmp_eq_u32 s37, s23
	ds_load_b128 v[20:23], v5
	s_wait_loadcnt_dscnt 0x0
	v_mul_f64_e32 v[5:6], v[22:23], v[2:3]
	v_mul_f64_e32 v[2:3], v[20:21], v[2:3]
	s_delay_alu instid0(VALU_DEP_2) | instskip(NEXT) | instid1(VALU_DEP_2)
	v_fma_f64 v[20:21], v[20:21], v[0:1], -v[5:6]
	v_fma_f64 v[22:23], v[22:23], v[0:1], v[2:3]
	v_add_nc_u32_e32 v0, s39, v14
	scratch_store_b128 off, v[20:23], s40
	ds_store_b128 v0, v[20:23]
	s_cbranch_scc1 .LBB236_22
.LBB236_31:                             ;   Parent Loop BB236_3 Depth=1
                                        ;     Parent Loop BB236_20 Depth=2
                                        ;       Parent Loop BB236_23 Depth=3
                                        ; =>      This Loop Header: Depth=4
                                        ;           Child Loop BB236_33 Depth 5
	s_wait_alu 0xfffe
	s_cmp_lg_u32 s37, 0
	s_cbranch_scc0 .LBB236_35
; %bb.32:                               ;   in Loop: Header=BB236_31 Depth=4
	s_lshl_b32 s41, s37, 4
	s_sub_co_i32 s40, s3, s37
	scratch_load_b128 v[0:3], off, s41
	s_wait_alu 0xfffe
	s_lshl_b32 s39, s40, 9
	s_mov_b32 s42, s30
	s_mov_b32 s43, s38
	;; [unrolled: 1-line block ×3, first 2 shown]
.LBB236_33:                             ;   Parent Loop BB236_3 Depth=1
                                        ;     Parent Loop BB236_20 Depth=2
                                        ;       Parent Loop BB236_23 Depth=3
                                        ;         Parent Loop BB236_31 Depth=4
                                        ; =>        This Inner Loop Header: Depth=5
	scratch_load_b128 v[20:23], off, s42 offset:-8
	s_wait_alu 0xfffe
	v_mov_b32_e32 v5, s43
	s_add_co_i32 s44, s44, -1
	s_add_co_i32 s43, s43, -16
	s_add_co_i32 s42, s42, 16
	s_cmp_eq_u32 s44, 0
	ds_load_b128 v[24:27], v5
	s_wait_loadcnt_dscnt 0x0
	v_mul_f64_e32 v[5:6], v[26:27], v[22:23]
	v_mul_f64_e32 v[22:23], v[24:25], v[22:23]
	s_delay_alu instid0(VALU_DEP_2) | instskip(NEXT) | instid1(VALU_DEP_2)
	v_fma_f64 v[5:6], v[24:25], v[20:21], -v[5:6]
	v_fma_f64 v[20:21], v[26:27], v[20:21], v[22:23]
	s_delay_alu instid0(VALU_DEP_2) | instskip(NEXT) | instid1(VALU_DEP_2)
	v_add_f64_e64 v[0:1], v[0:1], -v[5:6]
	v_add_f64_e64 v[2:3], v[2:3], -v[20:21]
	scratch_store_b128 off, v[0:3], s41
	s_cbranch_scc0 .LBB236_33
; %bb.34:                               ;   in Loop: Header=BB236_31 Depth=4
	s_branch .LBB236_30
.LBB236_35:                             ;   in Loop: Header=BB236_31 Depth=4
                                        ; implicit-def: $vgpr0_vgpr1
                                        ; implicit-def: $sgpr40
                                        ; implicit-def: $sgpr39
	s_cbranch_execz .LBB236_30
; %bb.36:                               ;   in Loop: Header=BB236_31 Depth=4
	scratch_load_b128 v[0:3], off, off
	s_mov_b32 s39, s36
	s_mov_b32 s40, s3
	s_branch .LBB236_30
.LBB236_37:                             ;   in Loop: Header=BB236_3 Depth=1
	s_mov_b32 s3, 0
.LBB236_38:                             ;   in Loop: Header=BB236_3 Depth=1
	s_wait_alu 0xfffe
	s_and_b32 vcc_lo, exec_lo, s3
	s_wait_alu 0xfffe
	s_cbranch_vccz .LBB236_59
; %bb.39:                               ;   in Loop: Header=BB236_3 Depth=1
	s_mov_b32 s20, 0
	s_delay_alu instid0(SALU_CYCLE_1)
	s_mov_b32 s3, s20
	s_branch .LBB236_41
.LBB236_40:                             ;   in Loop: Header=BB236_41 Depth=2
	s_cmp_lt_i32 s3, s25
	s_cselect_b32 s18, -1, 0
	s_add_co_i32 s19, s20, 1
	s_cmp_lt_u32 s20, 2
	s_cselect_b32 s20, -1, 0
	s_delay_alu instid0(SALU_CYCLE_1)
	s_and_b32 s18, s18, s20
	s_mov_b32 s20, s19
	s_and_not1_b32 vcc_lo, exec_lo, s18
	s_wait_alu 0xfffe
	s_cbranch_vccnz .LBB236_59
.LBB236_41:                             ;   Parent Loop BB236_3 Depth=1
                                        ; =>  This Loop Header: Depth=2
                                        ;       Child Loop BB236_44 Depth 3
                                        ;         Child Loop BB236_45 Depth 4
                                        ;         Child Loop BB236_48 Depth 4
                                        ;           Child Loop BB236_49 Depth 5
                                        ;         Child Loop BB236_53 Depth 4
                                        ;           Child Loop BB236_55 Depth 5
	s_getpc_b64 s[18:19]
	s_sext_i32_i16 s19, s19
	s_add_co_u32 s18, s18, __const._ZL38rocblas_trsm_small_left_device_sharedBILi32ELi32ELb1E19rocblas_complex_numIdES1_PKPKS1_PKPS1_Ev13rocblas_fill_18rocblas_operation_17rocblas_diagonal_iiT3_T4_lilT5_lili.step_sizes@rel32@lo+8
	s_add_co_ci_u32 s19, s19, __const._ZL38rocblas_trsm_small_left_device_sharedBILi32ELi32ELb1E19rocblas_complex_numIdES1_PKPKS1_PKPS1_Ev13rocblas_fill_18rocblas_operation_17rocblas_diagonal_iiT3_T4_lilT5_lili.step_sizes@rel32@hi+16
	s_lshl_b64 s[34:35], s[20:21], 2
	s_wait_alu 0xfffe
	s_add_nc_u64 s[18:19], s[18:19], s[34:35]
	s_load_b32 s18, s[18:19], 0x0
	s_wait_kmcnt 0x0
	s_add_co_i32 s19, s18, -1
	s_delay_alu instid0(SALU_CYCLE_1) | instskip(NEXT) | instid1(SALU_CYCLE_1)
	s_add_co_i32 s23, s19, s3
	s_cmp_ge_i32 s23, s25
	s_cbranch_scc1 .LBB236_40
; %bb.42:                               ;   in Loop: Header=BB236_41 Depth=2
	v_lshl_add_u32 v4, s3, 9, v14
	s_max_i32 s23, s18, 1
	s_lshl_b32 s31, s18, 9
	s_lshl_b32 s33, s3, 4
	;; [unrolled: 1-line block ×3, first 2 shown]
	s_mul_i32 s35, s3, 0x210
	s_mul_i32 s36, s18, 0x210
	s_branch .LBB236_44
.LBB236_43:                             ;   in Loop: Header=BB236_44 Depth=3
	s_add_co_i32 s3, s3, s18
	v_add_nc_u32_e32 v4, s31, v4
	s_wait_alu 0xfffe
	s_add_co_i32 s37, s19, s3
	s_add_co_i32 s33, s33, s34
	;; [unrolled: 1-line block ×3, first 2 shown]
	s_wait_alu 0xfffe
	s_cmp_ge_i32 s37, s25
	s_cbranch_scc1 .LBB236_40
.LBB236_44:                             ;   Parent Loop BB236_3 Depth=1
                                        ;     Parent Loop BB236_41 Depth=2
                                        ; =>    This Loop Header: Depth=3
                                        ;         Child Loop BB236_45 Depth 4
                                        ;         Child Loop BB236_48 Depth 4
                                        ;           Child Loop BB236_49 Depth 5
                                        ;         Child Loop BB236_53 Depth 4
                                        ;           Child Loop BB236_55 Depth 5
	v_mov_b32_e32 v0, v4
	s_mov_b32 s37, 0
	s_mov_b32 s38, s23
.LBB236_45:                             ;   Parent Loop BB236_3 Depth=1
                                        ;     Parent Loop BB236_41 Depth=2
                                        ;       Parent Loop BB236_44 Depth=3
                                        ; =>      This Inner Loop Header: Depth=4
	ds_load_b128 v[20:23], v0
	v_add_nc_u32_e32 v0, 0x200, v0
	s_wait_alu 0xfffe
	s_add_co_i32 s38, s38, -1
	s_wait_dscnt 0x0
	scratch_store_b128 off, v[20:23], s37
	s_add_co_i32 s37, s37, 16
	s_wait_alu 0xfffe
	s_cmp_eq_u32 s38, 0
	s_cbranch_scc0 .LBB236_45
; %bb.46:                               ;   in Loop: Header=BB236_44 Depth=3
	s_cmp_lt_i32 s3, 1
	s_cbranch_scc1 .LBB236_51
; %bb.47:                               ;   in Loop: Header=BB236_44 Depth=3
	s_mov_b32 s37, 0
	s_mov_b32 s38, s33
.LBB236_48:                             ;   Parent Loop BB236_3 Depth=1
                                        ;     Parent Loop BB236_41 Depth=2
                                        ;       Parent Loop BB236_44 Depth=3
                                        ; =>      This Loop Header: Depth=4
                                        ;           Child Loop BB236_49 Depth 5
	s_wait_alu 0xfffe
	v_lshl_add_u32 v0, s37, 9, v14
	s_mov_b32 s39, s30
	s_mov_b32 s40, s38
	;; [unrolled: 1-line block ×3, first 2 shown]
	ds_load_b128 v[0:3], v0
.LBB236_49:                             ;   Parent Loop BB236_3 Depth=1
                                        ;     Parent Loop BB236_41 Depth=2
                                        ;       Parent Loop BB236_44 Depth=3
                                        ;         Parent Loop BB236_48 Depth=4
                                        ; =>        This Inner Loop Header: Depth=5
	scratch_load_b128 v[20:23], off, s39 offset:-8
	s_wait_alu 0xfffe
	v_mov_b32_e32 v5, s40
	s_add_co_i32 s41, s41, -1
	s_add_co_i32 s40, s40, 16
	ds_load_b128 v[24:27], v5
	s_wait_dscnt 0x0
	v_mul_f64_e32 v[5:6], v[2:3], v[26:27]
	v_mul_f64_e32 v[26:27], v[0:1], v[26:27]
	s_delay_alu instid0(VALU_DEP_2) | instskip(NEXT) | instid1(VALU_DEP_2)
	v_fma_f64 v[5:6], v[0:1], v[24:25], -v[5:6]
	v_fma_f64 v[24:25], v[2:3], v[24:25], v[26:27]
	s_wait_loadcnt 0x0
	s_delay_alu instid0(VALU_DEP_2) | instskip(NEXT) | instid1(VALU_DEP_2)
	v_add_f64_e64 v[20:21], v[20:21], -v[5:6]
	v_add_f64_e64 v[22:23], v[22:23], -v[24:25]
	scratch_store_b128 off, v[20:23], s39 offset:-8
	s_add_co_i32 s39, s39, 16
	s_wait_alu 0xfffe
	s_cmp_eq_u32 s41, 0
	s_cbranch_scc0 .LBB236_49
; %bb.50:                               ;   in Loop: Header=BB236_48 Depth=4
	s_add_co_i32 s37, s37, 1
	s_addk_co_i32 s38, 0x200
	s_wait_alu 0xfffe
	s_cmp_eq_u32 s37, s3
	s_cbranch_scc0 .LBB236_48
.LBB236_51:                             ;   in Loop: Header=BB236_44 Depth=3
	s_mov_b32 s37, 0
	s_mov_b32 s38, s35
	s_branch .LBB236_53
.LBB236_52:                             ;   in Loop: Header=BB236_53 Depth=4
	s_add_co_i32 s39, s37, s3
	s_add_co_i32 s38, s38, 16
	s_wait_alu 0xfffe
	s_mul_i32 s40, s39, 0x210
	s_wait_alu 0xfffe
	v_mov_b32_e32 v5, s40
	s_lshl_b32 s40, s37, 4
	s_add_co_i32 s37, s37, 1
	s_wait_alu 0xfffe
	s_cmp_eq_u32 s37, s23
	ds_load_b128 v[20:23], v5
	s_wait_loadcnt_dscnt 0x0
	v_mul_f64_e32 v[5:6], v[22:23], v[2:3]
	v_mul_f64_e32 v[2:3], v[20:21], v[2:3]
	s_delay_alu instid0(VALU_DEP_2) | instskip(NEXT) | instid1(VALU_DEP_2)
	v_fma_f64 v[20:21], v[20:21], v[0:1], -v[5:6]
	v_fma_f64 v[22:23], v[22:23], v[0:1], v[2:3]
	v_lshl_add_u32 v0, s39, 9, v14
	scratch_store_b128 off, v[20:23], s40
	ds_store_b128 v0, v[20:23]
	s_cbranch_scc1 .LBB236_43
.LBB236_53:                             ;   Parent Loop BB236_3 Depth=1
                                        ;     Parent Loop BB236_41 Depth=2
                                        ;       Parent Loop BB236_44 Depth=3
                                        ; =>      This Loop Header: Depth=4
                                        ;           Child Loop BB236_55 Depth 5
	s_wait_alu 0xfffe
	s_cmp_lg_u32 s37, 0
	s_cbranch_scc0 .LBB236_57
; %bb.54:                               ;   in Loop: Header=BB236_53 Depth=4
	s_lshl_b32 s39, s37, 4
	s_mov_b32 s40, s30
	scratch_load_b128 v[0:3], off, s39
	s_mov_b32 s41, s38
	s_mov_b32 s42, s37
.LBB236_55:                             ;   Parent Loop BB236_3 Depth=1
                                        ;     Parent Loop BB236_41 Depth=2
                                        ;       Parent Loop BB236_44 Depth=3
                                        ;         Parent Loop BB236_53 Depth=4
                                        ; =>        This Inner Loop Header: Depth=5
	scratch_load_b128 v[20:23], off, s40 offset:-8
	s_wait_alu 0xfffe
	v_mov_b32_e32 v5, s41
	s_add_co_i32 s42, s42, -1
	s_addk_co_i32 s41, 0x200
	s_add_co_i32 s40, s40, 16
	s_wait_alu 0xfffe
	s_cmp_eq_u32 s42, 0
	ds_load_b128 v[24:27], v5
	s_wait_loadcnt_dscnt 0x0
	v_mul_f64_e32 v[5:6], v[26:27], v[22:23]
	v_mul_f64_e32 v[22:23], v[24:25], v[22:23]
	s_delay_alu instid0(VALU_DEP_2) | instskip(NEXT) | instid1(VALU_DEP_2)
	v_fma_f64 v[5:6], v[24:25], v[20:21], -v[5:6]
	v_fma_f64 v[20:21], v[26:27], v[20:21], v[22:23]
	s_delay_alu instid0(VALU_DEP_2) | instskip(NEXT) | instid1(VALU_DEP_2)
	v_add_f64_e64 v[0:1], v[0:1], -v[5:6]
	v_add_f64_e64 v[2:3], v[2:3], -v[20:21]
	scratch_store_b128 off, v[0:3], s39
	s_cbranch_scc0 .LBB236_55
; %bb.56:                               ;   in Loop: Header=BB236_53 Depth=4
	s_branch .LBB236_52
.LBB236_57:                             ;   in Loop: Header=BB236_53 Depth=4
                                        ; implicit-def: $vgpr0_vgpr1
	s_cbranch_execz .LBB236_52
; %bb.58:                               ;   in Loop: Header=BB236_53 Depth=4
	scratch_load_b128 v[0:3], off, off
	s_branch .LBB236_52
.LBB236_59:                             ;   in Loop: Header=BB236_3 Depth=1
	s_wait_storecnt 0x0
	; wave barrier
	s_wait_loadcnt_dscnt 0x0
	global_inv scope:SCOPE_SE
	s_and_saveexec_b32 s3, s29
	s_cbranch_execz .LBB236_2
; %bb.60:                               ;   in Loop: Header=BB236_3 Depth=1
	v_add_co_u32 v0, vcc_lo, v10, s10
	s_wait_alu 0xfffd
	v_add_co_ci_u32_e64 v1, null, s11, v11, vcc_lo
	v_mov_b32_e32 v2, v14
	s_delay_alu instid0(VALU_DEP_3) | instskip(SKIP_1) | instid1(VALU_DEP_3)
	v_add_co_u32 v0, vcc_lo, v0, s16
	s_wait_alu 0xfffd
	v_add_co_ci_u32_e64 v1, null, s17, v1, vcc_lo
	s_mov_b32 s18, s25
	v_add_co_u32 v0, vcc_lo, v0, v8
	s_wait_alu 0xfffd
	v_add_co_ci_u32_e64 v1, null, v1, v9, vcc_lo
.LBB236_61:                             ;   Parent Loop BB236_3 Depth=1
                                        ; =>  This Inner Loop Header: Depth=2
	ds_load_2addr_b64 v[3:6], v2 offset1:1
	v_add_nc_u32_e32 v2, 0x200, v2
	s_add_co_i32 s18, s18, -1
	s_delay_alu instid0(SALU_CYCLE_1)
	s_cmp_lg_u32 s18, 0
	s_wait_dscnt 0x0
	flat_store_b128 v[0:1], v[3:6]
	v_add_co_u32 v0, vcc_lo, v0, 16
	s_wait_alu 0xfffd
	v_add_co_ci_u32_e64 v1, null, 0, v1, vcc_lo
	s_cbranch_scc1 .LBB236_61
	s_branch .LBB236_2
.LBB236_62:
	s_endpgm
	.section	.rodata,"a",@progbits
	.p2align	6, 0x0
	.amdhsa_kernel _ZL38rocblas_trsm_small_left_device_sharedBILi32ELi32ELb1E19rocblas_complex_numIdES1_PKPKS1_PKPS1_Ev13rocblas_fill_18rocblas_operation_17rocblas_diagonal_iiT3_T4_lilT5_lili
		.amdhsa_group_segment_fixed_size 32768
		.amdhsa_private_segment_fixed_size 528
		.amdhsa_kernarg_size 368
		.amdhsa_user_sgpr_count 2
		.amdhsa_user_sgpr_dispatch_ptr 0
		.amdhsa_user_sgpr_queue_ptr 0
		.amdhsa_user_sgpr_kernarg_segment_ptr 1
		.amdhsa_user_sgpr_dispatch_id 0
		.amdhsa_user_sgpr_private_segment_size 0
		.amdhsa_wavefront_size32 1
		.amdhsa_uses_dynamic_stack 0
		.amdhsa_enable_private_segment 1
		.amdhsa_system_sgpr_workgroup_id_x 1
		.amdhsa_system_sgpr_workgroup_id_y 0
		.amdhsa_system_sgpr_workgroup_id_z 1
		.amdhsa_system_sgpr_workgroup_info 0
		.amdhsa_system_vgpr_workitem_id 0
		.amdhsa_next_free_vgpr 241
		.amdhsa_next_free_sgpr 45
		.amdhsa_reserve_vcc 1
		.amdhsa_float_round_mode_32 0
		.amdhsa_float_round_mode_16_64 0
		.amdhsa_float_denorm_mode_32 3
		.amdhsa_float_denorm_mode_16_64 3
		.amdhsa_fp16_overflow 0
		.amdhsa_workgroup_processor_mode 1
		.amdhsa_memory_ordered 1
		.amdhsa_forward_progress 1
		.amdhsa_inst_pref_size 24
		.amdhsa_round_robin_scheduling 0
		.amdhsa_exception_fp_ieee_invalid_op 0
		.amdhsa_exception_fp_denorm_src 0
		.amdhsa_exception_fp_ieee_div_zero 0
		.amdhsa_exception_fp_ieee_overflow 0
		.amdhsa_exception_fp_ieee_underflow 0
		.amdhsa_exception_fp_ieee_inexact 0
		.amdhsa_exception_int_div_zero 0
	.end_amdhsa_kernel
	.section	.text._ZL38rocblas_trsm_small_left_device_sharedBILi32ELi32ELb1E19rocblas_complex_numIdES1_PKPKS1_PKPS1_Ev13rocblas_fill_18rocblas_operation_17rocblas_diagonal_iiT3_T4_lilT5_lili,"axG",@progbits,_ZL38rocblas_trsm_small_left_device_sharedBILi32ELi32ELb1E19rocblas_complex_numIdES1_PKPKS1_PKPS1_Ev13rocblas_fill_18rocblas_operation_17rocblas_diagonal_iiT3_T4_lilT5_lili,comdat
.Lfunc_end236:
	.size	_ZL38rocblas_trsm_small_left_device_sharedBILi32ELi32ELb1E19rocblas_complex_numIdES1_PKPKS1_PKPS1_Ev13rocblas_fill_18rocblas_operation_17rocblas_diagonal_iiT3_T4_lilT5_lili, .Lfunc_end236-_ZL38rocblas_trsm_small_left_device_sharedBILi32ELi32ELb1E19rocblas_complex_numIdES1_PKPKS1_PKPS1_Ev13rocblas_fill_18rocblas_operation_17rocblas_diagonal_iiT3_T4_lilT5_lili
                                        ; -- End function
	.set _ZL38rocblas_trsm_small_left_device_sharedBILi32ELi32ELb1E19rocblas_complex_numIdES1_PKPKS1_PKPS1_Ev13rocblas_fill_18rocblas_operation_17rocblas_diagonal_iiT3_T4_lilT5_lili.num_vgpr, 28
	.set _ZL38rocblas_trsm_small_left_device_sharedBILi32ELi32ELb1E19rocblas_complex_numIdES1_PKPKS1_PKPS1_Ev13rocblas_fill_18rocblas_operation_17rocblas_diagonal_iiT3_T4_lilT5_lili.num_agpr, 0
	.set _ZL38rocblas_trsm_small_left_device_sharedBILi32ELi32ELb1E19rocblas_complex_numIdES1_PKPKS1_PKPS1_Ev13rocblas_fill_18rocblas_operation_17rocblas_diagonal_iiT3_T4_lilT5_lili.numbered_sgpr, 45
	.set _ZL38rocblas_trsm_small_left_device_sharedBILi32ELi32ELb1E19rocblas_complex_numIdES1_PKPKS1_PKPS1_Ev13rocblas_fill_18rocblas_operation_17rocblas_diagonal_iiT3_T4_lilT5_lili.num_named_barrier, 0
	.set _ZL38rocblas_trsm_small_left_device_sharedBILi32ELi32ELb1E19rocblas_complex_numIdES1_PKPKS1_PKPS1_Ev13rocblas_fill_18rocblas_operation_17rocblas_diagonal_iiT3_T4_lilT5_lili.private_seg_size, 528
	.set _ZL38rocblas_trsm_small_left_device_sharedBILi32ELi32ELb1E19rocblas_complex_numIdES1_PKPKS1_PKPS1_Ev13rocblas_fill_18rocblas_operation_17rocblas_diagonal_iiT3_T4_lilT5_lili.uses_vcc, 1
	.set _ZL38rocblas_trsm_small_left_device_sharedBILi32ELi32ELb1E19rocblas_complex_numIdES1_PKPKS1_PKPS1_Ev13rocblas_fill_18rocblas_operation_17rocblas_diagonal_iiT3_T4_lilT5_lili.uses_flat_scratch, 0
	.set _ZL38rocblas_trsm_small_left_device_sharedBILi32ELi32ELb1E19rocblas_complex_numIdES1_PKPKS1_PKPS1_Ev13rocblas_fill_18rocblas_operation_17rocblas_diagonal_iiT3_T4_lilT5_lili.has_dyn_sized_stack, 0
	.set _ZL38rocblas_trsm_small_left_device_sharedBILi32ELi32ELb1E19rocblas_complex_numIdES1_PKPKS1_PKPS1_Ev13rocblas_fill_18rocblas_operation_17rocblas_diagonal_iiT3_T4_lilT5_lili.has_recursion, 0
	.set _ZL38rocblas_trsm_small_left_device_sharedBILi32ELi32ELb1E19rocblas_complex_numIdES1_PKPKS1_PKPS1_Ev13rocblas_fill_18rocblas_operation_17rocblas_diagonal_iiT3_T4_lilT5_lili.has_indirect_call, 0
	.section	.AMDGPU.csdata,"",@progbits
; Kernel info:
; codeLenInByte = 3032
; TotalNumSgprs: 47
; NumVgprs: 28
; ScratchSize: 528
; MemoryBound: 0
; FloatMode: 240
; IeeeMode: 1
; LDSByteSize: 32768 bytes/workgroup (compile time only)
; SGPRBlocks: 0
; VGPRBlocks: 30
; NumSGPRsForWavesPerEU: 47
; NumVGPRsForWavesPerEU: 241
; Occupancy: 1
; WaveLimiterHint : 0
; COMPUTE_PGM_RSRC2:SCRATCH_EN: 1
; COMPUTE_PGM_RSRC2:USER_SGPR: 2
; COMPUTE_PGM_RSRC2:TRAP_HANDLER: 0
; COMPUTE_PGM_RSRC2:TGID_X_EN: 1
; COMPUTE_PGM_RSRC2:TGID_Y_EN: 0
; COMPUTE_PGM_RSRC2:TGID_Z_EN: 1
; COMPUTE_PGM_RSRC2:TIDIG_COMP_CNT: 0
	.section	.text._ZL30rocblas_trsm_small_left_deviceILi32ELi32ELb1E19rocblas_complex_numIdES1_PKPKS1_PKPS1_Ev13rocblas_fill_18rocblas_operation_17rocblas_diagonal_iiT3_T4_lilT5_lili,"axG",@progbits,_ZL30rocblas_trsm_small_left_deviceILi32ELi32ELb1E19rocblas_complex_numIdES1_PKPKS1_PKPS1_Ev13rocblas_fill_18rocblas_operation_17rocblas_diagonal_iiT3_T4_lilT5_lili,comdat
	.globl	_ZL30rocblas_trsm_small_left_deviceILi32ELi32ELb1E19rocblas_complex_numIdES1_PKPKS1_PKPS1_Ev13rocblas_fill_18rocblas_operation_17rocblas_diagonal_iiT3_T4_lilT5_lili ; -- Begin function _ZL30rocblas_trsm_small_left_deviceILi32ELi32ELb1E19rocblas_complex_numIdES1_PKPKS1_PKPS1_Ev13rocblas_fill_18rocblas_operation_17rocblas_diagonal_iiT3_T4_lilT5_lili
	.p2align	8
	.type	_ZL30rocblas_trsm_small_left_deviceILi32ELi32ELb1E19rocblas_complex_numIdES1_PKPKS1_PKPS1_Ev13rocblas_fill_18rocblas_operation_17rocblas_diagonal_iiT3_T4_lilT5_lili,@function
_ZL30rocblas_trsm_small_left_deviceILi32ELi32ELb1E19rocblas_complex_numIdES1_PKPKS1_PKPS1_Ev13rocblas_fill_18rocblas_operation_17rocblas_diagonal_iiT3_T4_lilT5_lili: ; @_ZL30rocblas_trsm_small_left_deviceILi32ELi32ELb1E19rocblas_complex_numIdES1_PKPKS1_PKPS1_Ev13rocblas_fill_18rocblas_operation_17rocblas_diagonal_iiT3_T4_lilT5_lili
; %bb.0:
	s_load_b32 s3, s[0:1], 0x68
	s_lshr_b32 s20, ttmp7, 16
	s_wait_kmcnt 0x0
	s_cmp_ge_u32 s20, s3
	s_cbranch_scc1 .LBB237_59
; %bb.1:
	s_clause 0x4
	s_load_b32 s22, s[0:1], 0x38
	s_load_b128 s[16:19], s[0:1], 0x4
	s_load_b32 s2, s[0:1], 0x70
	s_load_b128 s[12:15], s[0:1], 0x48
	s_load_b32 s21, s[0:1], 0x58
	v_dual_mov_b32 v13, 0 :: v_dual_lshlrev_b32 v12, 4, v0
	v_lshlrev_b32_e32 v1, 9, v0
	s_load_b256 s[4:11], s[0:1], 0x18
	s_mov_b32 s35, 0
                                        ; implicit-def: $sgpr36
                                        ; implicit-def: $sgpr37
	s_delay_alu instid0(VALU_DEP_1)
	v_add_nc_u32_e32 v14, v12, v1
	s_wait_kmcnt 0x0
	s_ashr_i32 s23, s22, 31
	s_cmp_eq_u32 s16, 0x71
	s_cselect_b32 s0, -1, 0
	s_lshl_b32 s1, ttmp9, 5
	s_min_i32 s28, s18, 32
	v_or_b32_e32 v1, s1, v0
	s_add_co_i32 s2, s2, -1
	s_add_co_i32 s29, s28, -1
	s_sub_co_i32 s18, s19, s1
	s_cmp_ge_u32 ttmp9, s2
	v_mad_co_i64_i32 v[1:2], null, s21, v1, 0
	s_cselect_b32 s2, s18, 32
	s_cmp_lg_u32 s17, 0x84
	v_cmp_gt_i32_e64 s1, s28, v0
	s_cselect_b32 s30, -1, 0
	s_cmp_lg_u32 s16, 0x6f
	v_cmp_gt_i32_e64 s2, s2, v0
	v_lshlrev_b64_e32 v[8:9], 4, v[1:2]
	s_cselect_b32 s31, -1, 0
	s_lshl_b64 s[16:17], s[10:11], 4
	s_lshl_b64 s[14:15], s[14:15], 4
	v_add_co_u32 v0, s16, s16, v12
	s_delay_alu instid0(VALU_DEP_2) | instskip(SKIP_2) | instid1(VALU_DEP_3)
	v_add_co_u32 v1, vcc_lo, v8, s14
	s_wait_alu 0xf1ff
	v_add_co_ci_u32_e64 v15, null, s17, 0, s16
	v_or_b32_e32 v16, 8, v0
	v_add_co_ci_u32_e64 v17, null, s15, v9, vcc_lo
	v_or_b32_e32 v18, 8, v1
	s_lshl_b32 s34, s28, 4
	s_or_b32 s33, 0, 8
	s_lshl_b64 s[10:11], s[22:23], 4
	s_add_co_i32 s34, s34, -16
	s_mov_b32 s17, 0
	s_branch .LBB237_4
.LBB237_2:                              ;   in Loop: Header=BB237_4 Depth=1
	s_add_co_i32 s20, s20, 0x10000
	s_wait_alu 0xfffe
	s_cmp_ge_u32 s20, s3
	s_cselect_b32 s16, -1, 0
	s_and_not1_b32 s37, s37, exec_lo
	s_wait_alu 0xfffe
	s_or_not1_b32 s16, s16, exec_lo
.LBB237_3:                              ;   in Loop: Header=BB237_4 Depth=1
	s_wait_alu 0xfffe
	s_or_b32 exec_lo, exec_lo, s21
	s_delay_alu instid0(SALU_CYCLE_1)
	s_and_b32 s16, exec_lo, s16
	s_wait_alu 0xfffe
	s_or_b32 s35, s16, s35
	s_and_not1_b32 s16, s36, exec_lo
	s_and_b32 s18, s37, exec_lo
	s_wait_alu 0xfffe
	s_or_b32 s36, s16, s18
	s_and_not1_b32 exec_lo, exec_lo, s35
	s_cbranch_execz .LBB237_58
.LBB237_4:                              ; =>This Loop Header: Depth=1
                                        ;     Child Loop BB237_6 Depth 2
                                        ;     Child Loop BB237_19 Depth 2
                                        ;       Child Loop BB237_22 Depth 3
                                        ;         Child Loop BB237_23 Depth 4
                                        ;         Child Loop BB237_25 Depth 4
                                        ;           Child Loop BB237_26 Depth 5
                                        ;         Child Loop BB237_30 Depth 4
                                        ;           Child Loop BB237_32 Depth 5
                                        ;     Child Loop BB237_40 Depth 2
                                        ;       Child Loop BB237_43 Depth 3
                                        ;         Child Loop BB237_44 Depth 4
                                        ;         Child Loop BB237_47 Depth 4
                                        ;           Child Loop BB237_48 Depth 5
                                        ;         Child Loop BB237_52 Depth 4
                                        ;           Child Loop BB237_54 Depth 5
	s_wait_alu 0xfffe
	s_mov_b32 s21, s17
	s_wait_alu 0xfffe
	s_lshl_b64 s[18:19], s[20:21], 3
	s_delay_alu instid0(SALU_CYCLE_1)
	s_add_nc_u64 s[22:23], s[12:13], s[18:19]
	global_load_b64 v[10:11], v13, s[22:23]
	s_and_saveexec_b32 s16, s1
	s_cbranch_execz .LBB237_15
; %bb.5:                                ;   in Loop: Header=BB237_4 Depth=1
	s_add_nc_u64 s[18:19], s[8:9], s[18:19]
	v_mov_b32_e32 v2, v12
	global_load_b64 v[0:1], v13, s[18:19]
	s_mov_b32 s18, s28
	s_wait_loadcnt 0x0
	v_add_co_u32 v0, vcc_lo, v0, v16
	s_wait_alu 0xfffd
	v_add_co_ci_u32_e64 v1, null, v1, v15, vcc_lo
.LBB237_6:                              ;   Parent Loop BB237_4 Depth=1
                                        ; =>  This Inner Loop Header: Depth=2
	flat_load_b128 v[3:6], v[0:1] offset:-8
	v_add_co_u32 v0, vcc_lo, v0, s10
	s_wait_alu 0xfffd
	v_add_co_ci_u32_e64 v1, null, s11, v1, vcc_lo
	s_add_co_i32 s18, s18, -1
	s_delay_alu instid0(SALU_CYCLE_1) | instskip(SKIP_2) | instid1(VALU_DEP_1)
	s_cmp_eq_u32 s18, 0
	s_wait_loadcnt_dscnt 0x0
	v_xor_b32_e32 v7, 0x80000000, v6
	v_cndmask_b32_e64 v6, v6, v7, s0
	ds_store_b128 v2, v[3:6]
	v_add_nc_u32_e32 v2, 0x200, v2
	s_cbranch_scc0 .LBB237_6
; %bb.7:                                ;   in Loop: Header=BB237_4 Depth=1
	s_and_b32 vcc_lo, exec_lo, s30
	s_wait_alu 0xfffe
	s_cbranch_vccz .LBB237_13
; %bb.8:                                ;   in Loop: Header=BB237_4 Depth=1
	ds_load_b128 v[0:3], v14
                                        ; implicit-def: $vgpr6_vgpr7
	s_wait_dscnt 0x0
	v_cmp_ngt_f64_e64 s18, |v[0:1]|, |v[2:3]|
	s_and_saveexec_b32 s19, s18
	s_delay_alu instid0(SALU_CYCLE_1)
	s_xor_b32 s18, exec_lo, s19
	s_cbranch_execz .LBB237_10
; %bb.9:                                ;   in Loop: Header=BB237_4 Depth=1
	v_div_scale_f64 v[4:5], null, v[2:3], v[2:3], v[0:1]
	v_div_scale_f64 v[21:22], vcc_lo, v[0:1], v[2:3], v[0:1]
	s_delay_alu instid0(VALU_DEP_2) | instskip(NEXT) | instid1(TRANS32_DEP_1)
	v_rcp_f64_e32 v[6:7], v[4:5]
	v_fma_f64 v[19:20], -v[4:5], v[6:7], 1.0
	s_delay_alu instid0(VALU_DEP_1) | instskip(NEXT) | instid1(VALU_DEP_1)
	v_fma_f64 v[6:7], v[6:7], v[19:20], v[6:7]
	v_fma_f64 v[19:20], -v[4:5], v[6:7], 1.0
	s_delay_alu instid0(VALU_DEP_1) | instskip(NEXT) | instid1(VALU_DEP_1)
	v_fma_f64 v[6:7], v[6:7], v[19:20], v[6:7]
	v_mul_f64_e32 v[19:20], v[21:22], v[6:7]
	s_delay_alu instid0(VALU_DEP_1) | instskip(SKIP_1) | instid1(VALU_DEP_1)
	v_fma_f64 v[4:5], -v[4:5], v[19:20], v[21:22]
	s_wait_alu 0xfffd
	v_div_fmas_f64 v[4:5], v[4:5], v[6:7], v[19:20]
	s_delay_alu instid0(VALU_DEP_1) | instskip(NEXT) | instid1(VALU_DEP_1)
	v_div_fixup_f64 v[4:5], v[4:5], v[2:3], v[0:1]
	v_fma_f64 v[0:1], v[0:1], v[4:5], v[2:3]
	s_delay_alu instid0(VALU_DEP_1) | instskip(SKIP_1) | instid1(VALU_DEP_2)
	v_div_scale_f64 v[2:3], null, v[0:1], v[0:1], 1.0
	v_div_scale_f64 v[21:22], vcc_lo, 1.0, v[0:1], 1.0
	v_rcp_f64_e32 v[6:7], v[2:3]
	s_delay_alu instid0(TRANS32_DEP_1) | instskip(NEXT) | instid1(VALU_DEP_1)
	v_fma_f64 v[19:20], -v[2:3], v[6:7], 1.0
	v_fma_f64 v[6:7], v[6:7], v[19:20], v[6:7]
	s_delay_alu instid0(VALU_DEP_1) | instskip(NEXT) | instid1(VALU_DEP_1)
	v_fma_f64 v[19:20], -v[2:3], v[6:7], 1.0
	v_fma_f64 v[6:7], v[6:7], v[19:20], v[6:7]
	s_delay_alu instid0(VALU_DEP_1) | instskip(NEXT) | instid1(VALU_DEP_1)
	v_mul_f64_e32 v[19:20], v[21:22], v[6:7]
	v_fma_f64 v[2:3], -v[2:3], v[19:20], v[21:22]
	s_wait_alu 0xfffd
	s_delay_alu instid0(VALU_DEP_1) | instskip(SKIP_1) | instid1(VALU_DEP_2)
	v_div_fmas_f64 v[2:3], v[2:3], v[6:7], v[19:20]
	v_add_f64_e32 v[6:7], 0, v[4:5]
	v_div_fixup_f64 v[0:1], v[2:3], v[0:1], 1.0
	v_fma_f64 v[2:3], v[4:5], 0, -1.0
	s_delay_alu instid0(VALU_DEP_2) | instskip(NEXT) | instid1(VALU_DEP_2)
	v_mul_f64_e32 v[4:5], v[6:7], v[0:1]
	v_mul_f64_e32 v[6:7], v[2:3], v[0:1]
                                        ; implicit-def: $vgpr0_vgpr1
.LBB237_10:                             ;   in Loop: Header=BB237_4 Depth=1
	s_and_not1_saveexec_b32 s18, s18
	s_cbranch_execz .LBB237_12
; %bb.11:                               ;   in Loop: Header=BB237_4 Depth=1
	v_div_scale_f64 v[4:5], null, v[0:1], v[0:1], v[2:3]
	v_div_scale_f64 v[21:22], vcc_lo, v[2:3], v[0:1], v[2:3]
	s_delay_alu instid0(VALU_DEP_2) | instskip(NEXT) | instid1(TRANS32_DEP_1)
	v_rcp_f64_e32 v[6:7], v[4:5]
	v_fma_f64 v[19:20], -v[4:5], v[6:7], 1.0
	s_delay_alu instid0(VALU_DEP_1) | instskip(NEXT) | instid1(VALU_DEP_1)
	v_fma_f64 v[6:7], v[6:7], v[19:20], v[6:7]
	v_fma_f64 v[19:20], -v[4:5], v[6:7], 1.0
	s_delay_alu instid0(VALU_DEP_1) | instskip(NEXT) | instid1(VALU_DEP_1)
	v_fma_f64 v[6:7], v[6:7], v[19:20], v[6:7]
	v_mul_f64_e32 v[19:20], v[21:22], v[6:7]
	s_delay_alu instid0(VALU_DEP_1) | instskip(SKIP_1) | instid1(VALU_DEP_1)
	v_fma_f64 v[4:5], -v[4:5], v[19:20], v[21:22]
	s_wait_alu 0xfffd
	v_div_fmas_f64 v[4:5], v[4:5], v[6:7], v[19:20]
	s_delay_alu instid0(VALU_DEP_1) | instskip(NEXT) | instid1(VALU_DEP_1)
	v_div_fixup_f64 v[4:5], v[4:5], v[0:1], v[2:3]
	v_fma_f64 v[0:1], v[2:3], v[4:5], v[0:1]
	s_delay_alu instid0(VALU_DEP_1) | instskip(SKIP_1) | instid1(VALU_DEP_2)
	v_div_scale_f64 v[2:3], null, v[0:1], v[0:1], 1.0
	v_div_scale_f64 v[21:22], vcc_lo, 1.0, v[0:1], 1.0
	v_rcp_f64_e32 v[6:7], v[2:3]
	s_delay_alu instid0(TRANS32_DEP_1) | instskip(NEXT) | instid1(VALU_DEP_1)
	v_fma_f64 v[19:20], -v[2:3], v[6:7], 1.0
	v_fma_f64 v[6:7], v[6:7], v[19:20], v[6:7]
	s_delay_alu instid0(VALU_DEP_1) | instskip(NEXT) | instid1(VALU_DEP_1)
	v_fma_f64 v[19:20], -v[2:3], v[6:7], 1.0
	v_fma_f64 v[6:7], v[6:7], v[19:20], v[6:7]
	s_delay_alu instid0(VALU_DEP_1) | instskip(NEXT) | instid1(VALU_DEP_1)
	v_mul_f64_e32 v[19:20], v[21:22], v[6:7]
	v_fma_f64 v[2:3], -v[2:3], v[19:20], v[21:22]
	s_wait_alu 0xfffd
	s_delay_alu instid0(VALU_DEP_1) | instskip(SKIP_1) | instid1(VALU_DEP_2)
	v_div_fmas_f64 v[2:3], v[2:3], v[6:7], v[19:20]
	v_fma_f64 v[6:7], v[4:5], 0, 1.0
	v_div_fixup_f64 v[0:1], v[2:3], v[0:1], 1.0
	v_add_f64_e64 v[2:3], -v[4:5], 0
	s_delay_alu instid0(VALU_DEP_2) | instskip(NEXT) | instid1(VALU_DEP_2)
	v_mul_f64_e32 v[4:5], v[6:7], v[0:1]
	v_mul_f64_e32 v[6:7], v[2:3], v[0:1]
.LBB237_12:                             ;   in Loop: Header=BB237_4 Depth=1
	s_or_b32 exec_lo, exec_lo, s18
	s_branch .LBB237_14
.LBB237_13:                             ;   in Loop: Header=BB237_4 Depth=1
	v_mov_b32_e32 v6, 0
	v_dual_mov_b32 v7, 0 :: v_dual_mov_b32 v4, 0
	v_mov_b32_e32 v5, 0x3ff00000
.LBB237_14:                             ;   in Loop: Header=BB237_4 Depth=1
	ds_store_b128 v14, v[4:7]
.LBB237_15:                             ;   in Loop: Header=BB237_4 Depth=1
	s_wait_alu 0xfffe
	s_or_b32 exec_lo, exec_lo, s16
	s_mov_b32 s16, -1
	s_or_b32 s37, s37, exec_lo
	; wave barrier
	s_wait_loadcnt_dscnt 0x0
	global_inv scope:SCOPE_SE
	s_and_saveexec_b32 s21, s2
	s_cbranch_execz .LBB237_3
; %bb.16:                               ;   in Loop: Header=BB237_4 Depth=1
	v_add_co_u32 v0, vcc_lo, v10, s14
	s_wait_alu 0xfffd
	v_add_co_ci_u32_e64 v1, null, s15, v11, vcc_lo
	s_delay_alu instid0(VALU_DEP_2) | instskip(SKIP_1) | instid1(VALU_DEP_2)
	v_add_co_u32 v6, vcc_lo, v0, v8
	s_wait_alu 0xfffd
	v_add_co_ci_u32_e64 v7, null, v1, v9, vcc_lo
	s_and_not1_b32 vcc_lo, exec_lo, s31
	s_wait_alu 0xfffe
	s_cbranch_vccnz .LBB237_37
; %bb.17:                               ;   in Loop: Header=BB237_4 Depth=1
	v_add_co_u32 v4, vcc_lo, v10, v18
	s_wait_alu 0xfffd
	v_add_co_ci_u32_e64 v5, null, v11, v17, vcc_lo
	s_mov_b32 s16, 0
	s_mov_b32 s18, s29
	s_branch .LBB237_19
.LBB237_18:                             ;   in Loop: Header=BB237_19 Depth=2
	s_cmp_gt_i32 s18, -1
	s_cselect_b32 s19, -1, 0
	s_add_co_i32 s22, s16, 1
	s_cmp_lt_u32 s16, 2
	s_cselect_b32 s16, -1, 0
	s_wait_alu 0xfffe
	s_and_b32 s16, s19, s16
	s_wait_alu 0xfffe
	s_and_b32 vcc_lo, exec_lo, s16
	s_mov_b32 s16, s22
	s_wait_alu 0xfffe
	s_cbranch_vccz .LBB237_36
.LBB237_19:                             ;   Parent Loop BB237_4 Depth=1
                                        ; =>  This Loop Header: Depth=2
                                        ;       Child Loop BB237_22 Depth 3
                                        ;         Child Loop BB237_23 Depth 4
                                        ;         Child Loop BB237_25 Depth 4
                                        ;           Child Loop BB237_26 Depth 5
                                        ;         Child Loop BB237_30 Depth 4
                                        ;           Child Loop BB237_32 Depth 5
	s_getpc_b64 s[22:23]
	s_wait_alu 0xfffe
	s_sext_i32_i16 s23, s23
	s_add_co_u32 s22, s22, __const._ZL30rocblas_trsm_small_left_deviceILi32ELi32ELb1E19rocblas_complex_numIdES1_PKPKS1_PKPS1_Ev13rocblas_fill_18rocblas_operation_17rocblas_diagonal_iiT3_T4_lilT5_lili.step_sizes@rel32@lo+12
	s_wait_alu 0xfffe
	s_add_co_ci_u32 s23, s23, __const._ZL30rocblas_trsm_small_left_deviceILi32ELi32ELb1E19rocblas_complex_numIdES1_PKPKS1_PKPS1_Ev13rocblas_fill_18rocblas_operation_17rocblas_diagonal_iiT3_T4_lilT5_lili.step_sizes@rel32@hi+24
	s_lshl_b64 s[24:25], s[16:17], 2
	s_wait_alu 0xfffe
	s_add_nc_u64 s[22:23], s[22:23], s[24:25]
	s_load_b32 s26, s[22:23], 0x0
	s_wait_kmcnt 0x0
	s_add_co_i32 s27, s26, -1
	s_wait_alu 0xfffe
	s_cmp_lt_i32 s18, s27
	s_cbranch_scc1 .LBB237_18
; %bb.20:                               ;   in Loop: Header=BB237_19 Depth=2
	s_lshl_b32 s19, s18, 9
	s_lshl_b32 s22, s26, 9
	s_max_i32 s38, s26, 1
	s_add_co_i32 s39, s34, s19
	s_wait_alu 0xfffe
	s_sub_co_i32 s40, 0, s22
	s_mul_i32 s41, s18, 0x210
	s_mul_i32 s42, s26, 0xfffffdf0
	s_branch .LBB237_22
.LBB237_21:                             ;   in Loop: Header=BB237_22 Depth=3
	s_sub_co_i32 s18, s18, s26
	s_add_co_i32 s39, s39, s40
	s_add_co_i32 s41, s41, s42
	s_cmp_lt_i32 s18, s27
	s_cbranch_scc1 .LBB237_18
.LBB237_22:                             ;   Parent Loop BB237_4 Depth=1
                                        ;     Parent Loop BB237_19 Depth=2
                                        ; =>    This Loop Header: Depth=3
                                        ;         Child Loop BB237_23 Depth 4
                                        ;         Child Loop BB237_25 Depth 4
                                        ;           Child Loop BB237_26 Depth 5
                                        ;         Child Loop BB237_30 Depth 4
                                        ;           Child Loop BB237_32 Depth 5
	s_ashr_i32 s19, s18, 31
	s_delay_alu instid0(SALU_CYCLE_1)
	s_lshl_b64 s[22:23], s[18:19], 4
	s_wait_alu 0xfffe
	v_add_co_u32 v0, vcc_lo, v4, s22
	s_wait_alu 0xfffd
	v_add_co_ci_u32_e64 v1, null, s23, v5, vcc_lo
	s_mov_b32 s22, 8
	s_mov_b32 s23, s38
.LBB237_23:                             ;   Parent Loop BB237_4 Depth=1
                                        ;     Parent Loop BB237_19 Depth=2
                                        ;       Parent Loop BB237_22 Depth=3
                                        ; =>      This Inner Loop Header: Depth=4
	flat_load_b128 v[19:22], v[0:1] offset:-8
	v_add_co_u32 v0, vcc_lo, v0, -16
	s_wait_alu 0xfffd
	v_add_co_ci_u32_e64 v1, null, -1, v1, vcc_lo
	s_wait_alu 0xfffe
	s_add_co_i32 s23, s23, -1
	s_mov_b32 s24, s22
	s_add_co_i32 s22, s22, 16
	s_wait_alu 0xfffe
	s_cmp_eq_u32 s23, 0
	s_wait_loadcnt_dscnt 0x0
	v_mul_f64_e32 v[2:3], s[6:7], v[21:22]
	v_mul_f64_e32 v[23:24], s[4:5], v[21:22]
	s_delay_alu instid0(VALU_DEP_2) | instskip(NEXT) | instid1(VALU_DEP_2)
	v_fma_f64 v[21:22], s[4:5], v[19:20], -v[2:3]
	v_fma_f64 v[23:24], s[6:7], v[19:20], v[23:24]
	scratch_store_b128 off, v[21:24], s24 offset:-8
	s_cbranch_scc0 .LBB237_23
; %bb.24:                               ;   in Loop: Header=BB237_22 Depth=3
	s_cmp_le_i32 s29, s18
	s_mov_b32 s24, s39
	s_mov_b32 s22, s29
	s_cbranch_scc1 .LBB237_28
.LBB237_25:                             ;   Parent Loop BB237_4 Depth=1
                                        ;     Parent Loop BB237_19 Depth=2
                                        ;       Parent Loop BB237_22 Depth=3
                                        ; =>      This Loop Header: Depth=4
                                        ;           Child Loop BB237_26 Depth 5
	s_wait_alu 0xfffe
	s_ashr_i32 s23, s22, 31
	s_mov_b32 s25, s24
	s_wait_alu 0xfffe
	s_lshl_b64 s[44:45], s[22:23], 4
	s_mov_b32 s23, s33
	s_wait_alu 0xfffe
	v_add_co_u32 v0, vcc_lo, v6, s44
	s_wait_alu 0xfffd
	v_add_co_ci_u32_e64 v1, null, s45, v7, vcc_lo
	s_mov_b32 s43, s38
	flat_load_b128 v[0:3], v[0:1]
.LBB237_26:                             ;   Parent Loop BB237_4 Depth=1
                                        ;     Parent Loop BB237_19 Depth=2
                                        ;       Parent Loop BB237_22 Depth=3
                                        ;         Parent Loop BB237_25 Depth=4
                                        ; =>        This Inner Loop Header: Depth=5
	scratch_load_b128 v[19:22], off, s23 offset:-8
	v_mov_b32_e32 v23, s25
	s_wait_alu 0xfffe
	s_add_co_i32 s43, s43, -1
	s_addk_co_i32 s25, 0xfe00
	ds_load_b128 v[23:26], v23
	s_wait_loadcnt_dscnt 0x100
	v_mul_f64_e32 v[27:28], v[2:3], v[25:26]
	v_mul_f64_e32 v[25:26], v[0:1], v[25:26]
	s_delay_alu instid0(VALU_DEP_2) | instskip(NEXT) | instid1(VALU_DEP_2)
	v_fma_f64 v[27:28], v[0:1], v[23:24], -v[27:28]
	v_fma_f64 v[23:24], v[2:3], v[23:24], v[25:26]
	s_wait_loadcnt 0x0
	s_delay_alu instid0(VALU_DEP_2) | instskip(NEXT) | instid1(VALU_DEP_2)
	v_add_f64_e64 v[19:20], v[19:20], -v[27:28]
	v_add_f64_e64 v[21:22], v[21:22], -v[23:24]
	scratch_store_b128 off, v[19:22], s23 offset:-8
	s_add_co_i32 s23, s23, 16
	s_wait_alu 0xfffe
	s_cmp_eq_u32 s43, 0
	s_cbranch_scc0 .LBB237_26
; %bb.27:                               ;   in Loop: Header=BB237_25 Depth=4
	s_add_co_i32 s22, s22, -1
	s_add_co_i32 s24, s24, -16
	s_wait_alu 0xfffe
	s_cmp_le_i32 s22, s18
	s_cbranch_scc0 .LBB237_25
.LBB237_28:                             ;   in Loop: Header=BB237_22 Depth=3
	s_mov_b32 s43, 0
	s_mov_b32 s44, s41
	s_branch .LBB237_30
.LBB237_29:                             ;   in Loop: Header=BB237_30 Depth=4
	s_wait_alu 0xfffe
	s_mulk_i32 s24, 0x210
	s_lshl_b64 s[22:23], s[22:23], 4
	s_wait_alu 0xfffe
	v_mov_b32_e32 v19, s24
	s_lshl_b32 s24, s43, 4
	s_add_co_i32 s43, s43, 1
	s_addk_co_i32 s44, 0xfe00
	s_wait_alu 0xfffe
	s_cmp_eq_u32 s43, s38
	ds_load_b128 v[19:22], v19
	s_wait_loadcnt_dscnt 0x0
	v_mul_f64_e32 v[23:24], v[21:22], v[2:3]
	v_mul_f64_e32 v[2:3], v[19:20], v[2:3]
	s_delay_alu instid0(VALU_DEP_2) | instskip(NEXT) | instid1(VALU_DEP_2)
	v_fma_f64 v[19:20], v[19:20], v[0:1], -v[23:24]
	v_fma_f64 v[21:22], v[21:22], v[0:1], v[2:3]
	v_add_co_u32 v0, vcc_lo, v6, s22
	s_wait_alu 0xfffd
	v_add_co_ci_u32_e64 v1, null, s23, v7, vcc_lo
	scratch_store_b128 off, v[19:22], s24
	flat_store_b128 v[0:1], v[19:22]
	s_cbranch_scc1 .LBB237_21
.LBB237_30:                             ;   Parent Loop BB237_4 Depth=1
                                        ;     Parent Loop BB237_19 Depth=2
                                        ;       Parent Loop BB237_22 Depth=3
                                        ; =>      This Loop Header: Depth=4
                                        ;           Child Loop BB237_32 Depth 5
	s_wait_alu 0xfffe
	s_cmp_lg_u32 s43, 0
	s_cbranch_scc0 .LBB237_34
; %bb.31:                               ;   in Loop: Header=BB237_30 Depth=4
	s_lshl_b32 s22, s43, 4
	s_mov_b32 s23, s33
	scratch_load_b128 v[0:3], off, s22
	s_mov_b32 s24, s44
	s_mov_b32 s25, s43
.LBB237_32:                             ;   Parent Loop BB237_4 Depth=1
                                        ;     Parent Loop BB237_19 Depth=2
                                        ;       Parent Loop BB237_22 Depth=3
                                        ;         Parent Loop BB237_30 Depth=4
                                        ; =>        This Inner Loop Header: Depth=5
	scratch_load_b128 v[19:22], off, s23 offset:-8
	s_wait_alu 0xfffe
	v_mov_b32_e32 v23, s24
	s_add_co_i32 s25, s25, -1
	s_add_co_i32 s24, s24, -16
	s_add_co_i32 s23, s23, 16
	s_wait_alu 0xfffe
	s_cmp_eq_u32 s25, 0
	ds_load_b128 v[23:26], v23
	s_wait_loadcnt_dscnt 0x0
	v_mul_f64_e32 v[27:28], v[25:26], v[21:22]
	v_mul_f64_e32 v[21:22], v[23:24], v[21:22]
	s_delay_alu instid0(VALU_DEP_2) | instskip(NEXT) | instid1(VALU_DEP_2)
	v_fma_f64 v[23:24], v[23:24], v[19:20], -v[27:28]
	v_fma_f64 v[19:20], v[25:26], v[19:20], v[21:22]
	s_delay_alu instid0(VALU_DEP_2) | instskip(NEXT) | instid1(VALU_DEP_2)
	v_add_f64_e64 v[0:1], v[0:1], -v[23:24]
	v_add_f64_e64 v[2:3], v[2:3], -v[19:20]
	scratch_store_b128 off, v[0:3], s22
	s_cbranch_scc0 .LBB237_32
; %bb.33:                               ;   in Loop: Header=BB237_30 Depth=4
	s_sub_co_i32 s24, s18, s43
	s_wait_alu 0xfffe
	s_ashr_i32 s25, s24, 31
	s_wait_alu 0xfffe
	s_mov_b64 s[22:23], s[24:25]
	s_branch .LBB237_29
.LBB237_34:                             ;   in Loop: Header=BB237_30 Depth=4
                                        ; implicit-def: $vgpr0_vgpr1
                                        ; implicit-def: $sgpr24
                                        ; implicit-def: $sgpr22_sgpr23
	s_cbranch_execz .LBB237_29
; %bb.35:                               ;   in Loop: Header=BB237_30 Depth=4
	scratch_load_b128 v[0:3], off, off
	s_mov_b64 s[22:23], s[18:19]
	s_mov_b32 s24, s18
	s_branch .LBB237_29
.LBB237_36:                             ;   in Loop: Header=BB237_4 Depth=1
	s_mov_b32 s16, 0
.LBB237_37:                             ;   in Loop: Header=BB237_4 Depth=1
	s_wait_alu 0xfffe
	s_and_b32 vcc_lo, exec_lo, s16
	s_wait_alu 0xfffe
	s_cbranch_vccz .LBB237_2
; %bb.38:                               ;   in Loop: Header=BB237_4 Depth=1
	v_add_co_u32 v10, vcc_lo, v10, v18
	s_wait_alu 0xfffd
	v_add_co_ci_u32_e64 v11, null, v11, v17, vcc_lo
	s_mov_b32 s18, 0
	s_mov_b32 s22, 0
	s_branch .LBB237_40
.LBB237_39:                             ;   in Loop: Header=BB237_40 Depth=2
	s_cmp_lt_i32 s18, s28
	s_cselect_b32 s16, -1, 0
	s_add_co_i32 s19, s22, 1
	s_cmp_lt_u32 s22, 2
	s_cselect_b32 s22, -1, 0
	s_wait_alu 0xfffe
	s_and_b32 s16, s16, s22
	s_mov_b32 s22, s19
	s_wait_alu 0xfffe
	s_and_not1_b32 vcc_lo, exec_lo, s16
	s_wait_alu 0xfffe
	s_cbranch_vccnz .LBB237_2
.LBB237_40:                             ;   Parent Loop BB237_4 Depth=1
                                        ; =>  This Loop Header: Depth=2
                                        ;       Child Loop BB237_43 Depth 3
                                        ;         Child Loop BB237_44 Depth 4
                                        ;         Child Loop BB237_47 Depth 4
                                        ;           Child Loop BB237_48 Depth 5
                                        ;         Child Loop BB237_52 Depth 4
                                        ;           Child Loop BB237_54 Depth 5
	s_mov_b32 s23, s17
	s_getpc_b64 s[24:25]
	s_wait_alu 0xfffe
	s_sext_i32_i16 s25, s25
	s_add_co_u32 s24, s24, __const._ZL30rocblas_trsm_small_left_deviceILi32ELi32ELb1E19rocblas_complex_numIdES1_PKPKS1_PKPS1_Ev13rocblas_fill_18rocblas_operation_17rocblas_diagonal_iiT3_T4_lilT5_lili.step_sizes@rel32@lo+12
	s_wait_alu 0xfffe
	s_add_co_ci_u32 s25, s25, __const._ZL30rocblas_trsm_small_left_deviceILi32ELi32ELb1E19rocblas_complex_numIdES1_PKPKS1_PKPS1_Ev13rocblas_fill_18rocblas_operation_17rocblas_diagonal_iiT3_T4_lilT5_lili.step_sizes@rel32@hi+24
	s_lshl_b64 s[26:27], s[22:23], 2
	s_wait_alu 0xfffe
	s_add_nc_u64 s[24:25], s[24:25], s[26:27]
	s_load_b32 s24, s[24:25], 0x0
	s_wait_kmcnt 0x0
	s_add_co_i32 s23, s24, -1
	s_wait_alu 0xfffe
	s_add_co_i32 s16, s23, s18
	s_wait_alu 0xfffe
	s_cmp_ge_i32 s16, s28
	s_cbranch_scc1 .LBB237_39
; %bb.41:                               ;   in Loop: Header=BB237_40 Depth=2
	s_ashr_i32 s19, s18, 31
	s_ashr_i32 s25, s24, 31
	s_lshl_b64 s[26:27], s[18:19], 4
	s_max_i32 s38, s24, 1
	s_wait_alu 0xfffe
	v_add_co_u32 v4, vcc_lo, v10, s26
	s_wait_alu 0xfffd
	v_add_co_ci_u32_e64 v5, null, s27, v11, vcc_lo
	s_lshl_b64 s[26:27], s[24:25], 4
	s_lshl_b32 s19, s18, 4
	s_lshl_b32 s25, s24, 4
	s_mul_i32 s39, s18, 0x210
	s_mul_i32 s40, s24, 0x210
	s_branch .LBB237_43
.LBB237_42:                             ;   in Loop: Header=BB237_43 Depth=3
	v_add_co_u32 v4, vcc_lo, v4, s26
	s_add_co_i32 s18, s18, s24
	s_wait_alu 0xfffd
	v_add_co_ci_u32_e64 v5, null, s27, v5, vcc_lo
	s_add_co_i32 s16, s23, s18
	s_add_co_i32 s19, s19, s25
	;; [unrolled: 1-line block ×3, first 2 shown]
	s_wait_alu 0xfffe
	s_cmp_ge_i32 s16, s28
	s_cbranch_scc1 .LBB237_39
.LBB237_43:                             ;   Parent Loop BB237_4 Depth=1
                                        ;     Parent Loop BB237_40 Depth=2
                                        ; =>    This Loop Header: Depth=3
                                        ;         Child Loop BB237_44 Depth 4
                                        ;         Child Loop BB237_47 Depth 4
                                        ;           Child Loop BB237_48 Depth 5
                                        ;         Child Loop BB237_52 Depth 4
                                        ;           Child Loop BB237_54 Depth 5
	v_dual_mov_b32 v0, v4 :: v_dual_mov_b32 v1, v5
	s_mov_b32 s16, 8
	s_mov_b32 s41, s38
.LBB237_44:                             ;   Parent Loop BB237_4 Depth=1
                                        ;     Parent Loop BB237_40 Depth=2
                                        ;       Parent Loop BB237_43 Depth=3
                                        ; =>      This Inner Loop Header: Depth=4
	flat_load_b128 v[19:22], v[0:1] offset:-8
	v_add_co_u32 v0, vcc_lo, v0, 16
	s_wait_alu 0xfffd
	v_add_co_ci_u32_e64 v1, null, 0, v1, vcc_lo
	s_add_co_i32 s41, s41, -1
	s_wait_alu 0xfffe
	s_mov_b32 s42, s16
	s_add_co_i32 s16, s16, 16
	s_cmp_eq_u32 s41, 0
	s_wait_loadcnt_dscnt 0x0
	v_mul_f64_e32 v[2:3], s[6:7], v[21:22]
	v_mul_f64_e32 v[23:24], s[4:5], v[21:22]
	s_delay_alu instid0(VALU_DEP_2) | instskip(NEXT) | instid1(VALU_DEP_2)
	v_fma_f64 v[21:22], s[4:5], v[19:20], -v[2:3]
	v_fma_f64 v[23:24], s[6:7], v[19:20], v[23:24]
	scratch_store_b128 off, v[21:24], s42 offset:-8
	s_cbranch_scc0 .LBB237_44
; %bb.45:                               ;   in Loop: Header=BB237_43 Depth=3
	s_cmp_lt_i32 s18, 1
	s_cbranch_scc1 .LBB237_50
; %bb.46:                               ;   in Loop: Header=BB237_43 Depth=3
	s_mov_b32 s16, 0
	s_mov_b32 s41, s19
.LBB237_47:                             ;   Parent Loop BB237_4 Depth=1
                                        ;     Parent Loop BB237_40 Depth=2
                                        ;       Parent Loop BB237_43 Depth=3
                                        ; =>      This Loop Header: Depth=4
                                        ;           Child Loop BB237_48 Depth 5
	s_wait_alu 0xfffe
	s_lshl_b64 s[42:43], s[16:17], 4
	s_mov_b32 s44, s38
	s_wait_alu 0xfffe
	v_add_co_u32 v0, vcc_lo, v6, s42
	s_wait_alu 0xfffd
	v_add_co_ci_u32_e64 v1, null, s43, v7, vcc_lo
	s_mov_b32 s42, s33
	s_mov_b32 s43, s41
	flat_load_b128 v[0:3], v[0:1]
.LBB237_48:                             ;   Parent Loop BB237_4 Depth=1
                                        ;     Parent Loop BB237_40 Depth=2
                                        ;       Parent Loop BB237_43 Depth=3
                                        ;         Parent Loop BB237_47 Depth=4
                                        ; =>        This Inner Loop Header: Depth=5
	scratch_load_b128 v[19:22], off, s42 offset:-8
	s_wait_alu 0xfffe
	v_mov_b32_e32 v23, s43
	s_add_co_i32 s44, s44, -1
	s_add_co_i32 s43, s43, 16
	ds_load_b128 v[23:26], v23
	s_wait_loadcnt_dscnt 0x100
	v_mul_f64_e32 v[27:28], v[2:3], v[25:26]
	v_mul_f64_e32 v[25:26], v[0:1], v[25:26]
	s_delay_alu instid0(VALU_DEP_2) | instskip(NEXT) | instid1(VALU_DEP_2)
	v_fma_f64 v[27:28], v[0:1], v[23:24], -v[27:28]
	v_fma_f64 v[23:24], v[2:3], v[23:24], v[25:26]
	s_wait_loadcnt 0x0
	s_delay_alu instid0(VALU_DEP_2) | instskip(NEXT) | instid1(VALU_DEP_2)
	v_add_f64_e64 v[19:20], v[19:20], -v[27:28]
	v_add_f64_e64 v[21:22], v[21:22], -v[23:24]
	scratch_store_b128 off, v[19:22], s42 offset:-8
	s_add_co_i32 s42, s42, 16
	s_wait_alu 0xfffe
	s_cmp_eq_u32 s44, 0
	s_cbranch_scc0 .LBB237_48
; %bb.49:                               ;   in Loop: Header=BB237_47 Depth=4
	s_add_co_i32 s16, s16, 1
	s_addk_co_i32 s41, 0x200
	s_wait_alu 0xfffe
	s_cmp_eq_u32 s16, s18
	s_cbranch_scc0 .LBB237_47
.LBB237_50:                             ;   in Loop: Header=BB237_43 Depth=3
	s_mov_b32 s16, 0
	s_mov_b32 s41, s39
	s_branch .LBB237_52
.LBB237_51:                             ;   in Loop: Header=BB237_52 Depth=4
	s_add_co_i32 s42, s16, s18
	s_lshl_b32 s44, s16, 4
	s_wait_alu 0xfffe
	s_mul_i32 s43, s42, 0x210
	s_add_co_i32 s16, s16, 1
	s_wait_alu 0xfffe
	v_mov_b32_e32 v19, s43
	s_ashr_i32 s43, s42, 31
	s_add_co_i32 s41, s41, 16
	s_wait_alu 0xfffe
	s_lshl_b64 s[42:43], s[42:43], 4
	s_cmp_eq_u32 s16, s38
	ds_load_b128 v[19:22], v19
	s_wait_loadcnt_dscnt 0x0
	v_mul_f64_e32 v[23:24], v[21:22], v[2:3]
	v_mul_f64_e32 v[2:3], v[19:20], v[2:3]
	s_delay_alu instid0(VALU_DEP_2) | instskip(NEXT) | instid1(VALU_DEP_2)
	v_fma_f64 v[19:20], v[19:20], v[0:1], -v[23:24]
	v_fma_f64 v[21:22], v[21:22], v[0:1], v[2:3]
	s_wait_alu 0xfffe
	v_add_co_u32 v0, vcc_lo, v6, s42
	s_wait_alu 0xfffd
	v_add_co_ci_u32_e64 v1, null, s43, v7, vcc_lo
	scratch_store_b128 off, v[19:22], s44
	flat_store_b128 v[0:1], v[19:22]
	s_cbranch_scc1 .LBB237_42
.LBB237_52:                             ;   Parent Loop BB237_4 Depth=1
                                        ;     Parent Loop BB237_40 Depth=2
                                        ;       Parent Loop BB237_43 Depth=3
                                        ; =>      This Loop Header: Depth=4
                                        ;           Child Loop BB237_54 Depth 5
	s_wait_alu 0xfffe
	s_cmp_lg_u32 s16, 0
	s_cbranch_scc0 .LBB237_56
; %bb.53:                               ;   in Loop: Header=BB237_52 Depth=4
	s_lshl_b32 s42, s16, 4
	s_mov_b32 s43, s33
	scratch_load_b128 v[0:3], off, s42
	s_mov_b32 s44, s41
	s_mov_b32 s45, s16
.LBB237_54:                             ;   Parent Loop BB237_4 Depth=1
                                        ;     Parent Loop BB237_40 Depth=2
                                        ;       Parent Loop BB237_43 Depth=3
                                        ;         Parent Loop BB237_52 Depth=4
                                        ; =>        This Inner Loop Header: Depth=5
	scratch_load_b128 v[19:22], off, s43 offset:-8
	s_wait_alu 0xfffe
	v_mov_b32_e32 v23, s44
	s_add_co_i32 s45, s45, -1
	s_addk_co_i32 s44, 0x200
	s_add_co_i32 s43, s43, 16
	s_wait_alu 0xfffe
	s_cmp_eq_u32 s45, 0
	ds_load_b128 v[23:26], v23
	s_wait_loadcnt_dscnt 0x0
	v_mul_f64_e32 v[27:28], v[25:26], v[21:22]
	v_mul_f64_e32 v[21:22], v[23:24], v[21:22]
	s_delay_alu instid0(VALU_DEP_2) | instskip(NEXT) | instid1(VALU_DEP_2)
	v_fma_f64 v[23:24], v[23:24], v[19:20], -v[27:28]
	v_fma_f64 v[19:20], v[25:26], v[19:20], v[21:22]
	s_delay_alu instid0(VALU_DEP_2) | instskip(NEXT) | instid1(VALU_DEP_2)
	v_add_f64_e64 v[0:1], v[0:1], -v[23:24]
	v_add_f64_e64 v[2:3], v[2:3], -v[19:20]
	scratch_store_b128 off, v[0:3], s42
	s_cbranch_scc0 .LBB237_54
; %bb.55:                               ;   in Loop: Header=BB237_52 Depth=4
	s_branch .LBB237_51
.LBB237_56:                             ;   in Loop: Header=BB237_52 Depth=4
                                        ; implicit-def: $vgpr0_vgpr1
	s_cbranch_execz .LBB237_51
; %bb.57:                               ;   in Loop: Header=BB237_52 Depth=4
	scratch_load_b128 v[0:3], off, off
	s_branch .LBB237_51
.LBB237_58:
	s_or_b32 exec_lo, exec_lo, s35
	s_and_saveexec_b32 s0, s36
	s_wait_alu 0xfffe
	s_xor_b32 s0, exec_lo, s0
.LBB237_59:
	s_endpgm
	.section	.rodata,"a",@progbits
	.p2align	6, 0x0
	.amdhsa_kernel _ZL30rocblas_trsm_small_left_deviceILi32ELi32ELb1E19rocblas_complex_numIdES1_PKPKS1_PKPS1_Ev13rocblas_fill_18rocblas_operation_17rocblas_diagonal_iiT3_T4_lilT5_lili
		.amdhsa_group_segment_fixed_size 16384
		.amdhsa_private_segment_fixed_size 528
		.amdhsa_kernarg_size 368
		.amdhsa_user_sgpr_count 2
		.amdhsa_user_sgpr_dispatch_ptr 0
		.amdhsa_user_sgpr_queue_ptr 0
		.amdhsa_user_sgpr_kernarg_segment_ptr 1
		.amdhsa_user_sgpr_dispatch_id 0
		.amdhsa_user_sgpr_private_segment_size 0
		.amdhsa_wavefront_size32 1
		.amdhsa_uses_dynamic_stack 0
		.amdhsa_enable_private_segment 1
		.amdhsa_system_sgpr_workgroup_id_x 1
		.amdhsa_system_sgpr_workgroup_id_y 0
		.amdhsa_system_sgpr_workgroup_id_z 1
		.amdhsa_system_sgpr_workgroup_info 0
		.amdhsa_system_vgpr_workitem_id 0
		.amdhsa_next_free_vgpr 241
		.amdhsa_next_free_sgpr 46
		.amdhsa_reserve_vcc 1
		.amdhsa_float_round_mode_32 0
		.amdhsa_float_round_mode_16_64 0
		.amdhsa_float_denorm_mode_32 3
		.amdhsa_float_denorm_mode_16_64 3
		.amdhsa_fp16_overflow 0
		.amdhsa_workgroup_processor_mode 1
		.amdhsa_memory_ordered 1
		.amdhsa_forward_progress 1
		.amdhsa_inst_pref_size 25
		.amdhsa_round_robin_scheduling 0
		.amdhsa_exception_fp_ieee_invalid_op 0
		.amdhsa_exception_fp_denorm_src 0
		.amdhsa_exception_fp_ieee_div_zero 0
		.amdhsa_exception_fp_ieee_overflow 0
		.amdhsa_exception_fp_ieee_underflow 0
		.amdhsa_exception_fp_ieee_inexact 0
		.amdhsa_exception_int_div_zero 0
	.end_amdhsa_kernel
	.section	.text._ZL30rocblas_trsm_small_left_deviceILi32ELi32ELb1E19rocblas_complex_numIdES1_PKPKS1_PKPS1_Ev13rocblas_fill_18rocblas_operation_17rocblas_diagonal_iiT3_T4_lilT5_lili,"axG",@progbits,_ZL30rocblas_trsm_small_left_deviceILi32ELi32ELb1E19rocblas_complex_numIdES1_PKPKS1_PKPS1_Ev13rocblas_fill_18rocblas_operation_17rocblas_diagonal_iiT3_T4_lilT5_lili,comdat
.Lfunc_end237:
	.size	_ZL30rocblas_trsm_small_left_deviceILi32ELi32ELb1E19rocblas_complex_numIdES1_PKPKS1_PKPS1_Ev13rocblas_fill_18rocblas_operation_17rocblas_diagonal_iiT3_T4_lilT5_lili, .Lfunc_end237-_ZL30rocblas_trsm_small_left_deviceILi32ELi32ELb1E19rocblas_complex_numIdES1_PKPKS1_PKPS1_Ev13rocblas_fill_18rocblas_operation_17rocblas_diagonal_iiT3_T4_lilT5_lili
                                        ; -- End function
	.set _ZL30rocblas_trsm_small_left_deviceILi32ELi32ELb1E19rocblas_complex_numIdES1_PKPKS1_PKPS1_Ev13rocblas_fill_18rocblas_operation_17rocblas_diagonal_iiT3_T4_lilT5_lili.num_vgpr, 29
	.set _ZL30rocblas_trsm_small_left_deviceILi32ELi32ELb1E19rocblas_complex_numIdES1_PKPKS1_PKPS1_Ev13rocblas_fill_18rocblas_operation_17rocblas_diagonal_iiT3_T4_lilT5_lili.num_agpr, 0
	.set _ZL30rocblas_trsm_small_left_deviceILi32ELi32ELb1E19rocblas_complex_numIdES1_PKPKS1_PKPS1_Ev13rocblas_fill_18rocblas_operation_17rocblas_diagonal_iiT3_T4_lilT5_lili.numbered_sgpr, 46
	.set _ZL30rocblas_trsm_small_left_deviceILi32ELi32ELb1E19rocblas_complex_numIdES1_PKPKS1_PKPS1_Ev13rocblas_fill_18rocblas_operation_17rocblas_diagonal_iiT3_T4_lilT5_lili.num_named_barrier, 0
	.set _ZL30rocblas_trsm_small_left_deviceILi32ELi32ELb1E19rocblas_complex_numIdES1_PKPKS1_PKPS1_Ev13rocblas_fill_18rocblas_operation_17rocblas_diagonal_iiT3_T4_lilT5_lili.private_seg_size, 528
	.set _ZL30rocblas_trsm_small_left_deviceILi32ELi32ELb1E19rocblas_complex_numIdES1_PKPKS1_PKPS1_Ev13rocblas_fill_18rocblas_operation_17rocblas_diagonal_iiT3_T4_lilT5_lili.uses_vcc, 1
	.set _ZL30rocblas_trsm_small_left_deviceILi32ELi32ELb1E19rocblas_complex_numIdES1_PKPKS1_PKPS1_Ev13rocblas_fill_18rocblas_operation_17rocblas_diagonal_iiT3_T4_lilT5_lili.uses_flat_scratch, 0
	.set _ZL30rocblas_trsm_small_left_deviceILi32ELi32ELb1E19rocblas_complex_numIdES1_PKPKS1_PKPS1_Ev13rocblas_fill_18rocblas_operation_17rocblas_diagonal_iiT3_T4_lilT5_lili.has_dyn_sized_stack, 0
	.set _ZL30rocblas_trsm_small_left_deviceILi32ELi32ELb1E19rocblas_complex_numIdES1_PKPKS1_PKPS1_Ev13rocblas_fill_18rocblas_operation_17rocblas_diagonal_iiT3_T4_lilT5_lili.has_recursion, 0
	.set _ZL30rocblas_trsm_small_left_deviceILi32ELi32ELb1E19rocblas_complex_numIdES1_PKPKS1_PKPS1_Ev13rocblas_fill_18rocblas_operation_17rocblas_diagonal_iiT3_T4_lilT5_lili.has_indirect_call, 0
	.section	.AMDGPU.csdata,"",@progbits
; Kernel info:
; codeLenInByte = 3132
; TotalNumSgprs: 48
; NumVgprs: 29
; ScratchSize: 528
; MemoryBound: 0
; FloatMode: 240
; IeeeMode: 1
; LDSByteSize: 16384 bytes/workgroup (compile time only)
; SGPRBlocks: 0
; VGPRBlocks: 30
; NumSGPRsForWavesPerEU: 48
; NumVGPRsForWavesPerEU: 241
; Occupancy: 2
; WaveLimiterHint : 1
; COMPUTE_PGM_RSRC2:SCRATCH_EN: 1
; COMPUTE_PGM_RSRC2:USER_SGPR: 2
; COMPUTE_PGM_RSRC2:TRAP_HANDLER: 0
; COMPUTE_PGM_RSRC2:TGID_X_EN: 1
; COMPUTE_PGM_RSRC2:TGID_Y_EN: 0
; COMPUTE_PGM_RSRC2:TGID_Z_EN: 1
; COMPUTE_PGM_RSRC2:TIDIG_COMP_CNT: 0
	.section	.text._ZL31rocblas_trsm_small_right_deviceI19rocblas_complex_numIdES1_PKPKS1_PKPS1_Li32EEv13rocblas_fill_18rocblas_operation_17rocblas_diagonal_iiT0_T1_lilT2_lili,"axG",@progbits,_ZL31rocblas_trsm_small_right_deviceI19rocblas_complex_numIdES1_PKPKS1_PKPS1_Li32EEv13rocblas_fill_18rocblas_operation_17rocblas_diagonal_iiT0_T1_lilT2_lili,comdat
	.globl	_ZL31rocblas_trsm_small_right_deviceI19rocblas_complex_numIdES1_PKPKS1_PKPS1_Li32EEv13rocblas_fill_18rocblas_operation_17rocblas_diagonal_iiT0_T1_lilT2_lili ; -- Begin function _ZL31rocblas_trsm_small_right_deviceI19rocblas_complex_numIdES1_PKPKS1_PKPS1_Li32EEv13rocblas_fill_18rocblas_operation_17rocblas_diagonal_iiT0_T1_lilT2_lili
	.p2align	8
	.type	_ZL31rocblas_trsm_small_right_deviceI19rocblas_complex_numIdES1_PKPKS1_PKPS1_Li32EEv13rocblas_fill_18rocblas_operation_17rocblas_diagonal_iiT0_T1_lilT2_lili,@function
_ZL31rocblas_trsm_small_right_deviceI19rocblas_complex_numIdES1_PKPKS1_PKPS1_Li32EEv13rocblas_fill_18rocblas_operation_17rocblas_diagonal_iiT0_T1_lilT2_lili: ; @_ZL31rocblas_trsm_small_right_deviceI19rocblas_complex_numIdES1_PKPKS1_PKPS1_Li32EEv13rocblas_fill_18rocblas_operation_17rocblas_diagonal_iiT0_T1_lilT2_lili
; %bb.0:
	s_load_b32 s26, s[0:1], 0x68
	s_lshr_b32 s2, ttmp7, 16
	s_wait_kmcnt 0x0
	s_cmp_ge_u32 s2, s26
	s_cbranch_scc1 .LBB238_146
; %bb.1:
	s_clause 0x6
	s_load_b32 s22, s[0:1], 0x38
	s_load_b32 s24, s[0:1], 0x58
	s_load_b128 s[16:19], s[0:1], 0x0
	s_load_b32 s27, s[0:1], 0x10
	s_load_b32 s3, s[0:1], 0x70
	s_load_b128 s[12:15], s[0:1], 0x48
	s_load_b256 s[4:11], s[0:1], 0x18
	s_mov_b32 s20, ttmp9
	v_lshlrev_b32_e32 v29, 4, v0
	v_dual_mov_b32 v1, 0 :: v_dual_lshlrev_b32 v2, 9, v0
	s_delay_alu instid0(VALU_DEP_1)
	v_dual_mov_b32 v2, 0x3ff00000 :: v_dual_add_nc_u32 v37, v29, v2
	v_or_b32_e32 v30, 0x4000, v29
	s_wait_kmcnt 0x0
	s_ashr_i32 s23, s22, 31
	s_ashr_i32 s25, s24, 31
	s_cmp_lg_u32 s16, 0x7a
	s_cselect_b32 s31, -1, 0
	s_cmp_eq_u32 s17, 0x71
	s_cselect_b32 s0, -1, 0
	s_min_i32 s28, s27, 32
	s_lshl_b32 s1, ttmp9, 5
	s_add_co_i32 s3, s3, -1
	s_add_co_i32 s29, s28, -1
	s_sub_co_i32 s1, s19, s1
	s_cmp_ge_u32 ttmp9, s3
	s_mov_b32 s3, 0
	s_cselect_b32 s1, s1, 32
	s_ashr_i32 s21, ttmp9, 31
	v_cmp_gt_i32_e32 vcc_lo, s1, v0
	s_lshl_b64 s[20:21], s[20:21], 9
	s_cmp_eq_u32 s18, 0x84
	s_cselect_b32 s30, -1, 0
	s_cmp_gt_i32 s27, 0
	s_cselect_b32 s18, -1, 0
	s_cmp_lg_u32 s17, 0x6f
	s_cselect_b32 s17, -1, 0
	s_cmp_lg_u32 s16, 0x79
	s_cselect_b32 s1, -1, 0
	s_or_b32 s31, s31, s17
	s_wait_alu 0xfffe
	s_or_b32 s33, s1, s17
	s_cmp_gt_i32 s27, 3
	v_cndmask_b32_e64 v31, 0, 1, s1
	s_cselect_b32 s34, -1, 0
	s_lshl_b64 s[16:17], s[10:11], 4
	s_lshl_b64 s[14:15], s[14:15], 4
	v_add_co_u32 v3, s16, s16, v29
	s_lshl_b64 s[10:11], s[22:23], 4
	s_wait_alu 0xf1ff
	v_add_co_ci_u32_e64 v32, null, s17, 0, s16
	s_add_nc_u64 s[16:17], s[20:21], s[14:15]
	s_lshl_b32 s23, s28, 9
	v_or_b32_e32 v33, 8, v3
	s_wait_alu 0xfffe
	v_add_co_u32 v3, s16, s16, v29
	v_or_b32_e32 v4, s23, v29
	v_cmp_gt_i32_e64 s1, s28, v0
	s_wait_alu 0xf1ff
	v_add_co_ci_u32_e64 v34, null, s17, 0, s16
	v_or_b32_e32 v35, 8, v3
	v_add_nc_u32_e32 v36, 0x3e00, v4
	v_lshlrev_b32_e32 v0, 4, v0
	s_and_b32 s35, vcc_lo, s18
	s_mul_i32 s18, s28, 0x210
	s_lshl_b64 s[16:17], s[24:25], 4
	s_lshl_b32 s25, s28, 4
	s_add_co_i32 s22, s18, 0xfffffdc0
	s_addk_co_i32 s23, 0xfe00
	s_add_co_i32 s24, s18, 0xfffff7f0
	s_add_co_i32 s25, s25, -16
	s_branch .LBB238_3
.LBB238_2:                              ;   in Loop: Header=BB238_3 Depth=1
	s_wait_alu 0xfffe
	s_or_b32 exec_lo, exec_lo, s18
	s_add_co_i32 s2, s2, 0x10000
	s_delay_alu instid0(SALU_CYCLE_1)
	s_cmp_lt_u32 s2, s26
	s_cbranch_scc0 .LBB238_146
.LBB238_3:                              ; =>This Loop Header: Depth=1
                                        ;     Child Loop BB238_5 Depth 2
                                        ;     Child Loop BB238_10 Depth 2
	;; [unrolled: 1-line block ×3, first 2 shown]
                                        ;       Child Loop BB238_17 Depth 3
                                        ;     Child Loop BB238_39 Depth 2
                                        ;       Child Loop BB238_40 Depth 3
                                        ;     Child Loop BB238_48 Depth 2
	;; [unrolled: 2-line block ×8, first 2 shown]
	s_lshl_b64 s[18:19], s[2:3], 3
	s_wait_alu 0xfffe
	s_add_nc_u64 s[36:37], s[12:13], s[18:19]
	global_load_b64 v[27:28], v1, s[36:37]
	s_and_saveexec_b32 s36, s1
	s_cbranch_execz .LBB238_8
; %bb.4:                                ;   in Loop: Header=BB238_3 Depth=1
	s_add_nc_u64 s[18:19], s[8:9], s[18:19]
	v_mov_b32_e32 v5, v29
	global_load_b64 v[3:4], v1, s[18:19]
	s_mov_b32 s18, s28
	s_wait_loadcnt 0x0
	v_add_co_u32 v3, vcc_lo, v3, v33
	s_wait_alu 0xfffd
	v_add_co_ci_u32_e64 v4, null, v4, v32, vcc_lo
.LBB238_5:                              ;   Parent Loop BB238_3 Depth=1
                                        ; =>  This Inner Loop Header: Depth=2
	flat_load_b128 v[6:9], v[3:4] offset:-8
	v_add_co_u32 v3, vcc_lo, v3, s10
	s_wait_alu 0xfffd
	v_add_co_ci_u32_e64 v4, null, s11, v4, vcc_lo
	s_wait_alu 0xfffe
	s_add_co_i32 s18, s18, -1
	s_wait_alu 0xfffe
	s_cmp_eq_u32 s18, 0
	s_wait_loadcnt_dscnt 0x0
	v_xor_b32_e32 v10, 0x80000000, v9
	s_delay_alu instid0(VALU_DEP_1)
	v_cndmask_b32_e64 v9, v9, v10, s0
	ds_store_b128 v5, v[6:9]
	v_add_nc_u32_e32 v5, 0x200, v5
	s_cbranch_scc0 .LBB238_5
; %bb.6:                                ;   in Loop: Header=BB238_3 Depth=1
	s_and_b32 vcc_lo, exec_lo, s30
	s_wait_alu 0xfffe
	s_cbranch_vccz .LBB238_8
; %bb.7:                                ;   in Loop: Header=BB238_3 Depth=1
	v_dual_mov_b32 v3, v1 :: v_dual_mov_b32 v4, v1
	ds_store_b128 v37, v[1:4]
.LBB238_8:                              ;   in Loop: Header=BB238_3 Depth=1
	s_wait_alu 0xfffe
	s_or_b32 exec_lo, exec_lo, s36
	s_and_saveexec_b32 s18, s35
	s_cbranch_execz .LBB238_11
; %bb.9:                                ;   in Loop: Header=BB238_3 Depth=1
	s_wait_loadcnt 0x0
	v_add_co_u32 v3, vcc_lo, v27, v35
	s_wait_alu 0xfffd
	v_add_co_ci_u32_e64 v4, null, v28, v34, vcc_lo
	v_mov_b32_e32 v5, v30
	s_mov_b32 s19, s27
.LBB238_10:                             ;   Parent Loop BB238_3 Depth=1
                                        ; =>  This Inner Loop Header: Depth=2
	flat_load_b128 v[6:9], v[3:4] offset:-8
	s_wait_alu 0xfffe
	v_add_co_u32 v3, vcc_lo, v3, s16
	s_wait_alu 0xfffd
	v_add_co_ci_u32_e64 v4, null, s17, v4, vcc_lo
	s_add_co_i32 s19, s19, -1
	s_wait_alu 0xfffe
	s_cmp_lg_u32 s19, 0
	s_wait_loadcnt_dscnt 0x0
	v_mul_f64_e32 v[10:11], s[6:7], v[8:9]
	v_mul_f64_e32 v[12:13], s[4:5], v[8:9]
	s_delay_alu instid0(VALU_DEP_2) | instskip(NEXT) | instid1(VALU_DEP_2)
	v_fma_f64 v[8:9], s[4:5], v[6:7], -v[10:11]
	v_fma_f64 v[10:11], s[6:7], v[6:7], v[12:13]
	ds_store_b128 v5, v[8:11]
	v_add_nc_u32_e32 v5, 0x200, v5
	s_cbranch_scc1 .LBB238_10
.LBB238_11:                             ;   in Loop: Header=BB238_3 Depth=1
	s_wait_alu 0xfffe
	s_or_b32 exec_lo, exec_lo, s18
	s_delay_alu instid0(SALU_CYCLE_1)
	s_and_b32 vcc_lo, exec_lo, s33
	s_mov_b32 s18, -1
	; wave barrier
	s_wait_loadcnt_dscnt 0x0
	global_inv scope:SCOPE_SE
	s_wait_alu 0xfffe
	s_cbranch_vccz .LBB238_111
; %bb.12:                               ;   in Loop: Header=BB238_3 Depth=1
	s_and_b32 vcc_lo, exec_lo, s31
	s_wait_alu 0xfffe
	s_cbranch_vccz .LBB238_78
; %bb.13:                               ;   in Loop: Header=BB238_3 Depth=1
	v_cmp_ne_u32_e32 vcc_lo, 1, v31
	s_cbranch_vccnz .LBB238_46
; %bb.14:                               ;   in Loop: Header=BB238_3 Depth=1
	s_and_not1_b32 vcc_lo, exec_lo, s34
	s_mov_b32 s36, 0
	s_wait_alu 0xfffe
	s_cbranch_vccnz .LBB238_36
; %bb.15:                               ;   in Loop: Header=BB238_3 Depth=1
	s_mov_b32 s18, 0
	s_mov_b32 s19, 0
.LBB238_16:                             ;   Parent Loop BB238_3 Depth=1
                                        ; =>  This Loop Header: Depth=2
                                        ;       Child Loop BB238_17 Depth 3
	s_wait_alu 0xfffe
	s_lshl_b32 s39, s19, 9
	s_or_b32 s38, s19, 1
	s_wait_alu 0xfffe
	v_add_nc_u32_e32 v41, s39, v30
	s_or_b32 s36, s19, 2
	v_lshl_add_u32 v40, s38, 9, v30
	s_or_b32 s37, s39, 0x600
	s_wait_alu 0xfffe
	v_lshl_add_u32 v39, s36, 9, v30
	v_dual_mov_b32 v11, v30 :: v_dual_add_nc_u32 v38, s37, v30
	ds_load_b128 v[19:22], v41
	ds_load_b128 v[15:18], v40
	;; [unrolled: 1-line block ×4, first 2 shown]
	s_cmp_eq_u32 s19, 0
	s_mov_b32 s37, s18
	s_mov_b32 s40, s19
	s_cbranch_scc1 .LBB238_18
.LBB238_17:                             ;   Parent Loop BB238_3 Depth=1
                                        ;     Parent Loop BB238_16 Depth=2
                                        ; =>    This Inner Loop Header: Depth=3
	s_wait_alu 0xfffe
	v_mov_b32_e32 v12, s37
	s_add_co_i32 s40, s40, -1
	s_addk_co_i32 s37, 0x200
	s_wait_alu 0xfffe
	s_cmp_eq_u32 s40, 0
	ds_load_b128 v[23:26], v11
	ds_load_b128 v[42:45], v12
	ds_load_b128 v[46:49], v12 offset:16
	ds_load_b128 v[50:53], v12 offset:32
	;; [unrolled: 1-line block ×3, first 2 shown]
	v_add_nc_u32_e32 v11, 0x200, v11
	s_wait_dscnt 0x3
	v_mul_f64_e32 v[12:13], v[25:26], v[44:45]
	v_mul_f64_e32 v[44:45], v[23:24], v[44:45]
	s_wait_dscnt 0x2
	v_mul_f64_e32 v[58:59], v[25:26], v[48:49]
	v_mul_f64_e32 v[48:49], v[23:24], v[48:49]
	;; [unrolled: 3-line block ×4, first 2 shown]
	v_fma_f64 v[12:13], v[23:24], v[42:43], -v[12:13]
	v_fma_f64 v[42:43], v[25:26], v[42:43], v[44:45]
	v_fma_f64 v[44:45], v[23:24], v[46:47], -v[58:59]
	v_fma_f64 v[46:47], v[25:26], v[46:47], v[48:49]
	;; [unrolled: 2-line block ×4, first 2 shown]
	v_add_f64_e64 v[19:20], v[19:20], -v[12:13]
	v_add_f64_e64 v[21:22], v[21:22], -v[42:43]
	;; [unrolled: 1-line block ×8, first 2 shown]
	s_cbranch_scc0 .LBB238_17
.LBB238_18:                             ;   in Loop: Header=BB238_16 Depth=2
	s_lshl_b32 s37, s19, 4
	s_wait_alu 0xfffe
	s_add_co_i32 s39, s37, s39
	s_wait_alu 0xfffe
	v_mov_b32_e32 v11, s39
	ds_load_b128 v[23:26], v11
                                        ; implicit-def: $vgpr13_vgpr14
	s_wait_dscnt 0x0
	v_cmp_ngt_f64_e64 s40, |v[23:24]|, |v[25:26]|
	s_and_b32 vcc_lo, exec_lo, s40
	s_mov_b32 s40, -1
	s_wait_alu 0xfffe
	s_cbranch_vccz .LBB238_20
; %bb.19:                               ;   in Loop: Header=BB238_16 Depth=2
	v_div_scale_f64 v[11:12], null, v[25:26], v[25:26], v[23:24]
	v_div_scale_f64 v[44:45], vcc_lo, v[23:24], v[25:26], v[23:24]
	s_mov_b32 s40, 0
	v_rcp_f64_e32 v[13:14], v[11:12]
	s_delay_alu instid0(TRANS32_DEP_1) | instskip(NEXT) | instid1(VALU_DEP_1)
	v_fma_f64 v[42:43], -v[11:12], v[13:14], 1.0
	v_fma_f64 v[13:14], v[13:14], v[42:43], v[13:14]
	s_delay_alu instid0(VALU_DEP_1) | instskip(NEXT) | instid1(VALU_DEP_1)
	v_fma_f64 v[42:43], -v[11:12], v[13:14], 1.0
	v_fma_f64 v[13:14], v[13:14], v[42:43], v[13:14]
	s_delay_alu instid0(VALU_DEP_1) | instskip(NEXT) | instid1(VALU_DEP_1)
	v_mul_f64_e32 v[42:43], v[44:45], v[13:14]
	v_fma_f64 v[11:12], -v[11:12], v[42:43], v[44:45]
	s_wait_alu 0xfffd
	s_delay_alu instid0(VALU_DEP_1) | instskip(NEXT) | instid1(VALU_DEP_1)
	v_div_fmas_f64 v[11:12], v[11:12], v[13:14], v[42:43]
	v_div_fixup_f64 v[11:12], v[11:12], v[25:26], v[23:24]
	s_delay_alu instid0(VALU_DEP_1) | instskip(NEXT) | instid1(VALU_DEP_1)
	v_fma_f64 v[13:14], v[23:24], v[11:12], v[25:26]
	v_div_scale_f64 v[42:43], null, v[13:14], v[13:14], 1.0
	v_div_scale_f64 v[48:49], vcc_lo, 1.0, v[13:14], 1.0
	s_delay_alu instid0(VALU_DEP_2) | instskip(NEXT) | instid1(TRANS32_DEP_1)
	v_rcp_f64_e32 v[44:45], v[42:43]
	v_fma_f64 v[46:47], -v[42:43], v[44:45], 1.0
	s_delay_alu instid0(VALU_DEP_1) | instskip(NEXT) | instid1(VALU_DEP_1)
	v_fma_f64 v[44:45], v[44:45], v[46:47], v[44:45]
	v_fma_f64 v[46:47], -v[42:43], v[44:45], 1.0
	s_delay_alu instid0(VALU_DEP_1) | instskip(NEXT) | instid1(VALU_DEP_1)
	v_fma_f64 v[44:45], v[44:45], v[46:47], v[44:45]
	v_mul_f64_e32 v[46:47], v[48:49], v[44:45]
	s_delay_alu instid0(VALU_DEP_1) | instskip(SKIP_1) | instid1(VALU_DEP_1)
	v_fma_f64 v[42:43], -v[42:43], v[46:47], v[48:49]
	s_wait_alu 0xfffd
	v_div_fmas_f64 v[42:43], v[42:43], v[44:45], v[46:47]
	v_fma_f64 v[44:45], v[19:20], v[11:12], v[21:22]
	s_delay_alu instid0(VALU_DEP_2) | instskip(SKIP_1) | instid1(VALU_DEP_2)
	v_div_fixup_f64 v[13:14], v[42:43], v[13:14], 1.0
	v_fma_f64 v[42:43], v[21:22], v[11:12], -v[19:20]
	v_mul_f64_e32 v[11:12], v[44:45], v[13:14]
	s_delay_alu instid0(VALU_DEP_2)
	v_mul_f64_e32 v[13:14], v[42:43], v[13:14]
.LBB238_20:                             ;   in Loop: Header=BB238_16 Depth=2
	s_wait_alu 0xfffe
	s_and_not1_b32 vcc_lo, exec_lo, s40
	s_wait_alu 0xfffe
	s_cbranch_vccnz .LBB238_22
; %bb.21:                               ;   in Loop: Header=BB238_16 Depth=2
	v_div_scale_f64 v[11:12], null, v[23:24], v[23:24], v[25:26]
	v_div_scale_f64 v[44:45], vcc_lo, v[25:26], v[23:24], v[25:26]
	s_delay_alu instid0(VALU_DEP_2) | instskip(NEXT) | instid1(TRANS32_DEP_1)
	v_rcp_f64_e32 v[13:14], v[11:12]
	v_fma_f64 v[42:43], -v[11:12], v[13:14], 1.0
	s_delay_alu instid0(VALU_DEP_1) | instskip(NEXT) | instid1(VALU_DEP_1)
	v_fma_f64 v[13:14], v[13:14], v[42:43], v[13:14]
	v_fma_f64 v[42:43], -v[11:12], v[13:14], 1.0
	s_delay_alu instid0(VALU_DEP_1) | instskip(NEXT) | instid1(VALU_DEP_1)
	v_fma_f64 v[13:14], v[13:14], v[42:43], v[13:14]
	v_mul_f64_e32 v[42:43], v[44:45], v[13:14]
	s_delay_alu instid0(VALU_DEP_1) | instskip(SKIP_1) | instid1(VALU_DEP_1)
	v_fma_f64 v[11:12], -v[11:12], v[42:43], v[44:45]
	s_wait_alu 0xfffd
	v_div_fmas_f64 v[11:12], v[11:12], v[13:14], v[42:43]
	s_delay_alu instid0(VALU_DEP_1) | instskip(NEXT) | instid1(VALU_DEP_1)
	v_div_fixup_f64 v[11:12], v[11:12], v[23:24], v[25:26]
	v_fma_f64 v[13:14], v[25:26], v[11:12], v[23:24]
	s_delay_alu instid0(VALU_DEP_1) | instskip(SKIP_1) | instid1(VALU_DEP_2)
	v_div_scale_f64 v[23:24], null, v[13:14], v[13:14], 1.0
	v_div_scale_f64 v[44:45], vcc_lo, 1.0, v[13:14], 1.0
	v_rcp_f64_e32 v[25:26], v[23:24]
	s_delay_alu instid0(TRANS32_DEP_1) | instskip(NEXT) | instid1(VALU_DEP_1)
	v_fma_f64 v[42:43], -v[23:24], v[25:26], 1.0
	v_fma_f64 v[25:26], v[25:26], v[42:43], v[25:26]
	s_delay_alu instid0(VALU_DEP_1) | instskip(NEXT) | instid1(VALU_DEP_1)
	v_fma_f64 v[42:43], -v[23:24], v[25:26], 1.0
	v_fma_f64 v[25:26], v[25:26], v[42:43], v[25:26]
	s_delay_alu instid0(VALU_DEP_1) | instskip(NEXT) | instid1(VALU_DEP_1)
	v_mul_f64_e32 v[42:43], v[44:45], v[25:26]
	v_fma_f64 v[23:24], -v[23:24], v[42:43], v[44:45]
	s_wait_alu 0xfffd
	s_delay_alu instid0(VALU_DEP_1) | instskip(SKIP_2) | instid1(VALU_DEP_3)
	v_div_fmas_f64 v[23:24], v[23:24], v[25:26], v[42:43]
	v_fma_f64 v[25:26], v[21:22], v[11:12], v[19:20]
	v_fma_f64 v[19:20], -v[19:20], v[11:12], v[21:22]
	v_div_fixup_f64 v[13:14], v[23:24], v[13:14], 1.0
	s_delay_alu instid0(VALU_DEP_1) | instskip(NEXT) | instid1(VALU_DEP_3)
	v_mul_f64_e32 v[11:12], v[25:26], v[13:14]
	v_mul_f64_e32 v[13:14], v[19:20], v[13:14]
.LBB238_22:                             ;   in Loop: Header=BB238_16 Depth=2
	v_mov_b32_e32 v19, s39
	ds_load_b128 v[23:26], v19 offset:16
	ds_load_b128 v[19:22], v19 offset:528
	ds_store_b128 v41, v[11:14]
	s_wait_dscnt 0x2
	v_mul_f64_e32 v[42:43], v[13:14], v[25:26]
	v_mul_f64_e32 v[25:26], v[11:12], v[25:26]
	s_wait_dscnt 0x1
	v_cmp_ngt_f64_e64 s40, |v[19:20]|, |v[21:22]|
	s_delay_alu instid0(VALU_DEP_3) | instskip(NEXT) | instid1(VALU_DEP_3)
	v_fma_f64 v[42:43], v[11:12], v[23:24], -v[42:43]
	v_fma_f64 v[25:26], v[13:14], v[23:24], v[25:26]
	s_and_b32 vcc_lo, exec_lo, s40
	s_mov_b32 s40, -1
	s_delay_alu instid0(VALU_DEP_2) | instskip(NEXT) | instid1(VALU_DEP_2)
	v_add_f64_e64 v[23:24], v[15:16], -v[42:43]
	v_add_f64_e64 v[25:26], v[17:18], -v[25:26]
                                        ; implicit-def: $vgpr17_vgpr18
	s_wait_alu 0xfffe
	s_cbranch_vccz .LBB238_24
; %bb.23:                               ;   in Loop: Header=BB238_16 Depth=2
	v_div_scale_f64 v[15:16], null, v[21:22], v[21:22], v[19:20]
	v_div_scale_f64 v[43:44], vcc_lo, v[19:20], v[21:22], v[19:20]
	s_mov_b32 s40, 0
	v_rcp_f64_e32 v[17:18], v[15:16]
	s_delay_alu instid0(TRANS32_DEP_1) | instskip(NEXT) | instid1(VALU_DEP_1)
	v_fma_f64 v[41:42], -v[15:16], v[17:18], 1.0
	v_fma_f64 v[17:18], v[17:18], v[41:42], v[17:18]
	s_delay_alu instid0(VALU_DEP_1) | instskip(NEXT) | instid1(VALU_DEP_1)
	v_fma_f64 v[41:42], -v[15:16], v[17:18], 1.0
	v_fma_f64 v[17:18], v[17:18], v[41:42], v[17:18]
	s_delay_alu instid0(VALU_DEP_1) | instskip(NEXT) | instid1(VALU_DEP_1)
	v_mul_f64_e32 v[41:42], v[43:44], v[17:18]
	v_fma_f64 v[15:16], -v[15:16], v[41:42], v[43:44]
	s_wait_alu 0xfffd
	s_delay_alu instid0(VALU_DEP_1) | instskip(NEXT) | instid1(VALU_DEP_1)
	v_div_fmas_f64 v[15:16], v[15:16], v[17:18], v[41:42]
	v_div_fixup_f64 v[15:16], v[15:16], v[21:22], v[19:20]
	s_delay_alu instid0(VALU_DEP_1) | instskip(NEXT) | instid1(VALU_DEP_1)
	v_fma_f64 v[17:18], v[19:20], v[15:16], v[21:22]
	v_div_scale_f64 v[41:42], null, v[17:18], v[17:18], 1.0
	v_div_scale_f64 v[47:48], vcc_lo, 1.0, v[17:18], 1.0
	s_delay_alu instid0(VALU_DEP_2) | instskip(NEXT) | instid1(TRANS32_DEP_1)
	v_rcp_f64_e32 v[43:44], v[41:42]
	v_fma_f64 v[45:46], -v[41:42], v[43:44], 1.0
	s_delay_alu instid0(VALU_DEP_1) | instskip(NEXT) | instid1(VALU_DEP_1)
	v_fma_f64 v[43:44], v[43:44], v[45:46], v[43:44]
	v_fma_f64 v[45:46], -v[41:42], v[43:44], 1.0
	s_delay_alu instid0(VALU_DEP_1) | instskip(NEXT) | instid1(VALU_DEP_1)
	v_fma_f64 v[43:44], v[43:44], v[45:46], v[43:44]
	v_mul_f64_e32 v[45:46], v[47:48], v[43:44]
	s_delay_alu instid0(VALU_DEP_1) | instskip(SKIP_1) | instid1(VALU_DEP_1)
	v_fma_f64 v[41:42], -v[41:42], v[45:46], v[47:48]
	s_wait_alu 0xfffd
	v_div_fmas_f64 v[41:42], v[41:42], v[43:44], v[45:46]
	v_fma_f64 v[43:44], v[15:16], v[23:24], v[25:26]
	s_delay_alu instid0(VALU_DEP_2) | instskip(SKIP_1) | instid1(VALU_DEP_2)
	v_div_fixup_f64 v[17:18], v[41:42], v[17:18], 1.0
	v_fma_f64 v[41:42], v[15:16], v[25:26], -v[23:24]
	v_mul_f64_e32 v[15:16], v[43:44], v[17:18]
	s_delay_alu instid0(VALU_DEP_2)
	v_mul_f64_e32 v[17:18], v[41:42], v[17:18]
.LBB238_24:                             ;   in Loop: Header=BB238_16 Depth=2
	s_wait_alu 0xfffe
	s_and_not1_b32 vcc_lo, exec_lo, s40
	s_wait_alu 0xfffe
	s_cbranch_vccnz .LBB238_26
; %bb.25:                               ;   in Loop: Header=BB238_16 Depth=2
	v_div_scale_f64 v[15:16], null, v[19:20], v[19:20], v[21:22]
	v_div_scale_f64 v[43:44], vcc_lo, v[21:22], v[19:20], v[21:22]
	s_delay_alu instid0(VALU_DEP_2) | instskip(NEXT) | instid1(TRANS32_DEP_1)
	v_rcp_f64_e32 v[17:18], v[15:16]
	v_fma_f64 v[41:42], -v[15:16], v[17:18], 1.0
	s_delay_alu instid0(VALU_DEP_1) | instskip(NEXT) | instid1(VALU_DEP_1)
	v_fma_f64 v[17:18], v[17:18], v[41:42], v[17:18]
	v_fma_f64 v[41:42], -v[15:16], v[17:18], 1.0
	s_delay_alu instid0(VALU_DEP_1) | instskip(NEXT) | instid1(VALU_DEP_1)
	v_fma_f64 v[17:18], v[17:18], v[41:42], v[17:18]
	v_mul_f64_e32 v[41:42], v[43:44], v[17:18]
	s_delay_alu instid0(VALU_DEP_1) | instskip(SKIP_1) | instid1(VALU_DEP_1)
	v_fma_f64 v[15:16], -v[15:16], v[41:42], v[43:44]
	s_wait_alu 0xfffd
	v_div_fmas_f64 v[15:16], v[15:16], v[17:18], v[41:42]
	s_delay_alu instid0(VALU_DEP_1) | instskip(NEXT) | instid1(VALU_DEP_1)
	v_div_fixup_f64 v[15:16], v[15:16], v[19:20], v[21:22]
	v_fma_f64 v[17:18], v[21:22], v[15:16], v[19:20]
	s_delay_alu instid0(VALU_DEP_1) | instskip(SKIP_1) | instid1(VALU_DEP_2)
	v_div_scale_f64 v[19:20], null, v[17:18], v[17:18], 1.0
	v_div_scale_f64 v[43:44], vcc_lo, 1.0, v[17:18], 1.0
	v_rcp_f64_e32 v[21:22], v[19:20]
	s_delay_alu instid0(TRANS32_DEP_1) | instskip(NEXT) | instid1(VALU_DEP_1)
	v_fma_f64 v[41:42], -v[19:20], v[21:22], 1.0
	v_fma_f64 v[21:22], v[21:22], v[41:42], v[21:22]
	s_delay_alu instid0(VALU_DEP_1) | instskip(NEXT) | instid1(VALU_DEP_1)
	v_fma_f64 v[41:42], -v[19:20], v[21:22], 1.0
	v_fma_f64 v[21:22], v[21:22], v[41:42], v[21:22]
	s_delay_alu instid0(VALU_DEP_1) | instskip(NEXT) | instid1(VALU_DEP_1)
	v_mul_f64_e32 v[41:42], v[43:44], v[21:22]
	v_fma_f64 v[19:20], -v[19:20], v[41:42], v[43:44]
	s_wait_alu 0xfffd
	s_delay_alu instid0(VALU_DEP_1) | instskip(SKIP_1) | instid1(VALU_DEP_2)
	v_div_fmas_f64 v[19:20], v[19:20], v[21:22], v[41:42]
	v_fma_f64 v[21:22], v[15:16], v[25:26], v[23:24]
	v_div_fixup_f64 v[17:18], v[19:20], v[17:18], 1.0
	v_fma_f64 v[19:20], -v[15:16], v[23:24], v[25:26]
	s_delay_alu instid0(VALU_DEP_2) | instskip(NEXT) | instid1(VALU_DEP_2)
	v_mul_f64_e32 v[15:16], v[21:22], v[17:18]
	v_mul_f64_e32 v[17:18], v[19:20], v[17:18]
.LBB238_26:                             ;   in Loop: Header=BB238_16 Depth=2
	v_mov_b32_e32 v19, s39
	s_add_co_i32 s40, s39, 0x210
	s_lshl_b32 s38, s38, 4
	ds_load_b128 v[23:26], v19 offset:32
	ds_load_b128 v[19:22], v19 offset:1056
	s_wait_alu 0xfffe
	s_sub_co_i32 s38, s40, s38
	ds_store_b128 v40, v[15:18]
	s_wait_alu 0xfffe
	s_add_co_i32 s38, s38, s37
	s_wait_alu 0xfffe
	v_mov_b32_e32 v41, s38
	ds_load_b128 v[41:44], v41 offset:32
	s_wait_dscnt 0x3
	v_mul_f64_e32 v[45:46], v[13:14], v[25:26]
	v_mul_f64_e32 v[25:26], v[11:12], v[25:26]
	s_wait_dscnt 0x2
	v_cmp_ngt_f64_e64 s41, |v[19:20]|, |v[21:22]|
	s_wait_dscnt 0x0
	v_mul_f64_e32 v[47:48], v[17:18], v[43:44]
	v_mul_f64_e32 v[43:44], v[15:16], v[43:44]
	v_fma_f64 v[45:46], v[11:12], v[23:24], -v[45:46]
	v_fma_f64 v[23:24], v[13:14], v[23:24], v[25:26]
	s_and_b32 vcc_lo, exec_lo, s41
	s_mov_b32 s41, -1
	s_delay_alu instid0(VALU_DEP_4) | instskip(NEXT) | instid1(VALU_DEP_4)
	v_fma_f64 v[25:26], v[15:16], v[41:42], -v[47:48]
	v_fma_f64 v[41:42], v[17:18], v[41:42], v[43:44]
	s_delay_alu instid0(VALU_DEP_4) | instskip(NEXT) | instid1(VALU_DEP_4)
	v_add_f64_e64 v[7:8], v[7:8], -v[45:46]
	v_add_f64_e64 v[9:10], v[9:10], -v[23:24]
	s_delay_alu instid0(VALU_DEP_2) | instskip(NEXT) | instid1(VALU_DEP_2)
	v_add_f64_e64 v[23:24], v[7:8], -v[25:26]
	v_add_f64_e64 v[25:26], v[9:10], -v[41:42]
                                        ; implicit-def: $vgpr9_vgpr10
	s_wait_alu 0xfffe
	s_cbranch_vccz .LBB238_28
; %bb.27:                               ;   in Loop: Header=BB238_16 Depth=2
	v_div_scale_f64 v[7:8], null, v[21:22], v[21:22], v[19:20]
	v_div_scale_f64 v[42:43], vcc_lo, v[19:20], v[21:22], v[19:20]
	s_mov_b32 s41, 0
	v_rcp_f64_e32 v[9:10], v[7:8]
	s_delay_alu instid0(TRANS32_DEP_1) | instskip(NEXT) | instid1(VALU_DEP_1)
	v_fma_f64 v[40:41], -v[7:8], v[9:10], 1.0
	v_fma_f64 v[9:10], v[9:10], v[40:41], v[9:10]
	s_delay_alu instid0(VALU_DEP_1) | instskip(NEXT) | instid1(VALU_DEP_1)
	v_fma_f64 v[40:41], -v[7:8], v[9:10], 1.0
	v_fma_f64 v[9:10], v[9:10], v[40:41], v[9:10]
	s_delay_alu instid0(VALU_DEP_1) | instskip(NEXT) | instid1(VALU_DEP_1)
	v_mul_f64_e32 v[40:41], v[42:43], v[9:10]
	v_fma_f64 v[7:8], -v[7:8], v[40:41], v[42:43]
	s_wait_alu 0xfffd
	s_delay_alu instid0(VALU_DEP_1) | instskip(NEXT) | instid1(VALU_DEP_1)
	v_div_fmas_f64 v[7:8], v[7:8], v[9:10], v[40:41]
	v_div_fixup_f64 v[7:8], v[7:8], v[21:22], v[19:20]
	s_delay_alu instid0(VALU_DEP_1) | instskip(NEXT) | instid1(VALU_DEP_1)
	v_fma_f64 v[9:10], v[19:20], v[7:8], v[21:22]
	v_div_scale_f64 v[40:41], null, v[9:10], v[9:10], 1.0
	v_div_scale_f64 v[46:47], vcc_lo, 1.0, v[9:10], 1.0
	s_delay_alu instid0(VALU_DEP_2) | instskip(NEXT) | instid1(TRANS32_DEP_1)
	v_rcp_f64_e32 v[42:43], v[40:41]
	v_fma_f64 v[44:45], -v[40:41], v[42:43], 1.0
	s_delay_alu instid0(VALU_DEP_1) | instskip(NEXT) | instid1(VALU_DEP_1)
	v_fma_f64 v[42:43], v[42:43], v[44:45], v[42:43]
	v_fma_f64 v[44:45], -v[40:41], v[42:43], 1.0
	s_delay_alu instid0(VALU_DEP_1) | instskip(NEXT) | instid1(VALU_DEP_1)
	v_fma_f64 v[42:43], v[42:43], v[44:45], v[42:43]
	v_mul_f64_e32 v[44:45], v[46:47], v[42:43]
	s_delay_alu instid0(VALU_DEP_1) | instskip(SKIP_1) | instid1(VALU_DEP_1)
	v_fma_f64 v[40:41], -v[40:41], v[44:45], v[46:47]
	s_wait_alu 0xfffd
	v_div_fmas_f64 v[40:41], v[40:41], v[42:43], v[44:45]
	v_fma_f64 v[42:43], v[7:8], v[23:24], v[25:26]
	s_delay_alu instid0(VALU_DEP_2) | instskip(SKIP_1) | instid1(VALU_DEP_2)
	v_div_fixup_f64 v[9:10], v[40:41], v[9:10], 1.0
	v_fma_f64 v[40:41], v[7:8], v[25:26], -v[23:24]
	v_mul_f64_e32 v[7:8], v[42:43], v[9:10]
	s_delay_alu instid0(VALU_DEP_2)
	v_mul_f64_e32 v[9:10], v[40:41], v[9:10]
.LBB238_28:                             ;   in Loop: Header=BB238_16 Depth=2
	s_wait_alu 0xfffe
	s_and_not1_b32 vcc_lo, exec_lo, s41
	s_wait_alu 0xfffe
	s_cbranch_vccnz .LBB238_30
; %bb.29:                               ;   in Loop: Header=BB238_16 Depth=2
	v_div_scale_f64 v[7:8], null, v[19:20], v[19:20], v[21:22]
	v_div_scale_f64 v[42:43], vcc_lo, v[21:22], v[19:20], v[21:22]
	s_delay_alu instid0(VALU_DEP_2) | instskip(NEXT) | instid1(TRANS32_DEP_1)
	v_rcp_f64_e32 v[9:10], v[7:8]
	v_fma_f64 v[40:41], -v[7:8], v[9:10], 1.0
	s_delay_alu instid0(VALU_DEP_1) | instskip(NEXT) | instid1(VALU_DEP_1)
	v_fma_f64 v[9:10], v[9:10], v[40:41], v[9:10]
	v_fma_f64 v[40:41], -v[7:8], v[9:10], 1.0
	s_delay_alu instid0(VALU_DEP_1) | instskip(NEXT) | instid1(VALU_DEP_1)
	v_fma_f64 v[9:10], v[9:10], v[40:41], v[9:10]
	v_mul_f64_e32 v[40:41], v[42:43], v[9:10]
	s_delay_alu instid0(VALU_DEP_1) | instskip(SKIP_1) | instid1(VALU_DEP_1)
	v_fma_f64 v[7:8], -v[7:8], v[40:41], v[42:43]
	s_wait_alu 0xfffd
	v_div_fmas_f64 v[7:8], v[7:8], v[9:10], v[40:41]
	s_delay_alu instid0(VALU_DEP_1) | instskip(NEXT) | instid1(VALU_DEP_1)
	v_div_fixup_f64 v[7:8], v[7:8], v[19:20], v[21:22]
	v_fma_f64 v[9:10], v[21:22], v[7:8], v[19:20]
	s_delay_alu instid0(VALU_DEP_1) | instskip(SKIP_1) | instid1(VALU_DEP_2)
	v_div_scale_f64 v[19:20], null, v[9:10], v[9:10], 1.0
	v_div_scale_f64 v[42:43], vcc_lo, 1.0, v[9:10], 1.0
	v_rcp_f64_e32 v[21:22], v[19:20]
	s_delay_alu instid0(TRANS32_DEP_1) | instskip(NEXT) | instid1(VALU_DEP_1)
	v_fma_f64 v[40:41], -v[19:20], v[21:22], 1.0
	v_fma_f64 v[21:22], v[21:22], v[40:41], v[21:22]
	s_delay_alu instid0(VALU_DEP_1) | instskip(NEXT) | instid1(VALU_DEP_1)
	v_fma_f64 v[40:41], -v[19:20], v[21:22], 1.0
	v_fma_f64 v[21:22], v[21:22], v[40:41], v[21:22]
	s_delay_alu instid0(VALU_DEP_1) | instskip(NEXT) | instid1(VALU_DEP_1)
	v_mul_f64_e32 v[40:41], v[42:43], v[21:22]
	v_fma_f64 v[19:20], -v[19:20], v[40:41], v[42:43]
	s_wait_alu 0xfffd
	s_delay_alu instid0(VALU_DEP_1) | instskip(SKIP_1) | instid1(VALU_DEP_2)
	v_div_fmas_f64 v[19:20], v[19:20], v[21:22], v[40:41]
	v_fma_f64 v[21:22], v[7:8], v[25:26], v[23:24]
	v_div_fixup_f64 v[9:10], v[19:20], v[9:10], 1.0
	v_fma_f64 v[19:20], -v[7:8], v[23:24], v[25:26]
	s_delay_alu instid0(VALU_DEP_2) | instskip(NEXT) | instid1(VALU_DEP_2)
	v_mul_f64_e32 v[7:8], v[21:22], v[9:10]
	v_mul_f64_e32 v[9:10], v[19:20], v[9:10]
.LBB238_30:                             ;   in Loop: Header=BB238_16 Depth=2
	v_dual_mov_b32 v19, s39 :: v_dual_mov_b32 v40, s38
	s_lshl_b32 s36, s36, 4
	ds_load_b128 v[23:26], v19 offset:48
	ds_load_b128 v[19:22], v19 offset:1584
	;; [unrolled: 1-line block ×3, first 2 shown]
	s_wait_alu 0xfffe
	s_sub_co_i32 s36, s40, s36
	ds_store_b128 v39, v[7:10]
	s_wait_alu 0xfffe
	s_add_co_i32 s36, s36, s37
	s_wait_alu 0xfffe
	v_mov_b32_e32 v44, s36
	ds_load_b128 v[44:47], v44 offset:576
	s_wait_dscnt 0x4
	v_mul_f64_e32 v[48:49], v[13:14], v[25:26]
	v_mul_f64_e32 v[25:26], v[11:12], v[25:26]
	s_wait_dscnt 0x2
	v_mul_f64_e32 v[50:51], v[17:18], v[42:43]
	v_mul_f64_e32 v[42:43], v[15:16], v[42:43]
	v_cmp_ngt_f64_e64 s36, |v[19:20]|, |v[21:22]|
	v_fma_f64 v[11:12], v[11:12], v[23:24], -v[48:49]
	v_fma_f64 v[13:14], v[13:14], v[23:24], v[25:26]
	s_wait_dscnt 0x0
	v_mul_f64_e32 v[23:24], v[9:10], v[46:47]
	v_mul_f64_e32 v[25:26], v[7:8], v[46:47]
	v_fma_f64 v[15:16], v[15:16], v[40:41], -v[50:51]
	v_fma_f64 v[17:18], v[17:18], v[40:41], v[42:43]
	s_and_b32 vcc_lo, exec_lo, s36
	s_mov_b32 s36, -1
	v_add_f64_e64 v[3:4], v[3:4], -v[11:12]
	v_add_f64_e64 v[5:6], v[5:6], -v[13:14]
	v_fma_f64 v[11:12], v[7:8], v[44:45], -v[23:24]
	v_fma_f64 v[13:14], v[9:10], v[44:45], v[25:26]
	s_delay_alu instid0(VALU_DEP_4) | instskip(NEXT) | instid1(VALU_DEP_4)
	v_add_f64_e64 v[3:4], v[3:4], -v[15:16]
	v_add_f64_e64 v[5:6], v[5:6], -v[17:18]
	s_delay_alu instid0(VALU_DEP_2) | instskip(NEXT) | instid1(VALU_DEP_2)
	v_add_f64_e64 v[11:12], v[3:4], -v[11:12]
	v_add_f64_e64 v[13:14], v[5:6], -v[13:14]
                                        ; implicit-def: $vgpr5_vgpr6
	s_wait_alu 0xfffe
	s_cbranch_vccz .LBB238_32
; %bb.31:                               ;   in Loop: Header=BB238_16 Depth=2
	v_div_scale_f64 v[3:4], null, v[21:22], v[21:22], v[19:20]
	v_div_scale_f64 v[9:10], vcc_lo, v[19:20], v[21:22], v[19:20]
	s_mov_b32 s36, 0
	v_rcp_f64_e32 v[5:6], v[3:4]
	s_delay_alu instid0(TRANS32_DEP_1) | instskip(NEXT) | instid1(VALU_DEP_1)
	v_fma_f64 v[7:8], -v[3:4], v[5:6], 1.0
	v_fma_f64 v[5:6], v[5:6], v[7:8], v[5:6]
	s_delay_alu instid0(VALU_DEP_1) | instskip(NEXT) | instid1(VALU_DEP_1)
	v_fma_f64 v[7:8], -v[3:4], v[5:6], 1.0
	v_fma_f64 v[5:6], v[5:6], v[7:8], v[5:6]
	s_delay_alu instid0(VALU_DEP_1) | instskip(NEXT) | instid1(VALU_DEP_1)
	v_mul_f64_e32 v[7:8], v[9:10], v[5:6]
	v_fma_f64 v[3:4], -v[3:4], v[7:8], v[9:10]
	s_wait_alu 0xfffd
	s_delay_alu instid0(VALU_DEP_1) | instskip(NEXT) | instid1(VALU_DEP_1)
	v_div_fmas_f64 v[3:4], v[3:4], v[5:6], v[7:8]
	v_div_fixup_f64 v[3:4], v[3:4], v[21:22], v[19:20]
	s_delay_alu instid0(VALU_DEP_1) | instskip(NEXT) | instid1(VALU_DEP_1)
	v_fma_f64 v[5:6], v[19:20], v[3:4], v[21:22]
	v_div_scale_f64 v[7:8], null, v[5:6], v[5:6], 1.0
	v_div_scale_f64 v[17:18], vcc_lo, 1.0, v[5:6], 1.0
	s_delay_alu instid0(VALU_DEP_2) | instskip(NEXT) | instid1(TRANS32_DEP_1)
	v_rcp_f64_e32 v[9:10], v[7:8]
	v_fma_f64 v[15:16], -v[7:8], v[9:10], 1.0
	s_delay_alu instid0(VALU_DEP_1) | instskip(NEXT) | instid1(VALU_DEP_1)
	v_fma_f64 v[9:10], v[9:10], v[15:16], v[9:10]
	v_fma_f64 v[15:16], -v[7:8], v[9:10], 1.0
	s_delay_alu instid0(VALU_DEP_1) | instskip(NEXT) | instid1(VALU_DEP_1)
	v_fma_f64 v[9:10], v[9:10], v[15:16], v[9:10]
	v_mul_f64_e32 v[15:16], v[17:18], v[9:10]
	s_delay_alu instid0(VALU_DEP_1) | instskip(SKIP_1) | instid1(VALU_DEP_1)
	v_fma_f64 v[7:8], -v[7:8], v[15:16], v[17:18]
	s_wait_alu 0xfffd
	v_div_fmas_f64 v[7:8], v[7:8], v[9:10], v[15:16]
	v_fma_f64 v[9:10], v[3:4], v[11:12], v[13:14]
	s_delay_alu instid0(VALU_DEP_2) | instskip(SKIP_1) | instid1(VALU_DEP_2)
	v_div_fixup_f64 v[5:6], v[7:8], v[5:6], 1.0
	v_fma_f64 v[7:8], v[3:4], v[13:14], -v[11:12]
	v_mul_f64_e32 v[3:4], v[9:10], v[5:6]
	s_delay_alu instid0(VALU_DEP_2)
	v_mul_f64_e32 v[5:6], v[7:8], v[5:6]
.LBB238_32:                             ;   in Loop: Header=BB238_16 Depth=2
	s_wait_alu 0xfffe
	s_and_not1_b32 vcc_lo, exec_lo, s36
	s_wait_alu 0xfffe
	s_cbranch_vccnz .LBB238_34
; %bb.33:                               ;   in Loop: Header=BB238_16 Depth=2
	v_div_scale_f64 v[3:4], null, v[19:20], v[19:20], v[21:22]
	v_div_scale_f64 v[9:10], vcc_lo, v[21:22], v[19:20], v[21:22]
	s_delay_alu instid0(VALU_DEP_2) | instskip(NEXT) | instid1(TRANS32_DEP_1)
	v_rcp_f64_e32 v[5:6], v[3:4]
	v_fma_f64 v[7:8], -v[3:4], v[5:6], 1.0
	s_delay_alu instid0(VALU_DEP_1) | instskip(NEXT) | instid1(VALU_DEP_1)
	v_fma_f64 v[5:6], v[5:6], v[7:8], v[5:6]
	v_fma_f64 v[7:8], -v[3:4], v[5:6], 1.0
	s_delay_alu instid0(VALU_DEP_1) | instskip(NEXT) | instid1(VALU_DEP_1)
	v_fma_f64 v[5:6], v[5:6], v[7:8], v[5:6]
	v_mul_f64_e32 v[7:8], v[9:10], v[5:6]
	s_delay_alu instid0(VALU_DEP_1) | instskip(SKIP_1) | instid1(VALU_DEP_1)
	v_fma_f64 v[3:4], -v[3:4], v[7:8], v[9:10]
	s_wait_alu 0xfffd
	v_div_fmas_f64 v[3:4], v[3:4], v[5:6], v[7:8]
	s_delay_alu instid0(VALU_DEP_1) | instskip(NEXT) | instid1(VALU_DEP_1)
	v_div_fixup_f64 v[3:4], v[3:4], v[19:20], v[21:22]
	v_fma_f64 v[5:6], v[21:22], v[3:4], v[19:20]
	s_delay_alu instid0(VALU_DEP_1) | instskip(SKIP_1) | instid1(VALU_DEP_2)
	v_div_scale_f64 v[7:8], null, v[5:6], v[5:6], 1.0
	v_div_scale_f64 v[17:18], vcc_lo, 1.0, v[5:6], 1.0
	v_rcp_f64_e32 v[9:10], v[7:8]
	s_delay_alu instid0(TRANS32_DEP_1) | instskip(NEXT) | instid1(VALU_DEP_1)
	v_fma_f64 v[15:16], -v[7:8], v[9:10], 1.0
	v_fma_f64 v[9:10], v[9:10], v[15:16], v[9:10]
	s_delay_alu instid0(VALU_DEP_1) | instskip(NEXT) | instid1(VALU_DEP_1)
	v_fma_f64 v[15:16], -v[7:8], v[9:10], 1.0
	v_fma_f64 v[9:10], v[9:10], v[15:16], v[9:10]
	s_delay_alu instid0(VALU_DEP_1) | instskip(NEXT) | instid1(VALU_DEP_1)
	v_mul_f64_e32 v[15:16], v[17:18], v[9:10]
	v_fma_f64 v[7:8], -v[7:8], v[15:16], v[17:18]
	s_wait_alu 0xfffd
	s_delay_alu instid0(VALU_DEP_1) | instskip(SKIP_1) | instid1(VALU_DEP_2)
	v_div_fmas_f64 v[7:8], v[7:8], v[9:10], v[15:16]
	v_fma_f64 v[9:10], v[3:4], v[13:14], v[11:12]
	v_div_fixup_f64 v[5:6], v[7:8], v[5:6], 1.0
	v_fma_f64 v[7:8], -v[3:4], v[11:12], v[13:14]
	s_delay_alu instid0(VALU_DEP_2) | instskip(NEXT) | instid1(VALU_DEP_2)
	v_mul_f64_e32 v[3:4], v[9:10], v[5:6]
	v_mul_f64_e32 v[5:6], v[7:8], v[5:6]
.LBB238_34:                             ;   in Loop: Header=BB238_16 Depth=2
	s_add_co_i32 s36, s19, 4
	s_add_co_i32 s19, s19, 7
	;; [unrolled: 1-line block ×3, first 2 shown]
	s_wait_alu 0xfffe
	s_cmp_ge_i32 s19, s28
	ds_store_b128 v38, v[3:6]
	s_cbranch_scc1 .LBB238_36
; %bb.35:                               ;   in Loop: Header=BB238_16 Depth=2
	s_mov_b32 s19, s36
	s_branch .LBB238_16
.LBB238_36:                             ;   in Loop: Header=BB238_3 Depth=1
	s_wait_alu 0xfffe
	s_cmp_ge_i32 s36, s28
	s_cbranch_scc1 .LBB238_45
; %bb.37:                               ;   in Loop: Header=BB238_3 Depth=1
	s_lshl_b32 s18, s36, 4
	s_branch .LBB238_39
.LBB238_38:                             ;   in Loop: Header=BB238_39 Depth=2
	s_add_co_i32 s36, s36, 1
	s_add_co_i32 s18, s18, 16
	s_wait_alu 0xfffe
	s_cmp_ge_i32 s36, s28
	ds_store_b128 v15, v[11:14]
	s_cbranch_scc1 .LBB238_45
.LBB238_39:                             ;   Parent Loop BB238_3 Depth=1
                                        ; =>  This Loop Header: Depth=2
                                        ;       Child Loop BB238_40 Depth 3
	s_lshl_b32 s19, s36, 9
	v_mov_b32_e32 v7, v30
	s_wait_alu 0xfffe
	v_add_nc_u32_e32 v15, s19, v30
	s_cmp_eq_u32 s36, 0
	s_mov_b32 s37, s18
	s_mov_b32 s38, s36
	ds_load_b128 v[3:6], v15
	s_cbranch_scc1 .LBB238_41
.LBB238_40:                             ;   Parent Loop BB238_3 Depth=1
                                        ;     Parent Loop BB238_39 Depth=2
                                        ; =>    This Inner Loop Header: Depth=3
	s_wait_alu 0xfffe
	v_mov_b32_e32 v12, s37
	s_add_co_i32 s38, s38, -1
	s_addk_co_i32 s37, 0x200
	s_wait_alu 0xfffe
	s_cmp_eq_u32 s38, 0
	ds_load_b128 v[8:11], v7
	ds_load_b128 v[16:19], v12
	v_add_nc_u32_e32 v7, 0x200, v7
	s_wait_dscnt 0x0
	v_mul_f64_e32 v[12:13], v[18:19], v[10:11]
	v_mul_f64_e32 v[10:11], v[16:17], v[10:11]
	s_delay_alu instid0(VALU_DEP_2) | instskip(NEXT) | instid1(VALU_DEP_2)
	v_fma_f64 v[12:13], v[16:17], v[8:9], -v[12:13]
	v_fma_f64 v[8:9], v[18:19], v[8:9], v[10:11]
	s_delay_alu instid0(VALU_DEP_2) | instskip(NEXT) | instid1(VALU_DEP_2)
	v_add_f64_e64 v[3:4], v[3:4], -v[12:13]
	v_add_f64_e64 v[5:6], v[5:6], -v[8:9]
	s_cbranch_scc0 .LBB238_40
.LBB238_41:                             ;   in Loop: Header=BB238_39 Depth=2
	s_lshl_b32 s37, s36, 4
                                        ; implicit-def: $vgpr11_vgpr12
	s_wait_alu 0xfffe
	s_add_co_i32 s19, s37, s19
	s_wait_alu 0xfffe
	v_mov_b32_e32 v7, s19
	ds_load_b128 v[7:10], v7
	s_wait_dscnt 0x0
	v_cmp_ngt_f64_e64 s19, |v[7:8]|, |v[9:10]|
	s_and_b32 vcc_lo, exec_lo, s19
	s_mov_b32 s19, -1
	s_wait_alu 0xfffe
	s_cbranch_vccz .LBB238_43
; %bb.42:                               ;   in Loop: Header=BB238_39 Depth=2
	v_div_scale_f64 v[11:12], null, v[9:10], v[9:10], v[7:8]
	v_div_scale_f64 v[18:19], vcc_lo, v[7:8], v[9:10], v[7:8]
	s_mov_b32 s19, 0
	v_rcp_f64_e32 v[13:14], v[11:12]
	s_delay_alu instid0(TRANS32_DEP_1) | instskip(NEXT) | instid1(VALU_DEP_1)
	v_fma_f64 v[16:17], -v[11:12], v[13:14], 1.0
	v_fma_f64 v[13:14], v[13:14], v[16:17], v[13:14]
	s_delay_alu instid0(VALU_DEP_1) | instskip(NEXT) | instid1(VALU_DEP_1)
	v_fma_f64 v[16:17], -v[11:12], v[13:14], 1.0
	v_fma_f64 v[13:14], v[13:14], v[16:17], v[13:14]
	s_delay_alu instid0(VALU_DEP_1) | instskip(NEXT) | instid1(VALU_DEP_1)
	v_mul_f64_e32 v[16:17], v[18:19], v[13:14]
	v_fma_f64 v[11:12], -v[11:12], v[16:17], v[18:19]
	s_wait_alu 0xfffd
	s_delay_alu instid0(VALU_DEP_1) | instskip(NEXT) | instid1(VALU_DEP_1)
	v_div_fmas_f64 v[11:12], v[11:12], v[13:14], v[16:17]
	v_div_fixup_f64 v[11:12], v[11:12], v[9:10], v[7:8]
	s_delay_alu instid0(VALU_DEP_1) | instskip(NEXT) | instid1(VALU_DEP_1)
	v_fma_f64 v[13:14], v[7:8], v[11:12], v[9:10]
	v_div_scale_f64 v[16:17], null, v[13:14], v[13:14], 1.0
	v_div_scale_f64 v[22:23], vcc_lo, 1.0, v[13:14], 1.0
	s_delay_alu instid0(VALU_DEP_2) | instskip(NEXT) | instid1(TRANS32_DEP_1)
	v_rcp_f64_e32 v[18:19], v[16:17]
	v_fma_f64 v[20:21], -v[16:17], v[18:19], 1.0
	s_delay_alu instid0(VALU_DEP_1) | instskip(NEXT) | instid1(VALU_DEP_1)
	v_fma_f64 v[18:19], v[18:19], v[20:21], v[18:19]
	v_fma_f64 v[20:21], -v[16:17], v[18:19], 1.0
	s_delay_alu instid0(VALU_DEP_1) | instskip(NEXT) | instid1(VALU_DEP_1)
	v_fma_f64 v[18:19], v[18:19], v[20:21], v[18:19]
	v_mul_f64_e32 v[20:21], v[22:23], v[18:19]
	s_delay_alu instid0(VALU_DEP_1) | instskip(SKIP_1) | instid1(VALU_DEP_1)
	v_fma_f64 v[16:17], -v[16:17], v[20:21], v[22:23]
	s_wait_alu 0xfffd
	v_div_fmas_f64 v[16:17], v[16:17], v[18:19], v[20:21]
	v_fma_f64 v[18:19], v[3:4], v[11:12], v[5:6]
	s_delay_alu instid0(VALU_DEP_2) | instskip(SKIP_1) | instid1(VALU_DEP_2)
	v_div_fixup_f64 v[13:14], v[16:17], v[13:14], 1.0
	v_fma_f64 v[16:17], v[5:6], v[11:12], -v[3:4]
	v_mul_f64_e32 v[11:12], v[18:19], v[13:14]
	s_delay_alu instid0(VALU_DEP_2)
	v_mul_f64_e32 v[13:14], v[16:17], v[13:14]
.LBB238_43:                             ;   in Loop: Header=BB238_39 Depth=2
	s_wait_alu 0xfffe
	s_and_not1_b32 vcc_lo, exec_lo, s19
	s_wait_alu 0xfffe
	s_cbranch_vccnz .LBB238_38
; %bb.44:                               ;   in Loop: Header=BB238_39 Depth=2
	v_div_scale_f64 v[11:12], null, v[7:8], v[7:8], v[9:10]
	v_div_scale_f64 v[18:19], vcc_lo, v[9:10], v[7:8], v[9:10]
	s_delay_alu instid0(VALU_DEP_2) | instskip(NEXT) | instid1(TRANS32_DEP_1)
	v_rcp_f64_e32 v[13:14], v[11:12]
	v_fma_f64 v[16:17], -v[11:12], v[13:14], 1.0
	s_delay_alu instid0(VALU_DEP_1) | instskip(NEXT) | instid1(VALU_DEP_1)
	v_fma_f64 v[13:14], v[13:14], v[16:17], v[13:14]
	v_fma_f64 v[16:17], -v[11:12], v[13:14], 1.0
	s_delay_alu instid0(VALU_DEP_1) | instskip(NEXT) | instid1(VALU_DEP_1)
	v_fma_f64 v[13:14], v[13:14], v[16:17], v[13:14]
	v_mul_f64_e32 v[16:17], v[18:19], v[13:14]
	s_delay_alu instid0(VALU_DEP_1) | instskip(SKIP_1) | instid1(VALU_DEP_1)
	v_fma_f64 v[11:12], -v[11:12], v[16:17], v[18:19]
	s_wait_alu 0xfffd
	v_div_fmas_f64 v[11:12], v[11:12], v[13:14], v[16:17]
	s_delay_alu instid0(VALU_DEP_1) | instskip(NEXT) | instid1(VALU_DEP_1)
	v_div_fixup_f64 v[11:12], v[11:12], v[7:8], v[9:10]
	v_fma_f64 v[7:8], v[9:10], v[11:12], v[7:8]
	s_delay_alu instid0(VALU_DEP_1) | instskip(SKIP_1) | instid1(VALU_DEP_2)
	v_div_scale_f64 v[9:10], null, v[7:8], v[7:8], 1.0
	v_div_scale_f64 v[18:19], vcc_lo, 1.0, v[7:8], 1.0
	v_rcp_f64_e32 v[13:14], v[9:10]
	s_delay_alu instid0(TRANS32_DEP_1) | instskip(NEXT) | instid1(VALU_DEP_1)
	v_fma_f64 v[16:17], -v[9:10], v[13:14], 1.0
	v_fma_f64 v[13:14], v[13:14], v[16:17], v[13:14]
	s_delay_alu instid0(VALU_DEP_1) | instskip(NEXT) | instid1(VALU_DEP_1)
	v_fma_f64 v[16:17], -v[9:10], v[13:14], 1.0
	v_fma_f64 v[13:14], v[13:14], v[16:17], v[13:14]
	s_delay_alu instid0(VALU_DEP_1) | instskip(NEXT) | instid1(VALU_DEP_1)
	v_mul_f64_e32 v[16:17], v[18:19], v[13:14]
	v_fma_f64 v[9:10], -v[9:10], v[16:17], v[18:19]
	s_wait_alu 0xfffd
	s_delay_alu instid0(VALU_DEP_1) | instskip(SKIP_2) | instid1(VALU_DEP_3)
	v_div_fmas_f64 v[9:10], v[9:10], v[13:14], v[16:17]
	v_fma_f64 v[13:14], v[5:6], v[11:12], v[3:4]
	v_fma_f64 v[3:4], -v[3:4], v[11:12], v[5:6]
	v_div_fixup_f64 v[7:8], v[9:10], v[7:8], 1.0
	s_delay_alu instid0(VALU_DEP_1) | instskip(NEXT) | instid1(VALU_DEP_3)
	v_mul_f64_e32 v[11:12], v[13:14], v[7:8]
	v_mul_f64_e32 v[13:14], v[3:4], v[7:8]
	s_branch .LBB238_38
.LBB238_45:                             ;   in Loop: Header=BB238_3 Depth=1
	s_mov_b32 s18, 0
.LBB238_46:                             ;   in Loop: Header=BB238_3 Depth=1
	s_wait_alu 0xfffe
	s_and_b32 vcc_lo, exec_lo, s18
	s_wait_alu 0xfffe
	s_cbranch_vccz .LBB238_77
; %bb.47:                               ;   in Loop: Header=BB238_3 Depth=1
	s_mov_b32 s36, s29
	s_and_not1_b32 vcc_lo, exec_lo, s34
	s_mov_b32 s18, s22
	s_mov_b32 s19, s29
	s_wait_alu 0xfffe
	s_cbranch_vccnz .LBB238_68
.LBB238_48:                             ;   Parent Loop BB238_3 Depth=1
                                        ; =>  This Loop Header: Depth=2
                                        ;       Child Loop BB238_49 Depth 3
	s_wait_alu 0xfffe
	s_add_co_i32 s38, s19, -1
	s_add_co_i32 s36, s19, -3
	v_lshl_add_u32 v41, s19, 9, v30
	s_add_co_i32 s37, s19, -2
	s_wait_alu 0xfffe
	v_lshl_add_u32 v40, s38, 9, v30
	s_lshl_b32 s39, s36, 9
	v_lshl_add_u32 v39, s37, 9, v30
	s_wait_alu 0xfffe
	v_dual_mov_b32 v11, v36 :: v_dual_add_nc_u32 v38, s39, v30
	ds_load_b128 v[19:22], v41
	ds_load_b128 v[15:18], v40
	;; [unrolled: 1-line block ×4, first 2 shown]
	s_cmp_le_i32 s29, s19
	s_mov_b32 s39, s18
	s_mov_b32 s40, s29
	s_cbranch_scc1 .LBB238_50
.LBB238_49:                             ;   Parent Loop BB238_3 Depth=1
                                        ;     Parent Loop BB238_48 Depth=2
                                        ; =>    This Inner Loop Header: Depth=3
	s_wait_alu 0xfffe
	v_mov_b32_e32 v12, s39
	s_add_co_i32 s40, s40, -1
	s_addk_co_i32 s39, 0xfe00
	s_wait_alu 0xfffe
	s_cmp_le_i32 s40, s19
	ds_load_b128 v[23:26], v11
	ds_load_b128 v[42:45], v12 offset:48
	ds_load_b128 v[46:49], v12 offset:32
	ds_load_b128 v[50:53], v12 offset:16
	ds_load_b128 v[54:57], v12
	v_add_nc_u32_e32 v11, 0xfffffe00, v11
	s_wait_dscnt 0x3
	v_mul_f64_e32 v[12:13], v[25:26], v[44:45]
	v_mul_f64_e32 v[44:45], v[23:24], v[44:45]
	s_wait_dscnt 0x2
	v_mul_f64_e32 v[58:59], v[25:26], v[48:49]
	v_mul_f64_e32 v[48:49], v[23:24], v[48:49]
	;; [unrolled: 3-line block ×4, first 2 shown]
	v_fma_f64 v[12:13], v[23:24], v[42:43], -v[12:13]
	v_fma_f64 v[42:43], v[25:26], v[42:43], v[44:45]
	v_fma_f64 v[44:45], v[23:24], v[46:47], -v[58:59]
	v_fma_f64 v[46:47], v[25:26], v[46:47], v[48:49]
	;; [unrolled: 2-line block ×4, first 2 shown]
	v_add_f64_e64 v[19:20], v[19:20], -v[12:13]
	v_add_f64_e64 v[21:22], v[21:22], -v[42:43]
	v_add_f64_e64 v[15:16], v[15:16], -v[44:45]
	v_add_f64_e64 v[17:18], v[17:18], -v[46:47]
	v_add_f64_e64 v[7:8], v[7:8], -v[48:49]
	v_add_f64_e64 v[9:10], v[9:10], -v[50:51]
	v_add_f64_e64 v[3:4], v[3:4], -v[23:24]
	v_add_f64_e64 v[5:6], v[5:6], -v[25:26]
	s_cbranch_scc0 .LBB238_49
.LBB238_50:                             ;   in Loop: Header=BB238_48 Depth=2
	s_lshl_b32 s40, s19, 4
	s_lshl_b32 s39, s19, 9
	s_wait_alu 0xfffe
	s_add_co_i32 s39, s40, s39
	s_wait_alu 0xfffe
	v_mov_b32_e32 v11, s39
	ds_load_b128 v[23:26], v11
                                        ; implicit-def: $vgpr13_vgpr14
	s_wait_dscnt 0x0
	v_cmp_ngt_f64_e64 s41, |v[23:24]|, |v[25:26]|
	s_and_b32 vcc_lo, exec_lo, s41
	s_mov_b32 s41, -1
	s_wait_alu 0xfffe
	s_cbranch_vccz .LBB238_52
; %bb.51:                               ;   in Loop: Header=BB238_48 Depth=2
	v_div_scale_f64 v[11:12], null, v[25:26], v[25:26], v[23:24]
	v_div_scale_f64 v[44:45], vcc_lo, v[23:24], v[25:26], v[23:24]
	s_mov_b32 s41, 0
	v_rcp_f64_e32 v[13:14], v[11:12]
	s_delay_alu instid0(TRANS32_DEP_1) | instskip(NEXT) | instid1(VALU_DEP_1)
	v_fma_f64 v[42:43], -v[11:12], v[13:14], 1.0
	v_fma_f64 v[13:14], v[13:14], v[42:43], v[13:14]
	s_delay_alu instid0(VALU_DEP_1) | instskip(NEXT) | instid1(VALU_DEP_1)
	v_fma_f64 v[42:43], -v[11:12], v[13:14], 1.0
	v_fma_f64 v[13:14], v[13:14], v[42:43], v[13:14]
	s_delay_alu instid0(VALU_DEP_1) | instskip(NEXT) | instid1(VALU_DEP_1)
	v_mul_f64_e32 v[42:43], v[44:45], v[13:14]
	v_fma_f64 v[11:12], -v[11:12], v[42:43], v[44:45]
	s_wait_alu 0xfffd
	s_delay_alu instid0(VALU_DEP_1) | instskip(NEXT) | instid1(VALU_DEP_1)
	v_div_fmas_f64 v[11:12], v[11:12], v[13:14], v[42:43]
	v_div_fixup_f64 v[11:12], v[11:12], v[25:26], v[23:24]
	s_delay_alu instid0(VALU_DEP_1) | instskip(NEXT) | instid1(VALU_DEP_1)
	v_fma_f64 v[13:14], v[23:24], v[11:12], v[25:26]
	v_div_scale_f64 v[42:43], null, v[13:14], v[13:14], 1.0
	v_div_scale_f64 v[48:49], vcc_lo, 1.0, v[13:14], 1.0
	s_delay_alu instid0(VALU_DEP_2) | instskip(NEXT) | instid1(TRANS32_DEP_1)
	v_rcp_f64_e32 v[44:45], v[42:43]
	v_fma_f64 v[46:47], -v[42:43], v[44:45], 1.0
	s_delay_alu instid0(VALU_DEP_1) | instskip(NEXT) | instid1(VALU_DEP_1)
	v_fma_f64 v[44:45], v[44:45], v[46:47], v[44:45]
	v_fma_f64 v[46:47], -v[42:43], v[44:45], 1.0
	s_delay_alu instid0(VALU_DEP_1) | instskip(NEXT) | instid1(VALU_DEP_1)
	v_fma_f64 v[44:45], v[44:45], v[46:47], v[44:45]
	v_mul_f64_e32 v[46:47], v[48:49], v[44:45]
	s_delay_alu instid0(VALU_DEP_1) | instskip(SKIP_1) | instid1(VALU_DEP_1)
	v_fma_f64 v[42:43], -v[42:43], v[46:47], v[48:49]
	s_wait_alu 0xfffd
	v_div_fmas_f64 v[42:43], v[42:43], v[44:45], v[46:47]
	v_fma_f64 v[44:45], v[19:20], v[11:12], v[21:22]
	s_delay_alu instid0(VALU_DEP_2) | instskip(SKIP_1) | instid1(VALU_DEP_2)
	v_div_fixup_f64 v[13:14], v[42:43], v[13:14], 1.0
	v_fma_f64 v[42:43], v[21:22], v[11:12], -v[19:20]
	v_mul_f64_e32 v[11:12], v[44:45], v[13:14]
	s_delay_alu instid0(VALU_DEP_2)
	v_mul_f64_e32 v[13:14], v[42:43], v[13:14]
.LBB238_52:                             ;   in Loop: Header=BB238_48 Depth=2
	s_wait_alu 0xfffe
	s_and_not1_b32 vcc_lo, exec_lo, s41
	s_wait_alu 0xfffe
	s_cbranch_vccnz .LBB238_54
; %bb.53:                               ;   in Loop: Header=BB238_48 Depth=2
	v_div_scale_f64 v[11:12], null, v[23:24], v[23:24], v[25:26]
	v_div_scale_f64 v[44:45], vcc_lo, v[25:26], v[23:24], v[25:26]
	s_delay_alu instid0(VALU_DEP_2) | instskip(NEXT) | instid1(TRANS32_DEP_1)
	v_rcp_f64_e32 v[13:14], v[11:12]
	v_fma_f64 v[42:43], -v[11:12], v[13:14], 1.0
	s_delay_alu instid0(VALU_DEP_1) | instskip(NEXT) | instid1(VALU_DEP_1)
	v_fma_f64 v[13:14], v[13:14], v[42:43], v[13:14]
	v_fma_f64 v[42:43], -v[11:12], v[13:14], 1.0
	s_delay_alu instid0(VALU_DEP_1) | instskip(NEXT) | instid1(VALU_DEP_1)
	v_fma_f64 v[13:14], v[13:14], v[42:43], v[13:14]
	v_mul_f64_e32 v[42:43], v[44:45], v[13:14]
	s_delay_alu instid0(VALU_DEP_1) | instskip(SKIP_1) | instid1(VALU_DEP_1)
	v_fma_f64 v[11:12], -v[11:12], v[42:43], v[44:45]
	s_wait_alu 0xfffd
	v_div_fmas_f64 v[11:12], v[11:12], v[13:14], v[42:43]
	s_delay_alu instid0(VALU_DEP_1) | instskip(NEXT) | instid1(VALU_DEP_1)
	v_div_fixup_f64 v[11:12], v[11:12], v[23:24], v[25:26]
	v_fma_f64 v[13:14], v[25:26], v[11:12], v[23:24]
	s_delay_alu instid0(VALU_DEP_1) | instskip(SKIP_1) | instid1(VALU_DEP_2)
	v_div_scale_f64 v[23:24], null, v[13:14], v[13:14], 1.0
	v_div_scale_f64 v[44:45], vcc_lo, 1.0, v[13:14], 1.0
	v_rcp_f64_e32 v[25:26], v[23:24]
	s_delay_alu instid0(TRANS32_DEP_1) | instskip(NEXT) | instid1(VALU_DEP_1)
	v_fma_f64 v[42:43], -v[23:24], v[25:26], 1.0
	v_fma_f64 v[25:26], v[25:26], v[42:43], v[25:26]
	s_delay_alu instid0(VALU_DEP_1) | instskip(NEXT) | instid1(VALU_DEP_1)
	v_fma_f64 v[42:43], -v[23:24], v[25:26], 1.0
	v_fma_f64 v[25:26], v[25:26], v[42:43], v[25:26]
	s_delay_alu instid0(VALU_DEP_1) | instskip(NEXT) | instid1(VALU_DEP_1)
	v_mul_f64_e32 v[42:43], v[44:45], v[25:26]
	v_fma_f64 v[23:24], -v[23:24], v[42:43], v[44:45]
	s_wait_alu 0xfffd
	s_delay_alu instid0(VALU_DEP_1) | instskip(SKIP_2) | instid1(VALU_DEP_3)
	v_div_fmas_f64 v[23:24], v[23:24], v[25:26], v[42:43]
	v_fma_f64 v[25:26], v[21:22], v[11:12], v[19:20]
	v_fma_f64 v[19:20], -v[19:20], v[11:12], v[21:22]
	v_div_fixup_f64 v[13:14], v[23:24], v[13:14], 1.0
	s_delay_alu instid0(VALU_DEP_1) | instskip(NEXT) | instid1(VALU_DEP_3)
	v_mul_f64_e32 v[11:12], v[25:26], v[13:14]
	v_mul_f64_e32 v[13:14], v[19:20], v[13:14]
.LBB238_54:                             ;   in Loop: Header=BB238_48 Depth=2
	s_add_co_i32 s41, s39, -16
	ds_store_b128 v41, v[11:14]
	s_wait_alu 0xfffe
	v_mov_b32_e32 v19, s41
	s_lshl_b32 s41, s38, 9
	s_wait_alu 0xfffe
	s_add_co_i32 s41, s40, s41
	s_wait_alu 0xfffe
	s_add_co_i32 s41, s41, -16
	ds_load_b128 v[23:26], v19
	s_wait_alu 0xfffe
	v_mov_b32_e32 v19, s41
	ds_load_b128 v[19:22], v19
	s_wait_dscnt 0x1
	v_mul_f64_e32 v[42:43], v[13:14], v[25:26]
	v_mul_f64_e32 v[25:26], v[11:12], v[25:26]
	s_wait_dscnt 0x0
	v_cmp_ngt_f64_e64 s42, |v[19:20]|, |v[21:22]|
	s_delay_alu instid0(VALU_DEP_3) | instskip(NEXT) | instid1(VALU_DEP_3)
	v_fma_f64 v[42:43], v[11:12], v[23:24], -v[42:43]
	v_fma_f64 v[25:26], v[13:14], v[23:24], v[25:26]
	s_and_b32 vcc_lo, exec_lo, s42
	s_mov_b32 s42, -1
	s_delay_alu instid0(VALU_DEP_2) | instskip(NEXT) | instid1(VALU_DEP_2)
	v_add_f64_e64 v[23:24], v[15:16], -v[42:43]
	v_add_f64_e64 v[25:26], v[17:18], -v[25:26]
                                        ; implicit-def: $vgpr17_vgpr18
	s_wait_alu 0xfffe
	s_cbranch_vccz .LBB238_56
; %bb.55:                               ;   in Loop: Header=BB238_48 Depth=2
	v_div_scale_f64 v[15:16], null, v[21:22], v[21:22], v[19:20]
	v_div_scale_f64 v[43:44], vcc_lo, v[19:20], v[21:22], v[19:20]
	s_mov_b32 s42, 0
	v_rcp_f64_e32 v[17:18], v[15:16]
	s_delay_alu instid0(TRANS32_DEP_1) | instskip(NEXT) | instid1(VALU_DEP_1)
	v_fma_f64 v[41:42], -v[15:16], v[17:18], 1.0
	v_fma_f64 v[17:18], v[17:18], v[41:42], v[17:18]
	s_delay_alu instid0(VALU_DEP_1) | instskip(NEXT) | instid1(VALU_DEP_1)
	v_fma_f64 v[41:42], -v[15:16], v[17:18], 1.0
	v_fma_f64 v[17:18], v[17:18], v[41:42], v[17:18]
	s_delay_alu instid0(VALU_DEP_1) | instskip(NEXT) | instid1(VALU_DEP_1)
	v_mul_f64_e32 v[41:42], v[43:44], v[17:18]
	v_fma_f64 v[15:16], -v[15:16], v[41:42], v[43:44]
	s_wait_alu 0xfffd
	s_delay_alu instid0(VALU_DEP_1) | instskip(NEXT) | instid1(VALU_DEP_1)
	v_div_fmas_f64 v[15:16], v[15:16], v[17:18], v[41:42]
	v_div_fixup_f64 v[15:16], v[15:16], v[21:22], v[19:20]
	s_delay_alu instid0(VALU_DEP_1) | instskip(NEXT) | instid1(VALU_DEP_1)
	v_fma_f64 v[17:18], v[19:20], v[15:16], v[21:22]
	v_div_scale_f64 v[41:42], null, v[17:18], v[17:18], 1.0
	v_div_scale_f64 v[47:48], vcc_lo, 1.0, v[17:18], 1.0
	s_delay_alu instid0(VALU_DEP_2) | instskip(NEXT) | instid1(TRANS32_DEP_1)
	v_rcp_f64_e32 v[43:44], v[41:42]
	v_fma_f64 v[45:46], -v[41:42], v[43:44], 1.0
	s_delay_alu instid0(VALU_DEP_1) | instskip(NEXT) | instid1(VALU_DEP_1)
	v_fma_f64 v[43:44], v[43:44], v[45:46], v[43:44]
	v_fma_f64 v[45:46], -v[41:42], v[43:44], 1.0
	s_delay_alu instid0(VALU_DEP_1) | instskip(NEXT) | instid1(VALU_DEP_1)
	v_fma_f64 v[43:44], v[43:44], v[45:46], v[43:44]
	v_mul_f64_e32 v[45:46], v[47:48], v[43:44]
	s_delay_alu instid0(VALU_DEP_1) | instskip(SKIP_1) | instid1(VALU_DEP_1)
	v_fma_f64 v[41:42], -v[41:42], v[45:46], v[47:48]
	s_wait_alu 0xfffd
	v_div_fmas_f64 v[41:42], v[41:42], v[43:44], v[45:46]
	v_fma_f64 v[43:44], v[15:16], v[23:24], v[25:26]
	s_delay_alu instid0(VALU_DEP_2) | instskip(SKIP_1) | instid1(VALU_DEP_2)
	v_div_fixup_f64 v[17:18], v[41:42], v[17:18], 1.0
	v_fma_f64 v[41:42], v[15:16], v[25:26], -v[23:24]
	v_mul_f64_e32 v[15:16], v[43:44], v[17:18]
	s_delay_alu instid0(VALU_DEP_2)
	v_mul_f64_e32 v[17:18], v[41:42], v[17:18]
.LBB238_56:                             ;   in Loop: Header=BB238_48 Depth=2
	s_wait_alu 0xfffe
	s_and_not1_b32 vcc_lo, exec_lo, s42
	s_wait_alu 0xfffe
	s_cbranch_vccnz .LBB238_58
; %bb.57:                               ;   in Loop: Header=BB238_48 Depth=2
	v_div_scale_f64 v[15:16], null, v[19:20], v[19:20], v[21:22]
	v_div_scale_f64 v[43:44], vcc_lo, v[21:22], v[19:20], v[21:22]
	s_delay_alu instid0(VALU_DEP_2) | instskip(NEXT) | instid1(TRANS32_DEP_1)
	v_rcp_f64_e32 v[17:18], v[15:16]
	v_fma_f64 v[41:42], -v[15:16], v[17:18], 1.0
	s_delay_alu instid0(VALU_DEP_1) | instskip(NEXT) | instid1(VALU_DEP_1)
	v_fma_f64 v[17:18], v[17:18], v[41:42], v[17:18]
	v_fma_f64 v[41:42], -v[15:16], v[17:18], 1.0
	s_delay_alu instid0(VALU_DEP_1) | instskip(NEXT) | instid1(VALU_DEP_1)
	v_fma_f64 v[17:18], v[17:18], v[41:42], v[17:18]
	v_mul_f64_e32 v[41:42], v[43:44], v[17:18]
	s_delay_alu instid0(VALU_DEP_1) | instskip(SKIP_1) | instid1(VALU_DEP_1)
	v_fma_f64 v[15:16], -v[15:16], v[41:42], v[43:44]
	s_wait_alu 0xfffd
	v_div_fmas_f64 v[15:16], v[15:16], v[17:18], v[41:42]
	s_delay_alu instid0(VALU_DEP_1) | instskip(NEXT) | instid1(VALU_DEP_1)
	v_div_fixup_f64 v[15:16], v[15:16], v[19:20], v[21:22]
	v_fma_f64 v[17:18], v[21:22], v[15:16], v[19:20]
	s_delay_alu instid0(VALU_DEP_1) | instskip(SKIP_1) | instid1(VALU_DEP_2)
	v_div_scale_f64 v[19:20], null, v[17:18], v[17:18], 1.0
	v_div_scale_f64 v[43:44], vcc_lo, 1.0, v[17:18], 1.0
	v_rcp_f64_e32 v[21:22], v[19:20]
	s_delay_alu instid0(TRANS32_DEP_1) | instskip(NEXT) | instid1(VALU_DEP_1)
	v_fma_f64 v[41:42], -v[19:20], v[21:22], 1.0
	v_fma_f64 v[21:22], v[21:22], v[41:42], v[21:22]
	s_delay_alu instid0(VALU_DEP_1) | instskip(NEXT) | instid1(VALU_DEP_1)
	v_fma_f64 v[41:42], -v[19:20], v[21:22], 1.0
	v_fma_f64 v[21:22], v[21:22], v[41:42], v[21:22]
	s_delay_alu instid0(VALU_DEP_1) | instskip(NEXT) | instid1(VALU_DEP_1)
	v_mul_f64_e32 v[41:42], v[43:44], v[21:22]
	v_fma_f64 v[19:20], -v[19:20], v[41:42], v[43:44]
	s_wait_alu 0xfffd
	s_delay_alu instid0(VALU_DEP_1) | instskip(SKIP_1) | instid1(VALU_DEP_2)
	v_div_fmas_f64 v[19:20], v[19:20], v[21:22], v[41:42]
	v_fma_f64 v[21:22], v[15:16], v[25:26], v[23:24]
	v_div_fixup_f64 v[17:18], v[19:20], v[17:18], 1.0
	v_fma_f64 v[19:20], -v[15:16], v[23:24], v[25:26]
	s_delay_alu instid0(VALU_DEP_2) | instskip(NEXT) | instid1(VALU_DEP_2)
	v_mul_f64_e32 v[15:16], v[21:22], v[17:18]
	v_mul_f64_e32 v[17:18], v[19:20], v[17:18]
.LBB238_58:                             ;   in Loop: Header=BB238_48 Depth=2
	s_sub_co_i32 s42, s39, 32
	ds_store_b128 v40, v[15:18]
	s_wait_alu 0xfffe
	v_mov_b32_e32 v19, s42
	s_lshl_b32 s42, s38, 4
	s_lshl_b32 s38, s37, 4
	s_wait_alu 0xfffe
	s_sub_co_i32 s41, s41, s42
	s_lshl_b32 s37, s37, 9
	ds_load_b128 v[19:22], v19
	s_wait_alu 0xfffe
	s_add_co_i32 s42, s41, s38
	s_add_co_i32 s40, s40, s37
	s_wait_alu 0xfffe
	v_mov_b32_e32 v23, s42
	s_sub_co_i32 s37, s40, 32
	ds_load_b128 v[23:26], v23
	s_wait_dscnt 0x1
	v_mul_f64_e32 v[41:42], v[13:14], v[21:22]
	v_mul_f64_e32 v[21:22], v[11:12], v[21:22]
	s_wait_dscnt 0x0
	v_mul_f64_e32 v[43:44], v[17:18], v[25:26]
	v_mul_f64_e32 v[25:26], v[15:16], v[25:26]
	s_delay_alu instid0(VALU_DEP_4) | instskip(NEXT) | instid1(VALU_DEP_4)
	v_fma_f64 v[41:42], v[11:12], v[19:20], -v[41:42]
	v_fma_f64 v[19:20], v[13:14], v[19:20], v[21:22]
	s_delay_alu instid0(VALU_DEP_4) | instskip(NEXT) | instid1(VALU_DEP_4)
	v_fma_f64 v[43:44], v[15:16], v[23:24], -v[43:44]
	v_fma_f64 v[25:26], v[17:18], v[23:24], v[25:26]
	s_delay_alu instid0(VALU_DEP_4) | instskip(NEXT) | instid1(VALU_DEP_4)
	v_add_f64_e64 v[7:8], v[7:8], -v[41:42]
	v_add_f64_e64 v[9:10], v[9:10], -v[19:20]
	s_wait_alu 0xfffe
	v_mov_b32_e32 v19, s37
	ds_load_b128 v[19:22], v19
	s_wait_dscnt 0x0
	v_cmp_ngt_f64_e64 s40, |v[19:20]|, |v[21:22]|
	v_add_f64_e64 v[23:24], v[7:8], -v[43:44]
	v_add_f64_e64 v[25:26], v[9:10], -v[25:26]
                                        ; implicit-def: $vgpr9_vgpr10
	s_and_b32 vcc_lo, exec_lo, s40
	s_mov_b32 s40, -1
	s_wait_alu 0xfffe
	s_cbranch_vccz .LBB238_60
; %bb.59:                               ;   in Loop: Header=BB238_48 Depth=2
	v_div_scale_f64 v[7:8], null, v[21:22], v[21:22], v[19:20]
	v_div_scale_f64 v[42:43], vcc_lo, v[19:20], v[21:22], v[19:20]
	s_mov_b32 s40, 0
	v_rcp_f64_e32 v[9:10], v[7:8]
	s_delay_alu instid0(TRANS32_DEP_1) | instskip(NEXT) | instid1(VALU_DEP_1)
	v_fma_f64 v[40:41], -v[7:8], v[9:10], 1.0
	v_fma_f64 v[9:10], v[9:10], v[40:41], v[9:10]
	s_delay_alu instid0(VALU_DEP_1) | instskip(NEXT) | instid1(VALU_DEP_1)
	v_fma_f64 v[40:41], -v[7:8], v[9:10], 1.0
	v_fma_f64 v[9:10], v[9:10], v[40:41], v[9:10]
	s_delay_alu instid0(VALU_DEP_1) | instskip(NEXT) | instid1(VALU_DEP_1)
	v_mul_f64_e32 v[40:41], v[42:43], v[9:10]
	v_fma_f64 v[7:8], -v[7:8], v[40:41], v[42:43]
	s_wait_alu 0xfffd
	s_delay_alu instid0(VALU_DEP_1) | instskip(NEXT) | instid1(VALU_DEP_1)
	v_div_fmas_f64 v[7:8], v[7:8], v[9:10], v[40:41]
	v_div_fixup_f64 v[7:8], v[7:8], v[21:22], v[19:20]
	s_delay_alu instid0(VALU_DEP_1) | instskip(NEXT) | instid1(VALU_DEP_1)
	v_fma_f64 v[9:10], v[19:20], v[7:8], v[21:22]
	v_div_scale_f64 v[40:41], null, v[9:10], v[9:10], 1.0
	v_div_scale_f64 v[46:47], vcc_lo, 1.0, v[9:10], 1.0
	s_delay_alu instid0(VALU_DEP_2) | instskip(NEXT) | instid1(TRANS32_DEP_1)
	v_rcp_f64_e32 v[42:43], v[40:41]
	v_fma_f64 v[44:45], -v[40:41], v[42:43], 1.0
	s_delay_alu instid0(VALU_DEP_1) | instskip(NEXT) | instid1(VALU_DEP_1)
	v_fma_f64 v[42:43], v[42:43], v[44:45], v[42:43]
	v_fma_f64 v[44:45], -v[40:41], v[42:43], 1.0
	s_delay_alu instid0(VALU_DEP_1) | instskip(NEXT) | instid1(VALU_DEP_1)
	v_fma_f64 v[42:43], v[42:43], v[44:45], v[42:43]
	v_mul_f64_e32 v[44:45], v[46:47], v[42:43]
	s_delay_alu instid0(VALU_DEP_1) | instskip(SKIP_1) | instid1(VALU_DEP_1)
	v_fma_f64 v[40:41], -v[40:41], v[44:45], v[46:47]
	s_wait_alu 0xfffd
	v_div_fmas_f64 v[40:41], v[40:41], v[42:43], v[44:45]
	v_fma_f64 v[42:43], v[7:8], v[23:24], v[25:26]
	s_delay_alu instid0(VALU_DEP_2) | instskip(SKIP_1) | instid1(VALU_DEP_2)
	v_div_fixup_f64 v[9:10], v[40:41], v[9:10], 1.0
	v_fma_f64 v[40:41], v[7:8], v[25:26], -v[23:24]
	v_mul_f64_e32 v[7:8], v[42:43], v[9:10]
	s_delay_alu instid0(VALU_DEP_2)
	v_mul_f64_e32 v[9:10], v[40:41], v[9:10]
.LBB238_60:                             ;   in Loop: Header=BB238_48 Depth=2
	s_wait_alu 0xfffe
	s_and_not1_b32 vcc_lo, exec_lo, s40
	s_wait_alu 0xfffe
	s_cbranch_vccnz .LBB238_62
; %bb.61:                               ;   in Loop: Header=BB238_48 Depth=2
	v_div_scale_f64 v[7:8], null, v[19:20], v[19:20], v[21:22]
	v_div_scale_f64 v[42:43], vcc_lo, v[21:22], v[19:20], v[21:22]
	s_delay_alu instid0(VALU_DEP_2) | instskip(NEXT) | instid1(TRANS32_DEP_1)
	v_rcp_f64_e32 v[9:10], v[7:8]
	v_fma_f64 v[40:41], -v[7:8], v[9:10], 1.0
	s_delay_alu instid0(VALU_DEP_1) | instskip(NEXT) | instid1(VALU_DEP_1)
	v_fma_f64 v[9:10], v[9:10], v[40:41], v[9:10]
	v_fma_f64 v[40:41], -v[7:8], v[9:10], 1.0
	s_delay_alu instid0(VALU_DEP_1) | instskip(NEXT) | instid1(VALU_DEP_1)
	v_fma_f64 v[9:10], v[9:10], v[40:41], v[9:10]
	v_mul_f64_e32 v[40:41], v[42:43], v[9:10]
	s_delay_alu instid0(VALU_DEP_1) | instskip(SKIP_1) | instid1(VALU_DEP_1)
	v_fma_f64 v[7:8], -v[7:8], v[40:41], v[42:43]
	s_wait_alu 0xfffd
	v_div_fmas_f64 v[7:8], v[7:8], v[9:10], v[40:41]
	s_delay_alu instid0(VALU_DEP_1) | instskip(NEXT) | instid1(VALU_DEP_1)
	v_div_fixup_f64 v[7:8], v[7:8], v[19:20], v[21:22]
	v_fma_f64 v[9:10], v[21:22], v[7:8], v[19:20]
	s_delay_alu instid0(VALU_DEP_1) | instskip(SKIP_1) | instid1(VALU_DEP_2)
	v_div_scale_f64 v[19:20], null, v[9:10], v[9:10], 1.0
	v_div_scale_f64 v[42:43], vcc_lo, 1.0, v[9:10], 1.0
	v_rcp_f64_e32 v[21:22], v[19:20]
	s_delay_alu instid0(TRANS32_DEP_1) | instskip(NEXT) | instid1(VALU_DEP_1)
	v_fma_f64 v[40:41], -v[19:20], v[21:22], 1.0
	v_fma_f64 v[21:22], v[21:22], v[40:41], v[21:22]
	s_delay_alu instid0(VALU_DEP_1) | instskip(NEXT) | instid1(VALU_DEP_1)
	v_fma_f64 v[40:41], -v[19:20], v[21:22], 1.0
	v_fma_f64 v[21:22], v[21:22], v[40:41], v[21:22]
	s_delay_alu instid0(VALU_DEP_1) | instskip(NEXT) | instid1(VALU_DEP_1)
	v_mul_f64_e32 v[40:41], v[42:43], v[21:22]
	v_fma_f64 v[19:20], -v[19:20], v[40:41], v[42:43]
	s_wait_alu 0xfffd
	s_delay_alu instid0(VALU_DEP_1) | instskip(SKIP_1) | instid1(VALU_DEP_2)
	v_div_fmas_f64 v[19:20], v[19:20], v[21:22], v[40:41]
	v_fma_f64 v[21:22], v[7:8], v[25:26], v[23:24]
	v_div_fixup_f64 v[9:10], v[19:20], v[9:10], 1.0
	v_fma_f64 v[19:20], -v[7:8], v[23:24], v[25:26]
	s_delay_alu instid0(VALU_DEP_2) | instskip(NEXT) | instid1(VALU_DEP_2)
	v_mul_f64_e32 v[7:8], v[21:22], v[9:10]
	v_mul_f64_e32 v[9:10], v[19:20], v[9:10]
.LBB238_62:                             ;   in Loop: Header=BB238_48 Depth=2
	s_sub_co_i32 s39, s39, 48
	s_lshl_b32 s36, s36, 4
	s_wait_alu 0xfffe
	v_mov_b32_e32 v19, s39
	s_add_co_i32 s39, s41, s36
	s_sub_co_i32 s38, s37, s38
	s_wait_alu 0xfffe
	v_mov_b32_e32 v23, s39
	s_add_co_i32 s36, s38, s36
	ds_load_b128 v[19:22], v19
	ds_store_b128 v39, v[7:10]
	ds_load_b128 v[23:26], v23
	s_wait_dscnt 0x2
	v_mul_f64_e32 v[40:41], v[13:14], v[21:22]
	v_mul_f64_e32 v[21:22], v[11:12], v[21:22]
	s_delay_alu instid0(VALU_DEP_2) | instskip(SKIP_2) | instid1(VALU_DEP_3)
	v_fma_f64 v[40:41], v[11:12], v[19:20], -v[40:41]
	s_wait_alu 0xfffe
	v_mov_b32_e32 v11, s36
	v_fma_f64 v[44:45], v[13:14], v[19:20], v[21:22]
	s_add_co_i32 s36, s37, 0xfffffdf0
	ds_load_b128 v[19:22], v11
	s_wait_dscnt 0x1
	v_mul_f64_e32 v[42:43], v[17:18], v[25:26]
	v_mul_f64_e32 v[25:26], v[15:16], v[25:26]
	s_wait_alu 0xfffe
	v_mov_b32_e32 v11, s36
	ds_load_b128 v[11:14], v11
	s_wait_dscnt 0x1
	v_mul_f64_e32 v[46:47], v[9:10], v[21:22]
	v_mul_f64_e32 v[21:22], v[7:8], v[21:22]
	s_wait_dscnt 0x0
	v_cmp_ngt_f64_e64 s36, |v[11:12]|, |v[13:14]|
	v_add_f64_e64 v[3:4], v[3:4], -v[40:41]
	v_add_f64_e64 v[5:6], v[5:6], -v[44:45]
	v_fma_f64 v[15:16], v[15:16], v[23:24], -v[42:43]
	v_fma_f64 v[17:18], v[17:18], v[23:24], v[25:26]
	v_fma_f64 v[23:24], v[7:8], v[19:20], -v[46:47]
	v_fma_f64 v[19:20], v[9:10], v[19:20], v[21:22]
	s_and_b32 vcc_lo, exec_lo, s36
	s_mov_b32 s36, -1
	s_delay_alu instid0(VALU_DEP_4) | instskip(NEXT) | instid1(VALU_DEP_4)
	v_add_f64_e64 v[3:4], v[3:4], -v[15:16]
	v_add_f64_e64 v[5:6], v[5:6], -v[17:18]
	s_delay_alu instid0(VALU_DEP_2) | instskip(NEXT) | instid1(VALU_DEP_2)
	v_add_f64_e64 v[15:16], v[3:4], -v[23:24]
	v_add_f64_e64 v[17:18], v[5:6], -v[19:20]
                                        ; implicit-def: $vgpr5_vgpr6
	s_wait_alu 0xfffe
	s_cbranch_vccz .LBB238_64
; %bb.63:                               ;   in Loop: Header=BB238_48 Depth=2
	v_div_scale_f64 v[3:4], null, v[13:14], v[13:14], v[11:12]
	v_div_scale_f64 v[9:10], vcc_lo, v[11:12], v[13:14], v[11:12]
	s_mov_b32 s36, 0
	v_rcp_f64_e32 v[5:6], v[3:4]
	s_delay_alu instid0(TRANS32_DEP_1) | instskip(NEXT) | instid1(VALU_DEP_1)
	v_fma_f64 v[7:8], -v[3:4], v[5:6], 1.0
	v_fma_f64 v[5:6], v[5:6], v[7:8], v[5:6]
	s_delay_alu instid0(VALU_DEP_1) | instskip(NEXT) | instid1(VALU_DEP_1)
	v_fma_f64 v[7:8], -v[3:4], v[5:6], 1.0
	v_fma_f64 v[5:6], v[5:6], v[7:8], v[5:6]
	s_delay_alu instid0(VALU_DEP_1) | instskip(NEXT) | instid1(VALU_DEP_1)
	v_mul_f64_e32 v[7:8], v[9:10], v[5:6]
	v_fma_f64 v[3:4], -v[3:4], v[7:8], v[9:10]
	s_wait_alu 0xfffd
	s_delay_alu instid0(VALU_DEP_1) | instskip(NEXT) | instid1(VALU_DEP_1)
	v_div_fmas_f64 v[3:4], v[3:4], v[5:6], v[7:8]
	v_div_fixup_f64 v[3:4], v[3:4], v[13:14], v[11:12]
	s_delay_alu instid0(VALU_DEP_1) | instskip(NEXT) | instid1(VALU_DEP_1)
	v_fma_f64 v[5:6], v[11:12], v[3:4], v[13:14]
	v_div_scale_f64 v[7:8], null, v[5:6], v[5:6], 1.0
	v_div_scale_f64 v[21:22], vcc_lo, 1.0, v[5:6], 1.0
	s_delay_alu instid0(VALU_DEP_2) | instskip(NEXT) | instid1(TRANS32_DEP_1)
	v_rcp_f64_e32 v[9:10], v[7:8]
	v_fma_f64 v[19:20], -v[7:8], v[9:10], 1.0
	s_delay_alu instid0(VALU_DEP_1) | instskip(NEXT) | instid1(VALU_DEP_1)
	v_fma_f64 v[9:10], v[9:10], v[19:20], v[9:10]
	v_fma_f64 v[19:20], -v[7:8], v[9:10], 1.0
	s_delay_alu instid0(VALU_DEP_1) | instskip(NEXT) | instid1(VALU_DEP_1)
	v_fma_f64 v[9:10], v[9:10], v[19:20], v[9:10]
	v_mul_f64_e32 v[19:20], v[21:22], v[9:10]
	s_delay_alu instid0(VALU_DEP_1) | instskip(SKIP_1) | instid1(VALU_DEP_1)
	v_fma_f64 v[7:8], -v[7:8], v[19:20], v[21:22]
	s_wait_alu 0xfffd
	v_div_fmas_f64 v[7:8], v[7:8], v[9:10], v[19:20]
	v_fma_f64 v[9:10], v[3:4], v[15:16], v[17:18]
	s_delay_alu instid0(VALU_DEP_2) | instskip(SKIP_1) | instid1(VALU_DEP_2)
	v_div_fixup_f64 v[5:6], v[7:8], v[5:6], 1.0
	v_fma_f64 v[7:8], v[3:4], v[17:18], -v[15:16]
	v_mul_f64_e32 v[3:4], v[9:10], v[5:6]
	s_delay_alu instid0(VALU_DEP_2)
	v_mul_f64_e32 v[5:6], v[7:8], v[5:6]
.LBB238_64:                             ;   in Loop: Header=BB238_48 Depth=2
	s_wait_alu 0xfffe
	s_and_not1_b32 vcc_lo, exec_lo, s36
	s_wait_alu 0xfffe
	s_cbranch_vccnz .LBB238_66
; %bb.65:                               ;   in Loop: Header=BB238_48 Depth=2
	v_div_scale_f64 v[3:4], null, v[11:12], v[11:12], v[13:14]
	v_div_scale_f64 v[9:10], vcc_lo, v[13:14], v[11:12], v[13:14]
	s_delay_alu instid0(VALU_DEP_2) | instskip(NEXT) | instid1(TRANS32_DEP_1)
	v_rcp_f64_e32 v[5:6], v[3:4]
	v_fma_f64 v[7:8], -v[3:4], v[5:6], 1.0
	s_delay_alu instid0(VALU_DEP_1) | instskip(NEXT) | instid1(VALU_DEP_1)
	v_fma_f64 v[5:6], v[5:6], v[7:8], v[5:6]
	v_fma_f64 v[7:8], -v[3:4], v[5:6], 1.0
	s_delay_alu instid0(VALU_DEP_1) | instskip(NEXT) | instid1(VALU_DEP_1)
	v_fma_f64 v[5:6], v[5:6], v[7:8], v[5:6]
	v_mul_f64_e32 v[7:8], v[9:10], v[5:6]
	s_delay_alu instid0(VALU_DEP_1) | instskip(SKIP_1) | instid1(VALU_DEP_1)
	v_fma_f64 v[3:4], -v[3:4], v[7:8], v[9:10]
	s_wait_alu 0xfffd
	v_div_fmas_f64 v[3:4], v[3:4], v[5:6], v[7:8]
	s_delay_alu instid0(VALU_DEP_1) | instskip(NEXT) | instid1(VALU_DEP_1)
	v_div_fixup_f64 v[3:4], v[3:4], v[11:12], v[13:14]
	v_fma_f64 v[5:6], v[13:14], v[3:4], v[11:12]
	s_delay_alu instid0(VALU_DEP_1) | instskip(SKIP_1) | instid1(VALU_DEP_2)
	v_div_scale_f64 v[7:8], null, v[5:6], v[5:6], 1.0
	v_div_scale_f64 v[13:14], vcc_lo, 1.0, v[5:6], 1.0
	v_rcp_f64_e32 v[9:10], v[7:8]
	s_delay_alu instid0(TRANS32_DEP_1) | instskip(NEXT) | instid1(VALU_DEP_1)
	v_fma_f64 v[11:12], -v[7:8], v[9:10], 1.0
	v_fma_f64 v[9:10], v[9:10], v[11:12], v[9:10]
	s_delay_alu instid0(VALU_DEP_1) | instskip(NEXT) | instid1(VALU_DEP_1)
	v_fma_f64 v[11:12], -v[7:8], v[9:10], 1.0
	v_fma_f64 v[9:10], v[9:10], v[11:12], v[9:10]
	s_delay_alu instid0(VALU_DEP_1) | instskip(NEXT) | instid1(VALU_DEP_1)
	v_mul_f64_e32 v[11:12], v[13:14], v[9:10]
	v_fma_f64 v[7:8], -v[7:8], v[11:12], v[13:14]
	s_wait_alu 0xfffd
	s_delay_alu instid0(VALU_DEP_1) | instskip(SKIP_1) | instid1(VALU_DEP_2)
	v_div_fmas_f64 v[7:8], v[7:8], v[9:10], v[11:12]
	v_fma_f64 v[9:10], v[3:4], v[17:18], v[15:16]
	v_div_fixup_f64 v[5:6], v[7:8], v[5:6], 1.0
	v_fma_f64 v[7:8], -v[3:4], v[15:16], v[17:18]
	s_delay_alu instid0(VALU_DEP_2) | instskip(NEXT) | instid1(VALU_DEP_2)
	v_mul_f64_e32 v[3:4], v[9:10], v[5:6]
	v_mul_f64_e32 v[5:6], v[7:8], v[5:6]
.LBB238_66:                             ;   in Loop: Header=BB238_48 Depth=2
	s_add_co_i32 s36, s19, -4
	s_sub_co_i32 s18, s18, 64
	s_cmp_lt_i32 s19, 7
	ds_store_b128 v38, v[3:6]
	s_cbranch_scc1 .LBB238_68
; %bb.67:                               ;   in Loop: Header=BB238_48 Depth=2
	s_wait_alu 0xfffe
	s_mov_b32 s19, s36
	s_branch .LBB238_48
.LBB238_68:                             ;   in Loop: Header=BB238_3 Depth=1
	s_wait_alu 0xfffe
	s_cmp_lt_i32 s36, 0
	s_cbranch_scc1 .LBB238_77
; %bb.69:                               ;   in Loop: Header=BB238_3 Depth=1
	s_lshl_b32 s18, s36, 4
	s_wait_alu 0xfffe
	s_add_co_i32 s18, s23, s18
	s_branch .LBB238_71
.LBB238_70:                             ;   in Loop: Header=BB238_71 Depth=2
	s_add_co_i32 s19, s36, -1
	s_add_co_i32 s18, s18, -16
	s_cmp_lt_i32 s36, 1
	s_wait_alu 0xfffe
	s_mov_b32 s36, s19
	ds_store_b128 v15, v[11:14]
	s_cbranch_scc1 .LBB238_77
.LBB238_71:                             ;   Parent Loop BB238_3 Depth=1
                                        ; =>  This Loop Header: Depth=2
                                        ;       Child Loop BB238_72 Depth 3
	s_wait_alu 0xfffe
	s_lshl_b32 s19, s36, 9
	v_mov_b32_e32 v7, v36
	s_wait_alu 0xfffe
	v_add_nc_u32_e32 v15, s19, v30
	s_cmp_le_i32 s29, s36
	s_mov_b32 s37, s18
	s_mov_b32 s38, s29
	ds_load_b128 v[3:6], v15
	s_cbranch_scc1 .LBB238_73
.LBB238_72:                             ;   Parent Loop BB238_3 Depth=1
                                        ;     Parent Loop BB238_71 Depth=2
                                        ; =>    This Inner Loop Header: Depth=3
	s_wait_alu 0xfffe
	v_mov_b32_e32 v12, s37
	s_add_co_i32 s38, s38, -1
	s_addk_co_i32 s37, 0xfe00
	s_wait_alu 0xfffe
	s_cmp_le_i32 s38, s36
	ds_load_b128 v[8:11], v7
	ds_load_b128 v[16:19], v12
	v_add_nc_u32_e32 v7, 0xfffffe00, v7
	s_wait_dscnt 0x0
	v_mul_f64_e32 v[12:13], v[18:19], v[10:11]
	v_mul_f64_e32 v[10:11], v[16:17], v[10:11]
	s_delay_alu instid0(VALU_DEP_2) | instskip(NEXT) | instid1(VALU_DEP_2)
	v_fma_f64 v[12:13], v[16:17], v[8:9], -v[12:13]
	v_fma_f64 v[8:9], v[18:19], v[8:9], v[10:11]
	s_delay_alu instid0(VALU_DEP_2) | instskip(NEXT) | instid1(VALU_DEP_2)
	v_add_f64_e64 v[3:4], v[3:4], -v[12:13]
	v_add_f64_e64 v[5:6], v[5:6], -v[8:9]
	s_cbranch_scc0 .LBB238_72
.LBB238_73:                             ;   in Loop: Header=BB238_71 Depth=2
	s_lshl_b32 s37, s36, 4
                                        ; implicit-def: $vgpr11_vgpr12
	s_wait_alu 0xfffe
	s_add_co_i32 s19, s37, s19
	s_wait_alu 0xfffe
	v_mov_b32_e32 v7, s19
	ds_load_b128 v[7:10], v7
	s_wait_dscnt 0x0
	v_cmp_ngt_f64_e64 s19, |v[7:8]|, |v[9:10]|
	s_and_b32 vcc_lo, exec_lo, s19
	s_mov_b32 s19, -1
	s_wait_alu 0xfffe
	s_cbranch_vccz .LBB238_75
; %bb.74:                               ;   in Loop: Header=BB238_71 Depth=2
	v_div_scale_f64 v[11:12], null, v[9:10], v[9:10], v[7:8]
	v_div_scale_f64 v[18:19], vcc_lo, v[7:8], v[9:10], v[7:8]
	s_mov_b32 s19, 0
	v_rcp_f64_e32 v[13:14], v[11:12]
	s_delay_alu instid0(TRANS32_DEP_1) | instskip(NEXT) | instid1(VALU_DEP_1)
	v_fma_f64 v[16:17], -v[11:12], v[13:14], 1.0
	v_fma_f64 v[13:14], v[13:14], v[16:17], v[13:14]
	s_delay_alu instid0(VALU_DEP_1) | instskip(NEXT) | instid1(VALU_DEP_1)
	v_fma_f64 v[16:17], -v[11:12], v[13:14], 1.0
	v_fma_f64 v[13:14], v[13:14], v[16:17], v[13:14]
	s_delay_alu instid0(VALU_DEP_1) | instskip(NEXT) | instid1(VALU_DEP_1)
	v_mul_f64_e32 v[16:17], v[18:19], v[13:14]
	v_fma_f64 v[11:12], -v[11:12], v[16:17], v[18:19]
	s_wait_alu 0xfffd
	s_delay_alu instid0(VALU_DEP_1) | instskip(NEXT) | instid1(VALU_DEP_1)
	v_div_fmas_f64 v[11:12], v[11:12], v[13:14], v[16:17]
	v_div_fixup_f64 v[11:12], v[11:12], v[9:10], v[7:8]
	s_delay_alu instid0(VALU_DEP_1) | instskip(NEXT) | instid1(VALU_DEP_1)
	v_fma_f64 v[13:14], v[7:8], v[11:12], v[9:10]
	v_div_scale_f64 v[16:17], null, v[13:14], v[13:14], 1.0
	v_div_scale_f64 v[22:23], vcc_lo, 1.0, v[13:14], 1.0
	s_delay_alu instid0(VALU_DEP_2) | instskip(NEXT) | instid1(TRANS32_DEP_1)
	v_rcp_f64_e32 v[18:19], v[16:17]
	v_fma_f64 v[20:21], -v[16:17], v[18:19], 1.0
	s_delay_alu instid0(VALU_DEP_1) | instskip(NEXT) | instid1(VALU_DEP_1)
	v_fma_f64 v[18:19], v[18:19], v[20:21], v[18:19]
	v_fma_f64 v[20:21], -v[16:17], v[18:19], 1.0
	s_delay_alu instid0(VALU_DEP_1) | instskip(NEXT) | instid1(VALU_DEP_1)
	v_fma_f64 v[18:19], v[18:19], v[20:21], v[18:19]
	v_mul_f64_e32 v[20:21], v[22:23], v[18:19]
	s_delay_alu instid0(VALU_DEP_1) | instskip(SKIP_1) | instid1(VALU_DEP_1)
	v_fma_f64 v[16:17], -v[16:17], v[20:21], v[22:23]
	s_wait_alu 0xfffd
	v_div_fmas_f64 v[16:17], v[16:17], v[18:19], v[20:21]
	v_fma_f64 v[18:19], v[3:4], v[11:12], v[5:6]
	s_delay_alu instid0(VALU_DEP_2) | instskip(SKIP_1) | instid1(VALU_DEP_2)
	v_div_fixup_f64 v[13:14], v[16:17], v[13:14], 1.0
	v_fma_f64 v[16:17], v[5:6], v[11:12], -v[3:4]
	v_mul_f64_e32 v[11:12], v[18:19], v[13:14]
	s_delay_alu instid0(VALU_DEP_2)
	v_mul_f64_e32 v[13:14], v[16:17], v[13:14]
.LBB238_75:                             ;   in Loop: Header=BB238_71 Depth=2
	s_wait_alu 0xfffe
	s_and_not1_b32 vcc_lo, exec_lo, s19
	s_wait_alu 0xfffe
	s_cbranch_vccnz .LBB238_70
; %bb.76:                               ;   in Loop: Header=BB238_71 Depth=2
	v_div_scale_f64 v[11:12], null, v[7:8], v[7:8], v[9:10]
	v_div_scale_f64 v[18:19], vcc_lo, v[9:10], v[7:8], v[9:10]
	s_delay_alu instid0(VALU_DEP_2) | instskip(NEXT) | instid1(TRANS32_DEP_1)
	v_rcp_f64_e32 v[13:14], v[11:12]
	v_fma_f64 v[16:17], -v[11:12], v[13:14], 1.0
	s_delay_alu instid0(VALU_DEP_1) | instskip(NEXT) | instid1(VALU_DEP_1)
	v_fma_f64 v[13:14], v[13:14], v[16:17], v[13:14]
	v_fma_f64 v[16:17], -v[11:12], v[13:14], 1.0
	s_delay_alu instid0(VALU_DEP_1) | instskip(NEXT) | instid1(VALU_DEP_1)
	v_fma_f64 v[13:14], v[13:14], v[16:17], v[13:14]
	v_mul_f64_e32 v[16:17], v[18:19], v[13:14]
	s_delay_alu instid0(VALU_DEP_1) | instskip(SKIP_1) | instid1(VALU_DEP_1)
	v_fma_f64 v[11:12], -v[11:12], v[16:17], v[18:19]
	s_wait_alu 0xfffd
	v_div_fmas_f64 v[11:12], v[11:12], v[13:14], v[16:17]
	s_delay_alu instid0(VALU_DEP_1) | instskip(NEXT) | instid1(VALU_DEP_1)
	v_div_fixup_f64 v[11:12], v[11:12], v[7:8], v[9:10]
	v_fma_f64 v[7:8], v[9:10], v[11:12], v[7:8]
	s_delay_alu instid0(VALU_DEP_1) | instskip(SKIP_1) | instid1(VALU_DEP_2)
	v_div_scale_f64 v[9:10], null, v[7:8], v[7:8], 1.0
	v_div_scale_f64 v[18:19], vcc_lo, 1.0, v[7:8], 1.0
	v_rcp_f64_e32 v[13:14], v[9:10]
	s_delay_alu instid0(TRANS32_DEP_1) | instskip(NEXT) | instid1(VALU_DEP_1)
	v_fma_f64 v[16:17], -v[9:10], v[13:14], 1.0
	v_fma_f64 v[13:14], v[13:14], v[16:17], v[13:14]
	s_delay_alu instid0(VALU_DEP_1) | instskip(NEXT) | instid1(VALU_DEP_1)
	v_fma_f64 v[16:17], -v[9:10], v[13:14], 1.0
	v_fma_f64 v[13:14], v[13:14], v[16:17], v[13:14]
	s_delay_alu instid0(VALU_DEP_1) | instskip(NEXT) | instid1(VALU_DEP_1)
	v_mul_f64_e32 v[16:17], v[18:19], v[13:14]
	v_fma_f64 v[9:10], -v[9:10], v[16:17], v[18:19]
	s_wait_alu 0xfffd
	s_delay_alu instid0(VALU_DEP_1) | instskip(SKIP_2) | instid1(VALU_DEP_3)
	v_div_fmas_f64 v[9:10], v[9:10], v[13:14], v[16:17]
	v_fma_f64 v[13:14], v[5:6], v[11:12], v[3:4]
	v_fma_f64 v[3:4], -v[3:4], v[11:12], v[5:6]
	v_div_fixup_f64 v[7:8], v[9:10], v[7:8], 1.0
	s_delay_alu instid0(VALU_DEP_1) | instskip(NEXT) | instid1(VALU_DEP_3)
	v_mul_f64_e32 v[11:12], v[13:14], v[7:8]
	v_mul_f64_e32 v[13:14], v[3:4], v[7:8]
	s_branch .LBB238_70
.LBB238_77:                             ;   in Loop: Header=BB238_3 Depth=1
	s_mov_b32 s18, 0
.LBB238_78:                             ;   in Loop: Header=BB238_3 Depth=1
	s_wait_alu 0xfffe
	s_and_not1_b32 vcc_lo, exec_lo, s18
	s_wait_alu 0xfffe
	s_cbranch_vccnz .LBB238_110
; %bb.79:                               ;   in Loop: Header=BB238_3 Depth=1
	s_mov_b32 s36, s29
	s_and_not1_b32 vcc_lo, exec_lo, s34
	s_mov_b32 s18, s24
	s_mov_b32 s19, s29
	s_wait_alu 0xfffe
	s_cbranch_vccnz .LBB238_101
.LBB238_80:                             ;   Parent Loop BB238_3 Depth=1
                                        ; =>  This Loop Header: Depth=2
                                        ;       Child Loop BB238_81 Depth 3
	s_wait_alu 0xfffe
	s_add_co_i32 s39, s19, -1
	v_lshl_add_u32 v41, s19, 9, v30
	s_add_co_i32 s37, s19, -2
	s_wait_alu 0xfffe
	v_lshl_add_u32 v40, s39, 9, v30
	s_add_co_i32 s36, s19, -3
	v_lshl_add_u32 v39, s37, 9, v30
	s_wait_alu 0xfffe
	v_lshl_add_u32 v38, s36, 9, v30
	ds_load_b128 v[19:22], v41
	ds_load_b128 v[15:18], v40
	;; [unrolled: 1-line block ×4, first 2 shown]
	v_mov_b32_e32 v11, v36
	s_cmp_le_i32 s29, s19
	s_mov_b32 s38, s18
	s_mov_b32 s40, s29
	s_cbranch_scc1 .LBB238_82
.LBB238_81:                             ;   Parent Loop BB238_3 Depth=1
                                        ;     Parent Loop BB238_80 Depth=2
                                        ; =>    This Inner Loop Header: Depth=3
	s_wait_alu 0xfffe
	v_mov_b32_e32 v12, s38
	s_add_co_i32 s40, s40, -1
	s_add_co_i32 s38, s38, -16
	s_wait_alu 0xfffe
	s_cmp_le_i32 s40, s19
	ds_load_b128 v[23:26], v11
	ds_load_b128 v[42:45], v12 offset:1536
	ds_load_b128 v[46:49], v12 offset:1024
	;; [unrolled: 1-line block ×3, first 2 shown]
	ds_load_b128 v[54:57], v12
	v_add_nc_u32_e32 v11, 0xfffffe00, v11
	s_wait_dscnt 0x3
	v_mul_f64_e32 v[12:13], v[25:26], v[44:45]
	v_mul_f64_e32 v[44:45], v[23:24], v[44:45]
	s_wait_dscnt 0x2
	v_mul_f64_e32 v[58:59], v[25:26], v[48:49]
	v_mul_f64_e32 v[48:49], v[23:24], v[48:49]
	;; [unrolled: 3-line block ×4, first 2 shown]
	v_fma_f64 v[12:13], v[23:24], v[42:43], -v[12:13]
	v_fma_f64 v[42:43], v[25:26], v[42:43], v[44:45]
	v_fma_f64 v[44:45], v[23:24], v[46:47], -v[58:59]
	v_fma_f64 v[46:47], v[25:26], v[46:47], v[48:49]
	;; [unrolled: 2-line block ×4, first 2 shown]
	v_add_f64_e64 v[19:20], v[19:20], -v[12:13]
	v_add_f64_e64 v[21:22], v[21:22], -v[42:43]
	;; [unrolled: 1-line block ×8, first 2 shown]
	s_cbranch_scc0 .LBB238_81
.LBB238_82:                             ;   in Loop: Header=BB238_80 Depth=2
	s_lshl_b32 s40, s39, 5
	s_lshl_b32 s41, s37, 5
	;; [unrolled: 1-line block ×3, first 2 shown]
; %bb.83:                               ;   in Loop: Header=BB238_80 Depth=2
	s_mul_i32 s42, s19, 0x210
	s_wait_alu 0xfffe
	v_mov_b32_e32 v11, s42
	ds_load_b128 v[23:26], v11
                                        ; implicit-def: $vgpr13_vgpr14
	s_wait_dscnt 0x0
	v_cmp_ngt_f64_e64 s42, |v[23:24]|, |v[25:26]|
	s_and_b32 vcc_lo, exec_lo, s42
	s_mov_b32 s42, -1
	s_wait_alu 0xfffe
	s_cbranch_vccz .LBB238_85
; %bb.84:                               ;   in Loop: Header=BB238_80 Depth=2
	v_div_scale_f64 v[11:12], null, v[25:26], v[25:26], v[23:24]
	v_div_scale_f64 v[44:45], vcc_lo, v[23:24], v[25:26], v[23:24]
	s_mov_b32 s42, 0
	v_rcp_f64_e32 v[13:14], v[11:12]
	s_delay_alu instid0(TRANS32_DEP_1) | instskip(NEXT) | instid1(VALU_DEP_1)
	v_fma_f64 v[42:43], -v[11:12], v[13:14], 1.0
	v_fma_f64 v[13:14], v[13:14], v[42:43], v[13:14]
	s_delay_alu instid0(VALU_DEP_1) | instskip(NEXT) | instid1(VALU_DEP_1)
	v_fma_f64 v[42:43], -v[11:12], v[13:14], 1.0
	v_fma_f64 v[13:14], v[13:14], v[42:43], v[13:14]
	s_delay_alu instid0(VALU_DEP_1) | instskip(NEXT) | instid1(VALU_DEP_1)
	v_mul_f64_e32 v[42:43], v[44:45], v[13:14]
	v_fma_f64 v[11:12], -v[11:12], v[42:43], v[44:45]
	s_wait_alu 0xfffd
	s_delay_alu instid0(VALU_DEP_1) | instskip(NEXT) | instid1(VALU_DEP_1)
	v_div_fmas_f64 v[11:12], v[11:12], v[13:14], v[42:43]
	v_div_fixup_f64 v[11:12], v[11:12], v[25:26], v[23:24]
	s_delay_alu instid0(VALU_DEP_1) | instskip(NEXT) | instid1(VALU_DEP_1)
	v_fma_f64 v[13:14], v[23:24], v[11:12], v[25:26]
	v_div_scale_f64 v[42:43], null, v[13:14], v[13:14], 1.0
	v_div_scale_f64 v[48:49], vcc_lo, 1.0, v[13:14], 1.0
	s_delay_alu instid0(VALU_DEP_2) | instskip(NEXT) | instid1(TRANS32_DEP_1)
	v_rcp_f64_e32 v[44:45], v[42:43]
	v_fma_f64 v[46:47], -v[42:43], v[44:45], 1.0
	s_delay_alu instid0(VALU_DEP_1) | instskip(NEXT) | instid1(VALU_DEP_1)
	v_fma_f64 v[44:45], v[44:45], v[46:47], v[44:45]
	v_fma_f64 v[46:47], -v[42:43], v[44:45], 1.0
	s_delay_alu instid0(VALU_DEP_1) | instskip(NEXT) | instid1(VALU_DEP_1)
	v_fma_f64 v[44:45], v[44:45], v[46:47], v[44:45]
	v_mul_f64_e32 v[46:47], v[48:49], v[44:45]
	s_delay_alu instid0(VALU_DEP_1) | instskip(SKIP_1) | instid1(VALU_DEP_1)
	v_fma_f64 v[42:43], -v[42:43], v[46:47], v[48:49]
	s_wait_alu 0xfffd
	v_div_fmas_f64 v[42:43], v[42:43], v[44:45], v[46:47]
	v_fma_f64 v[44:45], v[19:20], v[11:12], v[21:22]
	s_delay_alu instid0(VALU_DEP_2) | instskip(SKIP_1) | instid1(VALU_DEP_2)
	v_div_fixup_f64 v[13:14], v[42:43], v[13:14], 1.0
	v_fma_f64 v[42:43], v[21:22], v[11:12], -v[19:20]
	v_mul_f64_e32 v[11:12], v[44:45], v[13:14]
	s_delay_alu instid0(VALU_DEP_2)
	v_mul_f64_e32 v[13:14], v[42:43], v[13:14]
.LBB238_85:                             ;   in Loop: Header=BB238_80 Depth=2
	s_wait_alu 0xfffe
	s_and_not1_b32 vcc_lo, exec_lo, s42
	s_wait_alu 0xfffe
	s_cbranch_vccnz .LBB238_87
; %bb.86:                               ;   in Loop: Header=BB238_80 Depth=2
	v_div_scale_f64 v[11:12], null, v[23:24], v[23:24], v[25:26]
	v_div_scale_f64 v[44:45], vcc_lo, v[25:26], v[23:24], v[25:26]
	s_delay_alu instid0(VALU_DEP_2) | instskip(NEXT) | instid1(TRANS32_DEP_1)
	v_rcp_f64_e32 v[13:14], v[11:12]
	v_fma_f64 v[42:43], -v[11:12], v[13:14], 1.0
	s_delay_alu instid0(VALU_DEP_1) | instskip(NEXT) | instid1(VALU_DEP_1)
	v_fma_f64 v[13:14], v[13:14], v[42:43], v[13:14]
	v_fma_f64 v[42:43], -v[11:12], v[13:14], 1.0
	s_delay_alu instid0(VALU_DEP_1) | instskip(NEXT) | instid1(VALU_DEP_1)
	v_fma_f64 v[13:14], v[13:14], v[42:43], v[13:14]
	v_mul_f64_e32 v[42:43], v[44:45], v[13:14]
	s_delay_alu instid0(VALU_DEP_1) | instskip(SKIP_1) | instid1(VALU_DEP_1)
	v_fma_f64 v[11:12], -v[11:12], v[42:43], v[44:45]
	s_wait_alu 0xfffd
	v_div_fmas_f64 v[11:12], v[11:12], v[13:14], v[42:43]
	s_delay_alu instid0(VALU_DEP_1) | instskip(NEXT) | instid1(VALU_DEP_1)
	v_div_fixup_f64 v[11:12], v[11:12], v[23:24], v[25:26]
	v_fma_f64 v[13:14], v[25:26], v[11:12], v[23:24]
	s_delay_alu instid0(VALU_DEP_1) | instskip(SKIP_1) | instid1(VALU_DEP_2)
	v_div_scale_f64 v[23:24], null, v[13:14], v[13:14], 1.0
	v_div_scale_f64 v[44:45], vcc_lo, 1.0, v[13:14], 1.0
	v_rcp_f64_e32 v[25:26], v[23:24]
	s_delay_alu instid0(TRANS32_DEP_1) | instskip(NEXT) | instid1(VALU_DEP_1)
	v_fma_f64 v[42:43], -v[23:24], v[25:26], 1.0
	v_fma_f64 v[25:26], v[25:26], v[42:43], v[25:26]
	s_delay_alu instid0(VALU_DEP_1) | instskip(NEXT) | instid1(VALU_DEP_1)
	v_fma_f64 v[42:43], -v[23:24], v[25:26], 1.0
	v_fma_f64 v[25:26], v[25:26], v[42:43], v[25:26]
	s_delay_alu instid0(VALU_DEP_1) | instskip(NEXT) | instid1(VALU_DEP_1)
	v_mul_f64_e32 v[42:43], v[44:45], v[25:26]
	v_fma_f64 v[23:24], -v[23:24], v[42:43], v[44:45]
	s_wait_alu 0xfffd
	s_delay_alu instid0(VALU_DEP_1) | instskip(SKIP_2) | instid1(VALU_DEP_3)
	v_div_fmas_f64 v[23:24], v[23:24], v[25:26], v[42:43]
	v_fma_f64 v[25:26], v[21:22], v[11:12], v[19:20]
	v_fma_f64 v[19:20], -v[19:20], v[11:12], v[21:22]
	v_div_fixup_f64 v[13:14], v[23:24], v[13:14], 1.0
	s_delay_alu instid0(VALU_DEP_1) | instskip(NEXT) | instid1(VALU_DEP_3)
	v_mul_f64_e32 v[11:12], v[25:26], v[13:14]
	v_mul_f64_e32 v[13:14], v[19:20], v[13:14]
.LBB238_87:                             ;   in Loop: Header=BB238_80 Depth=2
	s_lshl_b32 s42, s40, 4
	s_lshl_b32 s40, s19, 4
	;; [unrolled: 1-line block ×3, first 2 shown]
	s_wait_alu 0xfffe
	s_add_co_i32 s43, s42, s40
	s_add_co_i32 s39, s42, s39
	s_wait_alu 0xfffe
	v_mov_b32_e32 v19, s43
	ds_store_b128 v41, v[11:14]
	ds_load_b128 v[23:26], v19
	v_mov_b32_e32 v19, s39
	ds_load_b128 v[19:22], v19
	s_wait_dscnt 0x1
	v_mul_f64_e32 v[42:43], v[13:14], v[25:26]
	v_mul_f64_e32 v[25:26], v[11:12], v[25:26]
	s_wait_dscnt 0x0
	v_cmp_ngt_f64_e64 s39, |v[19:20]|, |v[21:22]|
	s_delay_alu instid0(VALU_DEP_3) | instskip(NEXT) | instid1(VALU_DEP_3)
	v_fma_f64 v[42:43], v[11:12], v[23:24], -v[42:43]
	v_fma_f64 v[25:26], v[13:14], v[23:24], v[25:26]
	s_and_b32 vcc_lo, exec_lo, s39
	s_mov_b32 s39, -1
	s_delay_alu instid0(VALU_DEP_2) | instskip(NEXT) | instid1(VALU_DEP_2)
	v_add_f64_e64 v[23:24], v[15:16], -v[42:43]
	v_add_f64_e64 v[25:26], v[17:18], -v[25:26]
                                        ; implicit-def: $vgpr17_vgpr18
	s_wait_alu 0xfffe
	s_cbranch_vccz .LBB238_89
; %bb.88:                               ;   in Loop: Header=BB238_80 Depth=2
	v_div_scale_f64 v[15:16], null, v[21:22], v[21:22], v[19:20]
	v_div_scale_f64 v[43:44], vcc_lo, v[19:20], v[21:22], v[19:20]
	s_mov_b32 s39, 0
	v_rcp_f64_e32 v[17:18], v[15:16]
	s_delay_alu instid0(TRANS32_DEP_1) | instskip(NEXT) | instid1(VALU_DEP_1)
	v_fma_f64 v[41:42], -v[15:16], v[17:18], 1.0
	v_fma_f64 v[17:18], v[17:18], v[41:42], v[17:18]
	s_delay_alu instid0(VALU_DEP_1) | instskip(NEXT) | instid1(VALU_DEP_1)
	v_fma_f64 v[41:42], -v[15:16], v[17:18], 1.0
	v_fma_f64 v[17:18], v[17:18], v[41:42], v[17:18]
	s_delay_alu instid0(VALU_DEP_1) | instskip(NEXT) | instid1(VALU_DEP_1)
	v_mul_f64_e32 v[41:42], v[43:44], v[17:18]
	v_fma_f64 v[15:16], -v[15:16], v[41:42], v[43:44]
	s_wait_alu 0xfffd
	s_delay_alu instid0(VALU_DEP_1) | instskip(NEXT) | instid1(VALU_DEP_1)
	v_div_fmas_f64 v[15:16], v[15:16], v[17:18], v[41:42]
	v_div_fixup_f64 v[15:16], v[15:16], v[21:22], v[19:20]
	s_delay_alu instid0(VALU_DEP_1) | instskip(NEXT) | instid1(VALU_DEP_1)
	v_fma_f64 v[17:18], v[19:20], v[15:16], v[21:22]
	v_div_scale_f64 v[41:42], null, v[17:18], v[17:18], 1.0
	v_div_scale_f64 v[47:48], vcc_lo, 1.0, v[17:18], 1.0
	s_delay_alu instid0(VALU_DEP_2) | instskip(NEXT) | instid1(TRANS32_DEP_1)
	v_rcp_f64_e32 v[43:44], v[41:42]
	v_fma_f64 v[45:46], -v[41:42], v[43:44], 1.0
	s_delay_alu instid0(VALU_DEP_1) | instskip(NEXT) | instid1(VALU_DEP_1)
	v_fma_f64 v[43:44], v[43:44], v[45:46], v[43:44]
	v_fma_f64 v[45:46], -v[41:42], v[43:44], 1.0
	s_delay_alu instid0(VALU_DEP_1) | instskip(NEXT) | instid1(VALU_DEP_1)
	v_fma_f64 v[43:44], v[43:44], v[45:46], v[43:44]
	v_mul_f64_e32 v[45:46], v[47:48], v[43:44]
	s_delay_alu instid0(VALU_DEP_1) | instskip(SKIP_1) | instid1(VALU_DEP_1)
	v_fma_f64 v[41:42], -v[41:42], v[45:46], v[47:48]
	s_wait_alu 0xfffd
	v_div_fmas_f64 v[41:42], v[41:42], v[43:44], v[45:46]
	v_fma_f64 v[43:44], v[15:16], v[23:24], v[25:26]
	s_delay_alu instid0(VALU_DEP_2) | instskip(SKIP_1) | instid1(VALU_DEP_2)
	v_div_fixup_f64 v[17:18], v[41:42], v[17:18], 1.0
	v_fma_f64 v[41:42], v[15:16], v[25:26], -v[23:24]
	v_mul_f64_e32 v[15:16], v[43:44], v[17:18]
	s_delay_alu instid0(VALU_DEP_2)
	v_mul_f64_e32 v[17:18], v[41:42], v[17:18]
.LBB238_89:                             ;   in Loop: Header=BB238_80 Depth=2
	s_wait_alu 0xfffe
	s_and_not1_b32 vcc_lo, exec_lo, s39
	s_wait_alu 0xfffe
	s_cbranch_vccnz .LBB238_91
; %bb.90:                               ;   in Loop: Header=BB238_80 Depth=2
	v_div_scale_f64 v[15:16], null, v[19:20], v[19:20], v[21:22]
	v_div_scale_f64 v[43:44], vcc_lo, v[21:22], v[19:20], v[21:22]
	s_delay_alu instid0(VALU_DEP_2) | instskip(NEXT) | instid1(TRANS32_DEP_1)
	v_rcp_f64_e32 v[17:18], v[15:16]
	v_fma_f64 v[41:42], -v[15:16], v[17:18], 1.0
	s_delay_alu instid0(VALU_DEP_1) | instskip(NEXT) | instid1(VALU_DEP_1)
	v_fma_f64 v[17:18], v[17:18], v[41:42], v[17:18]
	v_fma_f64 v[41:42], -v[15:16], v[17:18], 1.0
	s_delay_alu instid0(VALU_DEP_1) | instskip(NEXT) | instid1(VALU_DEP_1)
	v_fma_f64 v[17:18], v[17:18], v[41:42], v[17:18]
	v_mul_f64_e32 v[41:42], v[43:44], v[17:18]
	s_delay_alu instid0(VALU_DEP_1) | instskip(SKIP_1) | instid1(VALU_DEP_1)
	v_fma_f64 v[15:16], -v[15:16], v[41:42], v[43:44]
	s_wait_alu 0xfffd
	v_div_fmas_f64 v[15:16], v[15:16], v[17:18], v[41:42]
	s_delay_alu instid0(VALU_DEP_1) | instskip(NEXT) | instid1(VALU_DEP_1)
	v_div_fixup_f64 v[15:16], v[15:16], v[19:20], v[21:22]
	v_fma_f64 v[17:18], v[21:22], v[15:16], v[19:20]
	s_delay_alu instid0(VALU_DEP_1) | instskip(SKIP_1) | instid1(VALU_DEP_2)
	v_div_scale_f64 v[19:20], null, v[17:18], v[17:18], 1.0
	v_div_scale_f64 v[43:44], vcc_lo, 1.0, v[17:18], 1.0
	v_rcp_f64_e32 v[21:22], v[19:20]
	s_delay_alu instid0(TRANS32_DEP_1) | instskip(NEXT) | instid1(VALU_DEP_1)
	v_fma_f64 v[41:42], -v[19:20], v[21:22], 1.0
	v_fma_f64 v[21:22], v[21:22], v[41:42], v[21:22]
	s_delay_alu instid0(VALU_DEP_1) | instskip(NEXT) | instid1(VALU_DEP_1)
	v_fma_f64 v[41:42], -v[19:20], v[21:22], 1.0
	v_fma_f64 v[21:22], v[21:22], v[41:42], v[21:22]
	s_delay_alu instid0(VALU_DEP_1) | instskip(NEXT) | instid1(VALU_DEP_1)
	v_mul_f64_e32 v[41:42], v[43:44], v[21:22]
	v_fma_f64 v[19:20], -v[19:20], v[41:42], v[43:44]
	s_wait_alu 0xfffd
	s_delay_alu instid0(VALU_DEP_1) | instskip(SKIP_1) | instid1(VALU_DEP_2)
	v_div_fmas_f64 v[19:20], v[19:20], v[21:22], v[41:42]
	v_fma_f64 v[21:22], v[15:16], v[25:26], v[23:24]
	v_div_fixup_f64 v[17:18], v[19:20], v[17:18], 1.0
	v_fma_f64 v[19:20], -v[15:16], v[23:24], v[25:26]
	s_delay_alu instid0(VALU_DEP_2) | instskip(NEXT) | instid1(VALU_DEP_2)
	v_mul_f64_e32 v[15:16], v[21:22], v[17:18]
	v_mul_f64_e32 v[17:18], v[19:20], v[17:18]
.LBB238_91:                             ;   in Loop: Header=BB238_80 Depth=2
	s_lshl_b32 s39, s41, 4
	s_lshl_b32 s37, s37, 4
	s_wait_alu 0xfffe
	s_add_co_i32 s41, s39, s40
	s_add_co_i32 s37, s39, s37
	s_wait_alu 0xfffe
	v_mov_b32_e32 v19, s41
	s_add_co_i32 s41, s41, -16
	ds_store_b128 v40, v[15:18]
	s_wait_alu 0xfffe
	v_mov_b32_e32 v23, s41
	ds_load_b128 v[19:22], v19
	ds_load_b128 v[23:26], v23
	s_wait_dscnt 0x1
	v_mul_f64_e32 v[41:42], v[13:14], v[21:22]
	v_mul_f64_e32 v[21:22], v[11:12], v[21:22]
	s_wait_dscnt 0x0
	v_mul_f64_e32 v[43:44], v[17:18], v[25:26]
	v_mul_f64_e32 v[25:26], v[15:16], v[25:26]
	s_delay_alu instid0(VALU_DEP_4) | instskip(NEXT) | instid1(VALU_DEP_4)
	v_fma_f64 v[41:42], v[11:12], v[19:20], -v[41:42]
	v_fma_f64 v[19:20], v[13:14], v[19:20], v[21:22]
	s_delay_alu instid0(VALU_DEP_4) | instskip(NEXT) | instid1(VALU_DEP_4)
	v_fma_f64 v[43:44], v[15:16], v[23:24], -v[43:44]
	v_fma_f64 v[25:26], v[17:18], v[23:24], v[25:26]
	s_delay_alu instid0(VALU_DEP_4) | instskip(NEXT) | instid1(VALU_DEP_4)
	v_add_f64_e64 v[7:8], v[7:8], -v[41:42]
	v_add_f64_e64 v[9:10], v[9:10], -v[19:20]
	v_mov_b32_e32 v19, s37
	ds_load_b128 v[19:22], v19
	s_wait_dscnt 0x0
	v_cmp_ngt_f64_e64 s37, |v[19:20]|, |v[21:22]|
	v_add_f64_e64 v[23:24], v[7:8], -v[43:44]
	v_add_f64_e64 v[25:26], v[9:10], -v[25:26]
                                        ; implicit-def: $vgpr9_vgpr10
	s_and_b32 vcc_lo, exec_lo, s37
	s_mov_b32 s37, -1
	s_wait_alu 0xfffe
	s_cbranch_vccz .LBB238_93
; %bb.92:                               ;   in Loop: Header=BB238_80 Depth=2
	v_div_scale_f64 v[7:8], null, v[21:22], v[21:22], v[19:20]
	v_div_scale_f64 v[42:43], vcc_lo, v[19:20], v[21:22], v[19:20]
	s_mov_b32 s37, 0
	v_rcp_f64_e32 v[9:10], v[7:8]
	s_delay_alu instid0(TRANS32_DEP_1) | instskip(NEXT) | instid1(VALU_DEP_1)
	v_fma_f64 v[40:41], -v[7:8], v[9:10], 1.0
	v_fma_f64 v[9:10], v[9:10], v[40:41], v[9:10]
	s_delay_alu instid0(VALU_DEP_1) | instskip(NEXT) | instid1(VALU_DEP_1)
	v_fma_f64 v[40:41], -v[7:8], v[9:10], 1.0
	v_fma_f64 v[9:10], v[9:10], v[40:41], v[9:10]
	s_delay_alu instid0(VALU_DEP_1) | instskip(NEXT) | instid1(VALU_DEP_1)
	v_mul_f64_e32 v[40:41], v[42:43], v[9:10]
	v_fma_f64 v[7:8], -v[7:8], v[40:41], v[42:43]
	s_wait_alu 0xfffd
	s_delay_alu instid0(VALU_DEP_1) | instskip(NEXT) | instid1(VALU_DEP_1)
	v_div_fmas_f64 v[7:8], v[7:8], v[9:10], v[40:41]
	v_div_fixup_f64 v[7:8], v[7:8], v[21:22], v[19:20]
	s_delay_alu instid0(VALU_DEP_1) | instskip(NEXT) | instid1(VALU_DEP_1)
	v_fma_f64 v[9:10], v[19:20], v[7:8], v[21:22]
	v_div_scale_f64 v[40:41], null, v[9:10], v[9:10], 1.0
	v_div_scale_f64 v[46:47], vcc_lo, 1.0, v[9:10], 1.0
	s_delay_alu instid0(VALU_DEP_2) | instskip(NEXT) | instid1(TRANS32_DEP_1)
	v_rcp_f64_e32 v[42:43], v[40:41]
	v_fma_f64 v[44:45], -v[40:41], v[42:43], 1.0
	s_delay_alu instid0(VALU_DEP_1) | instskip(NEXT) | instid1(VALU_DEP_1)
	v_fma_f64 v[42:43], v[42:43], v[44:45], v[42:43]
	v_fma_f64 v[44:45], -v[40:41], v[42:43], 1.0
	s_delay_alu instid0(VALU_DEP_1) | instskip(NEXT) | instid1(VALU_DEP_1)
	v_fma_f64 v[42:43], v[42:43], v[44:45], v[42:43]
	v_mul_f64_e32 v[44:45], v[46:47], v[42:43]
	s_delay_alu instid0(VALU_DEP_1) | instskip(SKIP_1) | instid1(VALU_DEP_1)
	v_fma_f64 v[40:41], -v[40:41], v[44:45], v[46:47]
	s_wait_alu 0xfffd
	v_div_fmas_f64 v[40:41], v[40:41], v[42:43], v[44:45]
	v_fma_f64 v[42:43], v[7:8], v[23:24], v[25:26]
	s_delay_alu instid0(VALU_DEP_2) | instskip(SKIP_1) | instid1(VALU_DEP_2)
	v_div_fixup_f64 v[9:10], v[40:41], v[9:10], 1.0
	v_fma_f64 v[40:41], v[7:8], v[25:26], -v[23:24]
	v_mul_f64_e32 v[7:8], v[42:43], v[9:10]
	s_delay_alu instid0(VALU_DEP_2)
	v_mul_f64_e32 v[9:10], v[40:41], v[9:10]
.LBB238_93:                             ;   in Loop: Header=BB238_80 Depth=2
	s_wait_alu 0xfffe
	s_and_not1_b32 vcc_lo, exec_lo, s37
	s_wait_alu 0xfffe
	s_cbranch_vccnz .LBB238_95
; %bb.94:                               ;   in Loop: Header=BB238_80 Depth=2
	v_div_scale_f64 v[7:8], null, v[19:20], v[19:20], v[21:22]
	v_div_scale_f64 v[42:43], vcc_lo, v[21:22], v[19:20], v[21:22]
	s_delay_alu instid0(VALU_DEP_2) | instskip(NEXT) | instid1(TRANS32_DEP_1)
	v_rcp_f64_e32 v[9:10], v[7:8]
	v_fma_f64 v[40:41], -v[7:8], v[9:10], 1.0
	s_delay_alu instid0(VALU_DEP_1) | instskip(NEXT) | instid1(VALU_DEP_1)
	v_fma_f64 v[9:10], v[9:10], v[40:41], v[9:10]
	v_fma_f64 v[40:41], -v[7:8], v[9:10], 1.0
	s_delay_alu instid0(VALU_DEP_1) | instskip(NEXT) | instid1(VALU_DEP_1)
	v_fma_f64 v[9:10], v[9:10], v[40:41], v[9:10]
	v_mul_f64_e32 v[40:41], v[42:43], v[9:10]
	s_delay_alu instid0(VALU_DEP_1) | instskip(SKIP_1) | instid1(VALU_DEP_1)
	v_fma_f64 v[7:8], -v[7:8], v[40:41], v[42:43]
	s_wait_alu 0xfffd
	v_div_fmas_f64 v[7:8], v[7:8], v[9:10], v[40:41]
	s_delay_alu instid0(VALU_DEP_1) | instskip(NEXT) | instid1(VALU_DEP_1)
	v_div_fixup_f64 v[7:8], v[7:8], v[19:20], v[21:22]
	v_fma_f64 v[9:10], v[21:22], v[7:8], v[19:20]
	s_delay_alu instid0(VALU_DEP_1) | instskip(SKIP_1) | instid1(VALU_DEP_2)
	v_div_scale_f64 v[19:20], null, v[9:10], v[9:10], 1.0
	v_div_scale_f64 v[42:43], vcc_lo, 1.0, v[9:10], 1.0
	v_rcp_f64_e32 v[21:22], v[19:20]
	s_delay_alu instid0(TRANS32_DEP_1) | instskip(NEXT) | instid1(VALU_DEP_1)
	v_fma_f64 v[40:41], -v[19:20], v[21:22], 1.0
	v_fma_f64 v[21:22], v[21:22], v[40:41], v[21:22]
	s_delay_alu instid0(VALU_DEP_1) | instskip(NEXT) | instid1(VALU_DEP_1)
	v_fma_f64 v[40:41], -v[19:20], v[21:22], 1.0
	v_fma_f64 v[21:22], v[21:22], v[40:41], v[21:22]
	s_delay_alu instid0(VALU_DEP_1) | instskip(NEXT) | instid1(VALU_DEP_1)
	v_mul_f64_e32 v[40:41], v[42:43], v[21:22]
	v_fma_f64 v[19:20], -v[19:20], v[40:41], v[42:43]
	s_wait_alu 0xfffd
	s_delay_alu instid0(VALU_DEP_1) | instskip(SKIP_1) | instid1(VALU_DEP_2)
	v_div_fmas_f64 v[19:20], v[19:20], v[21:22], v[40:41]
	v_fma_f64 v[21:22], v[7:8], v[25:26], v[23:24]
	v_div_fixup_f64 v[9:10], v[19:20], v[9:10], 1.0
	v_fma_f64 v[19:20], -v[7:8], v[23:24], v[25:26]
	s_delay_alu instid0(VALU_DEP_2) | instskip(NEXT) | instid1(VALU_DEP_2)
	v_mul_f64_e32 v[7:8], v[21:22], v[9:10]
	v_mul_f64_e32 v[9:10], v[19:20], v[9:10]
.LBB238_95:                             ;   in Loop: Header=BB238_80 Depth=2
	s_lshl_b32 s37, s38, 4
	s_lshl_b32 s36, s36, 4
	s_wait_alu 0xfffe
	s_add_co_i32 s38, s37, s40
	s_add_co_i32 s36, s37, s36
	s_wait_alu 0xfffe
	v_mov_b32_e32 v19, s38
	s_add_co_i32 s39, s38, -16
	s_sub_co_i32 s38, s38, 32
	s_wait_alu 0xfffe
	v_mov_b32_e32 v23, s39
	ds_store_b128 v39, v[7:10]
	ds_load_b128 v[19:22], v19
	ds_load_b128 v[23:26], v23
	s_wait_dscnt 0x1
	v_mul_f64_e32 v[40:41], v[13:14], v[21:22]
	v_mul_f64_e32 v[21:22], v[11:12], v[21:22]
	s_delay_alu instid0(VALU_DEP_2) | instskip(SKIP_1) | instid1(VALU_DEP_3)
	v_fma_f64 v[40:41], v[11:12], v[19:20], -v[40:41]
	v_mov_b32_e32 v11, s38
	v_fma_f64 v[44:45], v[13:14], v[19:20], v[21:22]
	ds_load_b128 v[19:22], v11
	s_wait_dscnt 0x1
	v_mul_f64_e32 v[42:43], v[17:18], v[25:26]
	v_mul_f64_e32 v[25:26], v[15:16], v[25:26]
	v_mov_b32_e32 v11, s36
	ds_load_b128 v[11:14], v11
	s_wait_dscnt 0x1
	v_mul_f64_e32 v[46:47], v[9:10], v[21:22]
	v_mul_f64_e32 v[21:22], v[7:8], v[21:22]
	s_wait_dscnt 0x0
	v_cmp_ngt_f64_e64 s36, |v[11:12]|, |v[13:14]|
	v_add_f64_e64 v[3:4], v[3:4], -v[40:41]
	v_add_f64_e64 v[5:6], v[5:6], -v[44:45]
	v_fma_f64 v[15:16], v[15:16], v[23:24], -v[42:43]
	v_fma_f64 v[17:18], v[17:18], v[23:24], v[25:26]
	v_fma_f64 v[23:24], v[7:8], v[19:20], -v[46:47]
	v_fma_f64 v[19:20], v[9:10], v[19:20], v[21:22]
	s_and_b32 vcc_lo, exec_lo, s36
	s_mov_b32 s36, -1
	s_delay_alu instid0(VALU_DEP_4) | instskip(NEXT) | instid1(VALU_DEP_4)
	v_add_f64_e64 v[3:4], v[3:4], -v[15:16]
	v_add_f64_e64 v[5:6], v[5:6], -v[17:18]
	s_delay_alu instid0(VALU_DEP_2) | instskip(NEXT) | instid1(VALU_DEP_2)
	v_add_f64_e64 v[15:16], v[3:4], -v[23:24]
	v_add_f64_e64 v[17:18], v[5:6], -v[19:20]
                                        ; implicit-def: $vgpr5_vgpr6
	s_wait_alu 0xfffe
	s_cbranch_vccz .LBB238_97
; %bb.96:                               ;   in Loop: Header=BB238_80 Depth=2
	v_div_scale_f64 v[3:4], null, v[13:14], v[13:14], v[11:12]
	v_div_scale_f64 v[9:10], vcc_lo, v[11:12], v[13:14], v[11:12]
	s_mov_b32 s36, 0
	v_rcp_f64_e32 v[5:6], v[3:4]
	s_delay_alu instid0(TRANS32_DEP_1) | instskip(NEXT) | instid1(VALU_DEP_1)
	v_fma_f64 v[7:8], -v[3:4], v[5:6], 1.0
	v_fma_f64 v[5:6], v[5:6], v[7:8], v[5:6]
	s_delay_alu instid0(VALU_DEP_1) | instskip(NEXT) | instid1(VALU_DEP_1)
	v_fma_f64 v[7:8], -v[3:4], v[5:6], 1.0
	v_fma_f64 v[5:6], v[5:6], v[7:8], v[5:6]
	s_delay_alu instid0(VALU_DEP_1) | instskip(NEXT) | instid1(VALU_DEP_1)
	v_mul_f64_e32 v[7:8], v[9:10], v[5:6]
	v_fma_f64 v[3:4], -v[3:4], v[7:8], v[9:10]
	s_wait_alu 0xfffd
	s_delay_alu instid0(VALU_DEP_1) | instskip(NEXT) | instid1(VALU_DEP_1)
	v_div_fmas_f64 v[3:4], v[3:4], v[5:6], v[7:8]
	v_div_fixup_f64 v[3:4], v[3:4], v[13:14], v[11:12]
	s_delay_alu instid0(VALU_DEP_1) | instskip(NEXT) | instid1(VALU_DEP_1)
	v_fma_f64 v[5:6], v[11:12], v[3:4], v[13:14]
	v_div_scale_f64 v[7:8], null, v[5:6], v[5:6], 1.0
	v_div_scale_f64 v[21:22], vcc_lo, 1.0, v[5:6], 1.0
	s_delay_alu instid0(VALU_DEP_2) | instskip(NEXT) | instid1(TRANS32_DEP_1)
	v_rcp_f64_e32 v[9:10], v[7:8]
	v_fma_f64 v[19:20], -v[7:8], v[9:10], 1.0
	s_delay_alu instid0(VALU_DEP_1) | instskip(NEXT) | instid1(VALU_DEP_1)
	v_fma_f64 v[9:10], v[9:10], v[19:20], v[9:10]
	v_fma_f64 v[19:20], -v[7:8], v[9:10], 1.0
	s_delay_alu instid0(VALU_DEP_1) | instskip(NEXT) | instid1(VALU_DEP_1)
	v_fma_f64 v[9:10], v[9:10], v[19:20], v[9:10]
	v_mul_f64_e32 v[19:20], v[21:22], v[9:10]
	s_delay_alu instid0(VALU_DEP_1) | instskip(SKIP_1) | instid1(VALU_DEP_1)
	v_fma_f64 v[7:8], -v[7:8], v[19:20], v[21:22]
	s_wait_alu 0xfffd
	v_div_fmas_f64 v[7:8], v[7:8], v[9:10], v[19:20]
	v_fma_f64 v[9:10], v[3:4], v[15:16], v[17:18]
	s_delay_alu instid0(VALU_DEP_2) | instskip(SKIP_1) | instid1(VALU_DEP_2)
	v_div_fixup_f64 v[5:6], v[7:8], v[5:6], 1.0
	v_fma_f64 v[7:8], v[3:4], v[17:18], -v[15:16]
	v_mul_f64_e32 v[3:4], v[9:10], v[5:6]
	s_delay_alu instid0(VALU_DEP_2)
	v_mul_f64_e32 v[5:6], v[7:8], v[5:6]
.LBB238_97:                             ;   in Loop: Header=BB238_80 Depth=2
	s_wait_alu 0xfffe
	s_and_not1_b32 vcc_lo, exec_lo, s36
	s_wait_alu 0xfffe
	s_cbranch_vccnz .LBB238_99
; %bb.98:                               ;   in Loop: Header=BB238_80 Depth=2
	v_div_scale_f64 v[3:4], null, v[11:12], v[11:12], v[13:14]
	v_div_scale_f64 v[9:10], vcc_lo, v[13:14], v[11:12], v[13:14]
	s_delay_alu instid0(VALU_DEP_2) | instskip(NEXT) | instid1(TRANS32_DEP_1)
	v_rcp_f64_e32 v[5:6], v[3:4]
	v_fma_f64 v[7:8], -v[3:4], v[5:6], 1.0
	s_delay_alu instid0(VALU_DEP_1) | instskip(NEXT) | instid1(VALU_DEP_1)
	v_fma_f64 v[5:6], v[5:6], v[7:8], v[5:6]
	v_fma_f64 v[7:8], -v[3:4], v[5:6], 1.0
	s_delay_alu instid0(VALU_DEP_1) | instskip(NEXT) | instid1(VALU_DEP_1)
	v_fma_f64 v[5:6], v[5:6], v[7:8], v[5:6]
	v_mul_f64_e32 v[7:8], v[9:10], v[5:6]
	s_delay_alu instid0(VALU_DEP_1) | instskip(SKIP_1) | instid1(VALU_DEP_1)
	v_fma_f64 v[3:4], -v[3:4], v[7:8], v[9:10]
	s_wait_alu 0xfffd
	v_div_fmas_f64 v[3:4], v[3:4], v[5:6], v[7:8]
	s_delay_alu instid0(VALU_DEP_1) | instskip(NEXT) | instid1(VALU_DEP_1)
	v_div_fixup_f64 v[3:4], v[3:4], v[11:12], v[13:14]
	v_fma_f64 v[5:6], v[13:14], v[3:4], v[11:12]
	s_delay_alu instid0(VALU_DEP_1) | instskip(SKIP_1) | instid1(VALU_DEP_2)
	v_div_scale_f64 v[7:8], null, v[5:6], v[5:6], 1.0
	v_div_scale_f64 v[13:14], vcc_lo, 1.0, v[5:6], 1.0
	v_rcp_f64_e32 v[9:10], v[7:8]
	s_delay_alu instid0(TRANS32_DEP_1) | instskip(NEXT) | instid1(VALU_DEP_1)
	v_fma_f64 v[11:12], -v[7:8], v[9:10], 1.0
	v_fma_f64 v[9:10], v[9:10], v[11:12], v[9:10]
	s_delay_alu instid0(VALU_DEP_1) | instskip(NEXT) | instid1(VALU_DEP_1)
	v_fma_f64 v[11:12], -v[7:8], v[9:10], 1.0
	v_fma_f64 v[9:10], v[9:10], v[11:12], v[9:10]
	s_delay_alu instid0(VALU_DEP_1) | instskip(NEXT) | instid1(VALU_DEP_1)
	v_mul_f64_e32 v[11:12], v[13:14], v[9:10]
	v_fma_f64 v[7:8], -v[7:8], v[11:12], v[13:14]
	s_wait_alu 0xfffd
	s_delay_alu instid0(VALU_DEP_1) | instskip(SKIP_1) | instid1(VALU_DEP_2)
	v_div_fmas_f64 v[7:8], v[7:8], v[9:10], v[11:12]
	v_fma_f64 v[9:10], v[3:4], v[17:18], v[15:16]
	v_div_fixup_f64 v[5:6], v[7:8], v[5:6], 1.0
	v_fma_f64 v[7:8], -v[3:4], v[15:16], v[17:18]
	s_delay_alu instid0(VALU_DEP_2) | instskip(NEXT) | instid1(VALU_DEP_2)
	v_mul_f64_e32 v[3:4], v[9:10], v[5:6]
	v_mul_f64_e32 v[5:6], v[7:8], v[5:6]
.LBB238_99:                             ;   in Loop: Header=BB238_80 Depth=2
	s_add_co_i32 s36, s19, -4
	s_addk_co_i32 s18, 0xf800
	s_cmp_lt_i32 s19, 7
	ds_store_b128 v38, v[3:6]
	s_cbranch_scc1 .LBB238_101
; %bb.100:                              ;   in Loop: Header=BB238_80 Depth=2
	s_wait_alu 0xfffe
	s_mov_b32 s19, s36
	s_branch .LBB238_80
.LBB238_101:                            ;   in Loop: Header=BB238_3 Depth=1
	s_wait_alu 0xfffe
	s_cmp_lt_i32 s36, 0
	s_cbranch_scc1 .LBB238_110
; %bb.102:                              ;   in Loop: Header=BB238_3 Depth=1
	s_lshl_b32 s18, s36, 9
	s_wait_alu 0xfffe
	s_add_co_i32 s18, s25, s18
	s_branch .LBB238_104
.LBB238_103:                            ;   in Loop: Header=BB238_104 Depth=2
	v_sub_co_u32 v3, s19, s36, 1
	s_and_b32 vcc_lo, exec_lo, s19
	s_addk_co_i32 s18, 0xfe00
	ds_store_b128 v15, v[11:14]
	v_readfirstlane_b32 s36, v3
	s_wait_alu 0xfffe
	s_cbranch_vccnz .LBB238_110
.LBB238_104:                            ;   Parent Loop BB238_3 Depth=1
                                        ; =>  This Loop Header: Depth=2
                                        ;       Child Loop BB238_105 Depth 3
	s_wait_alu 0xf1ff
	v_lshl_add_u32 v15, s36, 9, v30
	v_mov_b32_e32 v7, v36
	s_cmp_le_i32 s29, s36
	s_wait_alu 0xfffe
	s_mov_b32 s19, s18
	s_mov_b32 s37, s29
	ds_load_b128 v[3:6], v15
	s_cbranch_scc1 .LBB238_106
.LBB238_105:                            ;   Parent Loop BB238_3 Depth=1
                                        ;     Parent Loop BB238_104 Depth=2
                                        ; =>    This Inner Loop Header: Depth=3
	s_wait_alu 0xfffe
	v_mov_b32_e32 v12, s19
	s_add_co_i32 s37, s37, -1
	s_add_co_i32 s19, s19, -16
	s_wait_alu 0xfffe
	s_cmp_le_u32 s37, s36
	ds_load_b128 v[8:11], v7
	ds_load_b128 v[16:19], v12
	v_add_nc_u32_e32 v7, 0xfffffe00, v7
	s_wait_dscnt 0x0
	v_mul_f64_e32 v[12:13], v[18:19], v[10:11]
	v_mul_f64_e32 v[10:11], v[16:17], v[10:11]
	s_delay_alu instid0(VALU_DEP_2) | instskip(NEXT) | instid1(VALU_DEP_2)
	v_fma_f64 v[12:13], v[16:17], v[8:9], -v[12:13]
	v_fma_f64 v[8:9], v[18:19], v[8:9], v[10:11]
	s_delay_alu instid0(VALU_DEP_2) | instskip(NEXT) | instid1(VALU_DEP_2)
	v_add_f64_e64 v[3:4], v[3:4], -v[12:13]
	v_add_f64_e64 v[5:6], v[5:6], -v[8:9]
	s_cbranch_scc0 .LBB238_105
.LBB238_106:                            ;   in Loop: Header=BB238_104 Depth=2
	s_mul_i32 s19, s36, 0x210
                                        ; implicit-def: $vgpr11_vgpr12
	s_wait_alu 0xfffe
	v_mov_b32_e32 v7, s19
	ds_load_b128 v[7:10], v7
	s_wait_dscnt 0x0
	v_cmp_ngt_f64_e64 s19, |v[7:8]|, |v[9:10]|
	s_and_b32 vcc_lo, exec_lo, s19
	s_mov_b32 s19, -1
	s_wait_alu 0xfffe
	s_cbranch_vccz .LBB238_108
; %bb.107:                              ;   in Loop: Header=BB238_104 Depth=2
	v_div_scale_f64 v[11:12], null, v[9:10], v[9:10], v[7:8]
	v_div_scale_f64 v[18:19], vcc_lo, v[7:8], v[9:10], v[7:8]
	s_mov_b32 s19, 0
	v_rcp_f64_e32 v[13:14], v[11:12]
	s_delay_alu instid0(TRANS32_DEP_1) | instskip(NEXT) | instid1(VALU_DEP_1)
	v_fma_f64 v[16:17], -v[11:12], v[13:14], 1.0
	v_fma_f64 v[13:14], v[13:14], v[16:17], v[13:14]
	s_delay_alu instid0(VALU_DEP_1) | instskip(NEXT) | instid1(VALU_DEP_1)
	v_fma_f64 v[16:17], -v[11:12], v[13:14], 1.0
	v_fma_f64 v[13:14], v[13:14], v[16:17], v[13:14]
	s_delay_alu instid0(VALU_DEP_1) | instskip(NEXT) | instid1(VALU_DEP_1)
	v_mul_f64_e32 v[16:17], v[18:19], v[13:14]
	v_fma_f64 v[11:12], -v[11:12], v[16:17], v[18:19]
	s_wait_alu 0xfffd
	s_delay_alu instid0(VALU_DEP_1) | instskip(NEXT) | instid1(VALU_DEP_1)
	v_div_fmas_f64 v[11:12], v[11:12], v[13:14], v[16:17]
	v_div_fixup_f64 v[11:12], v[11:12], v[9:10], v[7:8]
	s_delay_alu instid0(VALU_DEP_1) | instskip(NEXT) | instid1(VALU_DEP_1)
	v_fma_f64 v[13:14], v[7:8], v[11:12], v[9:10]
	v_div_scale_f64 v[16:17], null, v[13:14], v[13:14], 1.0
	v_div_scale_f64 v[22:23], vcc_lo, 1.0, v[13:14], 1.0
	s_delay_alu instid0(VALU_DEP_2) | instskip(NEXT) | instid1(TRANS32_DEP_1)
	v_rcp_f64_e32 v[18:19], v[16:17]
	v_fma_f64 v[20:21], -v[16:17], v[18:19], 1.0
	s_delay_alu instid0(VALU_DEP_1) | instskip(NEXT) | instid1(VALU_DEP_1)
	v_fma_f64 v[18:19], v[18:19], v[20:21], v[18:19]
	v_fma_f64 v[20:21], -v[16:17], v[18:19], 1.0
	s_delay_alu instid0(VALU_DEP_1) | instskip(NEXT) | instid1(VALU_DEP_1)
	v_fma_f64 v[18:19], v[18:19], v[20:21], v[18:19]
	v_mul_f64_e32 v[20:21], v[22:23], v[18:19]
	s_delay_alu instid0(VALU_DEP_1) | instskip(SKIP_1) | instid1(VALU_DEP_1)
	v_fma_f64 v[16:17], -v[16:17], v[20:21], v[22:23]
	s_wait_alu 0xfffd
	v_div_fmas_f64 v[16:17], v[16:17], v[18:19], v[20:21]
	v_fma_f64 v[18:19], v[3:4], v[11:12], v[5:6]
	s_delay_alu instid0(VALU_DEP_2) | instskip(SKIP_1) | instid1(VALU_DEP_2)
	v_div_fixup_f64 v[13:14], v[16:17], v[13:14], 1.0
	v_fma_f64 v[16:17], v[5:6], v[11:12], -v[3:4]
	v_mul_f64_e32 v[11:12], v[18:19], v[13:14]
	s_delay_alu instid0(VALU_DEP_2)
	v_mul_f64_e32 v[13:14], v[16:17], v[13:14]
.LBB238_108:                            ;   in Loop: Header=BB238_104 Depth=2
	s_wait_alu 0xfffe
	s_and_not1_b32 vcc_lo, exec_lo, s19
	s_wait_alu 0xfffe
	s_cbranch_vccnz .LBB238_103
; %bb.109:                              ;   in Loop: Header=BB238_104 Depth=2
	v_div_scale_f64 v[11:12], null, v[7:8], v[7:8], v[9:10]
	v_div_scale_f64 v[18:19], vcc_lo, v[9:10], v[7:8], v[9:10]
	s_delay_alu instid0(VALU_DEP_2) | instskip(NEXT) | instid1(TRANS32_DEP_1)
	v_rcp_f64_e32 v[13:14], v[11:12]
	v_fma_f64 v[16:17], -v[11:12], v[13:14], 1.0
	s_delay_alu instid0(VALU_DEP_1) | instskip(NEXT) | instid1(VALU_DEP_1)
	v_fma_f64 v[13:14], v[13:14], v[16:17], v[13:14]
	v_fma_f64 v[16:17], -v[11:12], v[13:14], 1.0
	s_delay_alu instid0(VALU_DEP_1) | instskip(NEXT) | instid1(VALU_DEP_1)
	v_fma_f64 v[13:14], v[13:14], v[16:17], v[13:14]
	v_mul_f64_e32 v[16:17], v[18:19], v[13:14]
	s_delay_alu instid0(VALU_DEP_1) | instskip(SKIP_1) | instid1(VALU_DEP_1)
	v_fma_f64 v[11:12], -v[11:12], v[16:17], v[18:19]
	s_wait_alu 0xfffd
	v_div_fmas_f64 v[11:12], v[11:12], v[13:14], v[16:17]
	s_delay_alu instid0(VALU_DEP_1) | instskip(NEXT) | instid1(VALU_DEP_1)
	v_div_fixup_f64 v[11:12], v[11:12], v[7:8], v[9:10]
	v_fma_f64 v[7:8], v[9:10], v[11:12], v[7:8]
	s_delay_alu instid0(VALU_DEP_1) | instskip(SKIP_1) | instid1(VALU_DEP_2)
	v_div_scale_f64 v[9:10], null, v[7:8], v[7:8], 1.0
	v_div_scale_f64 v[18:19], vcc_lo, 1.0, v[7:8], 1.0
	v_rcp_f64_e32 v[13:14], v[9:10]
	s_delay_alu instid0(TRANS32_DEP_1) | instskip(NEXT) | instid1(VALU_DEP_1)
	v_fma_f64 v[16:17], -v[9:10], v[13:14], 1.0
	v_fma_f64 v[13:14], v[13:14], v[16:17], v[13:14]
	s_delay_alu instid0(VALU_DEP_1) | instskip(NEXT) | instid1(VALU_DEP_1)
	v_fma_f64 v[16:17], -v[9:10], v[13:14], 1.0
	v_fma_f64 v[13:14], v[13:14], v[16:17], v[13:14]
	s_delay_alu instid0(VALU_DEP_1) | instskip(NEXT) | instid1(VALU_DEP_1)
	v_mul_f64_e32 v[16:17], v[18:19], v[13:14]
	v_fma_f64 v[9:10], -v[9:10], v[16:17], v[18:19]
	s_wait_alu 0xfffd
	s_delay_alu instid0(VALU_DEP_1) | instskip(SKIP_2) | instid1(VALU_DEP_3)
	v_div_fmas_f64 v[9:10], v[9:10], v[13:14], v[16:17]
	v_fma_f64 v[13:14], v[5:6], v[11:12], v[3:4]
	v_fma_f64 v[3:4], -v[3:4], v[11:12], v[5:6]
	v_div_fixup_f64 v[7:8], v[9:10], v[7:8], 1.0
	s_delay_alu instid0(VALU_DEP_1) | instskip(NEXT) | instid1(VALU_DEP_3)
	v_mul_f64_e32 v[11:12], v[13:14], v[7:8]
	v_mul_f64_e32 v[13:14], v[3:4], v[7:8]
	s_branch .LBB238_103
.LBB238_110:                            ;   in Loop: Header=BB238_3 Depth=1
	s_mov_b32 s18, 0
.LBB238_111:                            ;   in Loop: Header=BB238_3 Depth=1
	s_wait_alu 0xfffe
	s_and_not1_b32 vcc_lo, exec_lo, s18
	s_wait_alu 0xfffe
	s_cbranch_vccnz .LBB238_143
; %bb.112:                              ;   in Loop: Header=BB238_3 Depth=1
	s_and_not1_b32 vcc_lo, exec_lo, s34
	s_mov_b32 s36, 0
	s_wait_alu 0xfffe
	s_cbranch_vccnz .LBB238_134
; %bb.113:                              ;   in Loop: Header=BB238_3 Depth=1
	s_mov_b32 s18, 0
	s_mov_b32 s19, 0
.LBB238_114:                            ;   Parent Loop BB238_3 Depth=1
                                        ; =>  This Loop Header: Depth=2
                                        ;       Child Loop BB238_115 Depth 3
	s_wait_alu 0xfffe
	s_or_b32 s39, s19, 1
	v_lshl_add_u32 v41, s19, 9, v30
	s_or_b32 s37, s19, 2
	s_or_b32 s36, s19, 3
	s_wait_alu 0xfffe
	v_lshl_add_u32 v40, s39, 9, v30
	v_lshl_add_u32 v39, s37, 9, v30
	;; [unrolled: 1-line block ×3, first 2 shown]
	ds_load_b128 v[19:22], v41
	ds_load_b128 v[15:18], v40
	;; [unrolled: 1-line block ×4, first 2 shown]
	v_mov_b32_e32 v11, v30
	s_cmp_eq_u32 s19, 0
	s_mov_b32 s38, s18
	s_mov_b32 s40, s19
	s_cbranch_scc1 .LBB238_116
.LBB238_115:                            ;   Parent Loop BB238_3 Depth=1
                                        ;     Parent Loop BB238_114 Depth=2
                                        ; =>    This Inner Loop Header: Depth=3
	s_wait_alu 0xfffe
	v_mov_b32_e32 v12, s38
	s_add_co_i32 s40, s40, -1
	s_add_co_i32 s38, s38, 16
	s_wait_alu 0xfffe
	s_cmp_eq_u32 s40, 0
	ds_load_b128 v[23:26], v11
	ds_load_b128 v[42:45], v12
	ds_load_b128 v[46:49], v12 offset:512
	ds_load_b128 v[50:53], v12 offset:1024
	;; [unrolled: 1-line block ×3, first 2 shown]
	v_add_nc_u32_e32 v11, 0x200, v11
	s_wait_dscnt 0x3
	v_mul_f64_e32 v[12:13], v[25:26], v[44:45]
	v_mul_f64_e32 v[44:45], v[23:24], v[44:45]
	s_wait_dscnt 0x2
	v_mul_f64_e32 v[58:59], v[25:26], v[48:49]
	v_mul_f64_e32 v[48:49], v[23:24], v[48:49]
	;; [unrolled: 3-line block ×4, first 2 shown]
	v_fma_f64 v[12:13], v[23:24], v[42:43], -v[12:13]
	v_fma_f64 v[42:43], v[25:26], v[42:43], v[44:45]
	v_fma_f64 v[44:45], v[23:24], v[46:47], -v[58:59]
	v_fma_f64 v[46:47], v[25:26], v[46:47], v[48:49]
	;; [unrolled: 2-line block ×4, first 2 shown]
	v_add_f64_e64 v[19:20], v[19:20], -v[12:13]
	v_add_f64_e64 v[21:22], v[21:22], -v[42:43]
	;; [unrolled: 1-line block ×8, first 2 shown]
	s_cbranch_scc0 .LBB238_115
.LBB238_116:                            ;   in Loop: Header=BB238_114 Depth=2
	s_mul_i32 s42, s19, 0x210
	s_lshl_b32 s40, s39, 5
	s_wait_alu 0xfffe
	v_mov_b32_e32 v11, s42
	s_lshl_b32 s41, s37, 5
	s_lshl_b32 s38, s36, 5
	ds_load_b128 v[23:26], v11
                                        ; implicit-def: $vgpr13_vgpr14
	s_wait_dscnt 0x0
	v_cmp_ngt_f64_e64 s42, |v[23:24]|, |v[25:26]|
	s_and_b32 vcc_lo, exec_lo, s42
	s_mov_b32 s42, -1
	s_wait_alu 0xfffe
	s_cbranch_vccz .LBB238_118
; %bb.117:                              ;   in Loop: Header=BB238_114 Depth=2
	v_div_scale_f64 v[11:12], null, v[25:26], v[25:26], v[23:24]
	v_div_scale_f64 v[44:45], vcc_lo, v[23:24], v[25:26], v[23:24]
	s_mov_b32 s42, 0
	v_rcp_f64_e32 v[13:14], v[11:12]
	s_delay_alu instid0(TRANS32_DEP_1) | instskip(NEXT) | instid1(VALU_DEP_1)
	v_fma_f64 v[42:43], -v[11:12], v[13:14], 1.0
	v_fma_f64 v[13:14], v[13:14], v[42:43], v[13:14]
	s_delay_alu instid0(VALU_DEP_1) | instskip(NEXT) | instid1(VALU_DEP_1)
	v_fma_f64 v[42:43], -v[11:12], v[13:14], 1.0
	v_fma_f64 v[13:14], v[13:14], v[42:43], v[13:14]
	s_delay_alu instid0(VALU_DEP_1) | instskip(NEXT) | instid1(VALU_DEP_1)
	v_mul_f64_e32 v[42:43], v[44:45], v[13:14]
	v_fma_f64 v[11:12], -v[11:12], v[42:43], v[44:45]
	s_wait_alu 0xfffd
	s_delay_alu instid0(VALU_DEP_1) | instskip(NEXT) | instid1(VALU_DEP_1)
	v_div_fmas_f64 v[11:12], v[11:12], v[13:14], v[42:43]
	v_div_fixup_f64 v[11:12], v[11:12], v[25:26], v[23:24]
	s_delay_alu instid0(VALU_DEP_1) | instskip(NEXT) | instid1(VALU_DEP_1)
	v_fma_f64 v[13:14], v[23:24], v[11:12], v[25:26]
	v_div_scale_f64 v[42:43], null, v[13:14], v[13:14], 1.0
	v_div_scale_f64 v[48:49], vcc_lo, 1.0, v[13:14], 1.0
	s_delay_alu instid0(VALU_DEP_2) | instskip(NEXT) | instid1(TRANS32_DEP_1)
	v_rcp_f64_e32 v[44:45], v[42:43]
	v_fma_f64 v[46:47], -v[42:43], v[44:45], 1.0
	s_delay_alu instid0(VALU_DEP_1) | instskip(NEXT) | instid1(VALU_DEP_1)
	v_fma_f64 v[44:45], v[44:45], v[46:47], v[44:45]
	v_fma_f64 v[46:47], -v[42:43], v[44:45], 1.0
	s_delay_alu instid0(VALU_DEP_1) | instskip(NEXT) | instid1(VALU_DEP_1)
	v_fma_f64 v[44:45], v[44:45], v[46:47], v[44:45]
	v_mul_f64_e32 v[46:47], v[48:49], v[44:45]
	s_delay_alu instid0(VALU_DEP_1) | instskip(SKIP_1) | instid1(VALU_DEP_1)
	v_fma_f64 v[42:43], -v[42:43], v[46:47], v[48:49]
	s_wait_alu 0xfffd
	v_div_fmas_f64 v[42:43], v[42:43], v[44:45], v[46:47]
	v_fma_f64 v[44:45], v[19:20], v[11:12], v[21:22]
	s_delay_alu instid0(VALU_DEP_2) | instskip(SKIP_1) | instid1(VALU_DEP_2)
	v_div_fixup_f64 v[13:14], v[42:43], v[13:14], 1.0
	v_fma_f64 v[42:43], v[21:22], v[11:12], -v[19:20]
	v_mul_f64_e32 v[11:12], v[44:45], v[13:14]
	s_delay_alu instid0(VALU_DEP_2)
	v_mul_f64_e32 v[13:14], v[42:43], v[13:14]
.LBB238_118:                            ;   in Loop: Header=BB238_114 Depth=2
	s_wait_alu 0xfffe
	s_and_not1_b32 vcc_lo, exec_lo, s42
	s_wait_alu 0xfffe
	s_cbranch_vccnz .LBB238_120
; %bb.119:                              ;   in Loop: Header=BB238_114 Depth=2
	v_div_scale_f64 v[11:12], null, v[23:24], v[23:24], v[25:26]
	v_div_scale_f64 v[44:45], vcc_lo, v[25:26], v[23:24], v[25:26]
	s_delay_alu instid0(VALU_DEP_2) | instskip(NEXT) | instid1(TRANS32_DEP_1)
	v_rcp_f64_e32 v[13:14], v[11:12]
	v_fma_f64 v[42:43], -v[11:12], v[13:14], 1.0
	s_delay_alu instid0(VALU_DEP_1) | instskip(NEXT) | instid1(VALU_DEP_1)
	v_fma_f64 v[13:14], v[13:14], v[42:43], v[13:14]
	v_fma_f64 v[42:43], -v[11:12], v[13:14], 1.0
	s_delay_alu instid0(VALU_DEP_1) | instskip(NEXT) | instid1(VALU_DEP_1)
	v_fma_f64 v[13:14], v[13:14], v[42:43], v[13:14]
	v_mul_f64_e32 v[42:43], v[44:45], v[13:14]
	s_delay_alu instid0(VALU_DEP_1) | instskip(SKIP_1) | instid1(VALU_DEP_1)
	v_fma_f64 v[11:12], -v[11:12], v[42:43], v[44:45]
	s_wait_alu 0xfffd
	v_div_fmas_f64 v[11:12], v[11:12], v[13:14], v[42:43]
	s_delay_alu instid0(VALU_DEP_1) | instskip(NEXT) | instid1(VALU_DEP_1)
	v_div_fixup_f64 v[11:12], v[11:12], v[23:24], v[25:26]
	v_fma_f64 v[13:14], v[25:26], v[11:12], v[23:24]
	s_delay_alu instid0(VALU_DEP_1) | instskip(SKIP_1) | instid1(VALU_DEP_2)
	v_div_scale_f64 v[23:24], null, v[13:14], v[13:14], 1.0
	v_div_scale_f64 v[44:45], vcc_lo, 1.0, v[13:14], 1.0
	v_rcp_f64_e32 v[25:26], v[23:24]
	s_delay_alu instid0(TRANS32_DEP_1) | instskip(NEXT) | instid1(VALU_DEP_1)
	v_fma_f64 v[42:43], -v[23:24], v[25:26], 1.0
	v_fma_f64 v[25:26], v[25:26], v[42:43], v[25:26]
	s_delay_alu instid0(VALU_DEP_1) | instskip(NEXT) | instid1(VALU_DEP_1)
	v_fma_f64 v[42:43], -v[23:24], v[25:26], 1.0
	v_fma_f64 v[25:26], v[25:26], v[42:43], v[25:26]
	s_delay_alu instid0(VALU_DEP_1) | instskip(NEXT) | instid1(VALU_DEP_1)
	v_mul_f64_e32 v[42:43], v[44:45], v[25:26]
	v_fma_f64 v[23:24], -v[23:24], v[42:43], v[44:45]
	s_wait_alu 0xfffd
	s_delay_alu instid0(VALU_DEP_1) | instskip(SKIP_2) | instid1(VALU_DEP_3)
	v_div_fmas_f64 v[23:24], v[23:24], v[25:26], v[42:43]
	v_fma_f64 v[25:26], v[21:22], v[11:12], v[19:20]
	v_fma_f64 v[19:20], -v[19:20], v[11:12], v[21:22]
	v_div_fixup_f64 v[13:14], v[23:24], v[13:14], 1.0
	s_delay_alu instid0(VALU_DEP_1) | instskip(NEXT) | instid1(VALU_DEP_3)
	v_mul_f64_e32 v[11:12], v[25:26], v[13:14]
	v_mul_f64_e32 v[13:14], v[19:20], v[13:14]
.LBB238_120:                            ;   in Loop: Header=BB238_114 Depth=2
	s_lshl_b32 s42, s40, 4
	s_lshl_b32 s40, s19, 4
	;; [unrolled: 1-line block ×3, first 2 shown]
	s_wait_alu 0xfffe
	s_add_co_i32 s43, s42, s40
	s_add_co_i32 s39, s42, s39
	s_wait_alu 0xfffe
	v_mov_b32_e32 v19, s43
	ds_store_b128 v41, v[11:14]
	ds_load_b128 v[23:26], v19
	v_mov_b32_e32 v19, s39
	ds_load_b128 v[19:22], v19
	s_wait_dscnt 0x1
	v_mul_f64_e32 v[42:43], v[13:14], v[25:26]
	v_mul_f64_e32 v[25:26], v[11:12], v[25:26]
	s_wait_dscnt 0x0
	v_cmp_ngt_f64_e64 s39, |v[19:20]|, |v[21:22]|
	s_delay_alu instid0(VALU_DEP_3) | instskip(NEXT) | instid1(VALU_DEP_3)
	v_fma_f64 v[42:43], v[11:12], v[23:24], -v[42:43]
	v_fma_f64 v[25:26], v[13:14], v[23:24], v[25:26]
	s_and_b32 vcc_lo, exec_lo, s39
	s_mov_b32 s39, -1
	s_delay_alu instid0(VALU_DEP_2) | instskip(NEXT) | instid1(VALU_DEP_2)
	v_add_f64_e64 v[23:24], v[15:16], -v[42:43]
	v_add_f64_e64 v[25:26], v[17:18], -v[25:26]
                                        ; implicit-def: $vgpr17_vgpr18
	s_wait_alu 0xfffe
	s_cbranch_vccz .LBB238_122
; %bb.121:                              ;   in Loop: Header=BB238_114 Depth=2
	v_div_scale_f64 v[15:16], null, v[21:22], v[21:22], v[19:20]
	v_div_scale_f64 v[43:44], vcc_lo, v[19:20], v[21:22], v[19:20]
	s_mov_b32 s39, 0
	v_rcp_f64_e32 v[17:18], v[15:16]
	s_delay_alu instid0(TRANS32_DEP_1) | instskip(NEXT) | instid1(VALU_DEP_1)
	v_fma_f64 v[41:42], -v[15:16], v[17:18], 1.0
	v_fma_f64 v[17:18], v[17:18], v[41:42], v[17:18]
	s_delay_alu instid0(VALU_DEP_1) | instskip(NEXT) | instid1(VALU_DEP_1)
	v_fma_f64 v[41:42], -v[15:16], v[17:18], 1.0
	v_fma_f64 v[17:18], v[17:18], v[41:42], v[17:18]
	s_delay_alu instid0(VALU_DEP_1) | instskip(NEXT) | instid1(VALU_DEP_1)
	v_mul_f64_e32 v[41:42], v[43:44], v[17:18]
	v_fma_f64 v[15:16], -v[15:16], v[41:42], v[43:44]
	s_wait_alu 0xfffd
	s_delay_alu instid0(VALU_DEP_1) | instskip(NEXT) | instid1(VALU_DEP_1)
	v_div_fmas_f64 v[15:16], v[15:16], v[17:18], v[41:42]
	v_div_fixup_f64 v[15:16], v[15:16], v[21:22], v[19:20]
	s_delay_alu instid0(VALU_DEP_1) | instskip(NEXT) | instid1(VALU_DEP_1)
	v_fma_f64 v[17:18], v[19:20], v[15:16], v[21:22]
	v_div_scale_f64 v[41:42], null, v[17:18], v[17:18], 1.0
	v_div_scale_f64 v[47:48], vcc_lo, 1.0, v[17:18], 1.0
	s_delay_alu instid0(VALU_DEP_2) | instskip(NEXT) | instid1(TRANS32_DEP_1)
	v_rcp_f64_e32 v[43:44], v[41:42]
	v_fma_f64 v[45:46], -v[41:42], v[43:44], 1.0
	s_delay_alu instid0(VALU_DEP_1) | instskip(NEXT) | instid1(VALU_DEP_1)
	v_fma_f64 v[43:44], v[43:44], v[45:46], v[43:44]
	v_fma_f64 v[45:46], -v[41:42], v[43:44], 1.0
	s_delay_alu instid0(VALU_DEP_1) | instskip(NEXT) | instid1(VALU_DEP_1)
	v_fma_f64 v[43:44], v[43:44], v[45:46], v[43:44]
	v_mul_f64_e32 v[45:46], v[47:48], v[43:44]
	s_delay_alu instid0(VALU_DEP_1) | instskip(SKIP_1) | instid1(VALU_DEP_1)
	v_fma_f64 v[41:42], -v[41:42], v[45:46], v[47:48]
	s_wait_alu 0xfffd
	v_div_fmas_f64 v[41:42], v[41:42], v[43:44], v[45:46]
	v_fma_f64 v[43:44], v[15:16], v[23:24], v[25:26]
	s_delay_alu instid0(VALU_DEP_2) | instskip(SKIP_1) | instid1(VALU_DEP_2)
	v_div_fixup_f64 v[17:18], v[41:42], v[17:18], 1.0
	v_fma_f64 v[41:42], v[15:16], v[25:26], -v[23:24]
	v_mul_f64_e32 v[15:16], v[43:44], v[17:18]
	s_delay_alu instid0(VALU_DEP_2)
	v_mul_f64_e32 v[17:18], v[41:42], v[17:18]
.LBB238_122:                            ;   in Loop: Header=BB238_114 Depth=2
	s_wait_alu 0xfffe
	s_and_not1_b32 vcc_lo, exec_lo, s39
	s_wait_alu 0xfffe
	s_cbranch_vccnz .LBB238_124
; %bb.123:                              ;   in Loop: Header=BB238_114 Depth=2
	v_div_scale_f64 v[15:16], null, v[19:20], v[19:20], v[21:22]
	v_div_scale_f64 v[43:44], vcc_lo, v[21:22], v[19:20], v[21:22]
	s_delay_alu instid0(VALU_DEP_2) | instskip(NEXT) | instid1(TRANS32_DEP_1)
	v_rcp_f64_e32 v[17:18], v[15:16]
	v_fma_f64 v[41:42], -v[15:16], v[17:18], 1.0
	s_delay_alu instid0(VALU_DEP_1) | instskip(NEXT) | instid1(VALU_DEP_1)
	v_fma_f64 v[17:18], v[17:18], v[41:42], v[17:18]
	v_fma_f64 v[41:42], -v[15:16], v[17:18], 1.0
	s_delay_alu instid0(VALU_DEP_1) | instskip(NEXT) | instid1(VALU_DEP_1)
	v_fma_f64 v[17:18], v[17:18], v[41:42], v[17:18]
	v_mul_f64_e32 v[41:42], v[43:44], v[17:18]
	s_delay_alu instid0(VALU_DEP_1) | instskip(SKIP_1) | instid1(VALU_DEP_1)
	v_fma_f64 v[15:16], -v[15:16], v[41:42], v[43:44]
	s_wait_alu 0xfffd
	v_div_fmas_f64 v[15:16], v[15:16], v[17:18], v[41:42]
	s_delay_alu instid0(VALU_DEP_1) | instskip(NEXT) | instid1(VALU_DEP_1)
	v_div_fixup_f64 v[15:16], v[15:16], v[19:20], v[21:22]
	v_fma_f64 v[17:18], v[21:22], v[15:16], v[19:20]
	s_delay_alu instid0(VALU_DEP_1) | instskip(SKIP_1) | instid1(VALU_DEP_2)
	v_div_scale_f64 v[19:20], null, v[17:18], v[17:18], 1.0
	v_div_scale_f64 v[43:44], vcc_lo, 1.0, v[17:18], 1.0
	v_rcp_f64_e32 v[21:22], v[19:20]
	s_delay_alu instid0(TRANS32_DEP_1) | instskip(NEXT) | instid1(VALU_DEP_1)
	v_fma_f64 v[41:42], -v[19:20], v[21:22], 1.0
	v_fma_f64 v[21:22], v[21:22], v[41:42], v[21:22]
	s_delay_alu instid0(VALU_DEP_1) | instskip(NEXT) | instid1(VALU_DEP_1)
	v_fma_f64 v[41:42], -v[19:20], v[21:22], 1.0
	v_fma_f64 v[21:22], v[21:22], v[41:42], v[21:22]
	s_delay_alu instid0(VALU_DEP_1) | instskip(NEXT) | instid1(VALU_DEP_1)
	v_mul_f64_e32 v[41:42], v[43:44], v[21:22]
	v_fma_f64 v[19:20], -v[19:20], v[41:42], v[43:44]
	s_wait_alu 0xfffd
	s_delay_alu instid0(VALU_DEP_1) | instskip(SKIP_1) | instid1(VALU_DEP_2)
	v_div_fmas_f64 v[19:20], v[19:20], v[21:22], v[41:42]
	v_fma_f64 v[21:22], v[15:16], v[25:26], v[23:24]
	v_div_fixup_f64 v[17:18], v[19:20], v[17:18], 1.0
	v_fma_f64 v[19:20], -v[15:16], v[23:24], v[25:26]
	s_delay_alu instid0(VALU_DEP_2) | instskip(NEXT) | instid1(VALU_DEP_2)
	v_mul_f64_e32 v[15:16], v[21:22], v[17:18]
	v_mul_f64_e32 v[17:18], v[19:20], v[17:18]
.LBB238_124:                            ;   in Loop: Header=BB238_114 Depth=2
	s_lshl_b32 s39, s41, 4
	s_lshl_b32 s37, s37, 4
	s_wait_alu 0xfffe
	s_add_co_i32 s41, s39, s40
	s_add_co_i32 s37, s39, s37
	s_wait_alu 0xfffe
	v_mov_b32_e32 v23, s41
	ds_load_b128 v[19:22], v23
	ds_load_b128 v[23:26], v23 offset:16
	ds_store_b128 v40, v[15:18]
	s_wait_dscnt 0x2
	v_mul_f64_e32 v[41:42], v[13:14], v[21:22]
	v_mul_f64_e32 v[21:22], v[11:12], v[21:22]
	s_wait_dscnt 0x1
	v_mul_f64_e32 v[43:44], v[17:18], v[25:26]
	v_mul_f64_e32 v[25:26], v[15:16], v[25:26]
	s_delay_alu instid0(VALU_DEP_4) | instskip(NEXT) | instid1(VALU_DEP_4)
	v_fma_f64 v[41:42], v[11:12], v[19:20], -v[41:42]
	v_fma_f64 v[19:20], v[13:14], v[19:20], v[21:22]
	s_delay_alu instid0(VALU_DEP_4) | instskip(NEXT) | instid1(VALU_DEP_4)
	v_fma_f64 v[43:44], v[15:16], v[23:24], -v[43:44]
	v_fma_f64 v[25:26], v[17:18], v[23:24], v[25:26]
	s_delay_alu instid0(VALU_DEP_4) | instskip(NEXT) | instid1(VALU_DEP_4)
	v_add_f64_e64 v[7:8], v[7:8], -v[41:42]
	v_add_f64_e64 v[9:10], v[9:10], -v[19:20]
	v_mov_b32_e32 v19, s37
	ds_load_b128 v[19:22], v19
	s_wait_dscnt 0x0
	v_cmp_ngt_f64_e64 s37, |v[19:20]|, |v[21:22]|
	v_add_f64_e64 v[23:24], v[7:8], -v[43:44]
	v_add_f64_e64 v[25:26], v[9:10], -v[25:26]
                                        ; implicit-def: $vgpr9_vgpr10
	s_and_b32 vcc_lo, exec_lo, s37
	s_mov_b32 s37, -1
	s_wait_alu 0xfffe
	s_cbranch_vccz .LBB238_126
; %bb.125:                              ;   in Loop: Header=BB238_114 Depth=2
	v_div_scale_f64 v[7:8], null, v[21:22], v[21:22], v[19:20]
	v_div_scale_f64 v[42:43], vcc_lo, v[19:20], v[21:22], v[19:20]
	s_mov_b32 s37, 0
	v_rcp_f64_e32 v[9:10], v[7:8]
	s_delay_alu instid0(TRANS32_DEP_1) | instskip(NEXT) | instid1(VALU_DEP_1)
	v_fma_f64 v[40:41], -v[7:8], v[9:10], 1.0
	v_fma_f64 v[9:10], v[9:10], v[40:41], v[9:10]
	s_delay_alu instid0(VALU_DEP_1) | instskip(NEXT) | instid1(VALU_DEP_1)
	v_fma_f64 v[40:41], -v[7:8], v[9:10], 1.0
	v_fma_f64 v[9:10], v[9:10], v[40:41], v[9:10]
	s_delay_alu instid0(VALU_DEP_1) | instskip(NEXT) | instid1(VALU_DEP_1)
	v_mul_f64_e32 v[40:41], v[42:43], v[9:10]
	v_fma_f64 v[7:8], -v[7:8], v[40:41], v[42:43]
	s_wait_alu 0xfffd
	s_delay_alu instid0(VALU_DEP_1) | instskip(NEXT) | instid1(VALU_DEP_1)
	v_div_fmas_f64 v[7:8], v[7:8], v[9:10], v[40:41]
	v_div_fixup_f64 v[7:8], v[7:8], v[21:22], v[19:20]
	s_delay_alu instid0(VALU_DEP_1) | instskip(NEXT) | instid1(VALU_DEP_1)
	v_fma_f64 v[9:10], v[19:20], v[7:8], v[21:22]
	v_div_scale_f64 v[40:41], null, v[9:10], v[9:10], 1.0
	v_div_scale_f64 v[46:47], vcc_lo, 1.0, v[9:10], 1.0
	s_delay_alu instid0(VALU_DEP_2) | instskip(NEXT) | instid1(TRANS32_DEP_1)
	v_rcp_f64_e32 v[42:43], v[40:41]
	v_fma_f64 v[44:45], -v[40:41], v[42:43], 1.0
	s_delay_alu instid0(VALU_DEP_1) | instskip(NEXT) | instid1(VALU_DEP_1)
	v_fma_f64 v[42:43], v[42:43], v[44:45], v[42:43]
	v_fma_f64 v[44:45], -v[40:41], v[42:43], 1.0
	s_delay_alu instid0(VALU_DEP_1) | instskip(NEXT) | instid1(VALU_DEP_1)
	v_fma_f64 v[42:43], v[42:43], v[44:45], v[42:43]
	v_mul_f64_e32 v[44:45], v[46:47], v[42:43]
	s_delay_alu instid0(VALU_DEP_1) | instskip(SKIP_1) | instid1(VALU_DEP_1)
	v_fma_f64 v[40:41], -v[40:41], v[44:45], v[46:47]
	s_wait_alu 0xfffd
	v_div_fmas_f64 v[40:41], v[40:41], v[42:43], v[44:45]
	v_fma_f64 v[42:43], v[7:8], v[23:24], v[25:26]
	s_delay_alu instid0(VALU_DEP_2) | instskip(SKIP_1) | instid1(VALU_DEP_2)
	v_div_fixup_f64 v[9:10], v[40:41], v[9:10], 1.0
	v_fma_f64 v[40:41], v[7:8], v[25:26], -v[23:24]
	v_mul_f64_e32 v[7:8], v[42:43], v[9:10]
	s_delay_alu instid0(VALU_DEP_2)
	v_mul_f64_e32 v[9:10], v[40:41], v[9:10]
.LBB238_126:                            ;   in Loop: Header=BB238_114 Depth=2
	s_wait_alu 0xfffe
	s_and_not1_b32 vcc_lo, exec_lo, s37
	s_wait_alu 0xfffe
	s_cbranch_vccnz .LBB238_128
; %bb.127:                              ;   in Loop: Header=BB238_114 Depth=2
	v_div_scale_f64 v[7:8], null, v[19:20], v[19:20], v[21:22]
	v_div_scale_f64 v[42:43], vcc_lo, v[21:22], v[19:20], v[21:22]
	s_delay_alu instid0(VALU_DEP_2) | instskip(NEXT) | instid1(TRANS32_DEP_1)
	v_rcp_f64_e32 v[9:10], v[7:8]
	v_fma_f64 v[40:41], -v[7:8], v[9:10], 1.0
	s_delay_alu instid0(VALU_DEP_1) | instskip(NEXT) | instid1(VALU_DEP_1)
	v_fma_f64 v[9:10], v[9:10], v[40:41], v[9:10]
	v_fma_f64 v[40:41], -v[7:8], v[9:10], 1.0
	s_delay_alu instid0(VALU_DEP_1) | instskip(NEXT) | instid1(VALU_DEP_1)
	v_fma_f64 v[9:10], v[9:10], v[40:41], v[9:10]
	v_mul_f64_e32 v[40:41], v[42:43], v[9:10]
	s_delay_alu instid0(VALU_DEP_1) | instskip(SKIP_1) | instid1(VALU_DEP_1)
	v_fma_f64 v[7:8], -v[7:8], v[40:41], v[42:43]
	s_wait_alu 0xfffd
	v_div_fmas_f64 v[7:8], v[7:8], v[9:10], v[40:41]
	s_delay_alu instid0(VALU_DEP_1) | instskip(NEXT) | instid1(VALU_DEP_1)
	v_div_fixup_f64 v[7:8], v[7:8], v[19:20], v[21:22]
	v_fma_f64 v[9:10], v[21:22], v[7:8], v[19:20]
	s_delay_alu instid0(VALU_DEP_1) | instskip(SKIP_1) | instid1(VALU_DEP_2)
	v_div_scale_f64 v[19:20], null, v[9:10], v[9:10], 1.0
	v_div_scale_f64 v[42:43], vcc_lo, 1.0, v[9:10], 1.0
	v_rcp_f64_e32 v[21:22], v[19:20]
	s_delay_alu instid0(TRANS32_DEP_1) | instskip(NEXT) | instid1(VALU_DEP_1)
	v_fma_f64 v[40:41], -v[19:20], v[21:22], 1.0
	v_fma_f64 v[21:22], v[21:22], v[40:41], v[21:22]
	s_delay_alu instid0(VALU_DEP_1) | instskip(NEXT) | instid1(VALU_DEP_1)
	v_fma_f64 v[40:41], -v[19:20], v[21:22], 1.0
	v_fma_f64 v[21:22], v[21:22], v[40:41], v[21:22]
	s_delay_alu instid0(VALU_DEP_1) | instskip(NEXT) | instid1(VALU_DEP_1)
	v_mul_f64_e32 v[40:41], v[42:43], v[21:22]
	v_fma_f64 v[19:20], -v[19:20], v[40:41], v[42:43]
	s_wait_alu 0xfffd
	s_delay_alu instid0(VALU_DEP_1) | instskip(SKIP_1) | instid1(VALU_DEP_2)
	v_div_fmas_f64 v[19:20], v[19:20], v[21:22], v[40:41]
	v_fma_f64 v[21:22], v[7:8], v[25:26], v[23:24]
	v_div_fixup_f64 v[9:10], v[19:20], v[9:10], 1.0
	v_fma_f64 v[19:20], -v[7:8], v[23:24], v[25:26]
	s_delay_alu instid0(VALU_DEP_2) | instskip(NEXT) | instid1(VALU_DEP_2)
	v_mul_f64_e32 v[7:8], v[21:22], v[9:10]
	v_mul_f64_e32 v[9:10], v[19:20], v[9:10]
.LBB238_128:                            ;   in Loop: Header=BB238_114 Depth=2
	s_lshl_b32 s37, s38, 4
	s_lshl_b32 s36, s36, 4
	s_wait_alu 0xfffe
	s_add_co_i32 s38, s37, s40
	s_add_co_i32 s36, s37, s36
	s_wait_alu 0xfffe
	v_mov_b32_e32 v46, s38
	ds_load_b128 v[19:22], v46
	ds_load_b128 v[23:26], v46 offset:16
	ds_store_b128 v39, v[7:10]
	s_wait_dscnt 0x2
	v_mul_f64_e32 v[40:41], v[13:14], v[21:22]
	v_mul_f64_e32 v[21:22], v[11:12], v[21:22]
	s_wait_dscnt 0x1
	v_mul_f64_e32 v[42:43], v[17:18], v[25:26]
	v_mul_f64_e32 v[25:26], v[15:16], v[25:26]
	s_delay_alu instid0(VALU_DEP_4) | instskip(NEXT) | instid1(VALU_DEP_4)
	v_fma_f64 v[40:41], v[11:12], v[19:20], -v[40:41]
	v_fma_f64 v[44:45], v[13:14], v[19:20], v[21:22]
	v_mov_b32_e32 v11, s36
	ds_load_b128 v[19:22], v46 offset:32
	v_fma_f64 v[15:16], v[15:16], v[23:24], -v[42:43]
	v_fma_f64 v[17:18], v[17:18], v[23:24], v[25:26]
	ds_load_b128 v[11:14], v11
	s_wait_dscnt 0x1
	v_mul_f64_e32 v[46:47], v[9:10], v[21:22]
	v_mul_f64_e32 v[21:22], v[7:8], v[21:22]
	s_wait_dscnt 0x0
	v_cmp_ngt_f64_e64 s36, |v[11:12]|, |v[13:14]|
	v_add_f64_e64 v[3:4], v[3:4], -v[40:41]
	v_add_f64_e64 v[5:6], v[5:6], -v[44:45]
	v_fma_f64 v[23:24], v[7:8], v[19:20], -v[46:47]
	v_fma_f64 v[19:20], v[9:10], v[19:20], v[21:22]
	s_and_b32 vcc_lo, exec_lo, s36
	s_mov_b32 s36, -1
	s_delay_alu instid0(VALU_DEP_4) | instskip(NEXT) | instid1(VALU_DEP_4)
	v_add_f64_e64 v[3:4], v[3:4], -v[15:16]
	v_add_f64_e64 v[5:6], v[5:6], -v[17:18]
	s_delay_alu instid0(VALU_DEP_2) | instskip(NEXT) | instid1(VALU_DEP_2)
	v_add_f64_e64 v[15:16], v[3:4], -v[23:24]
	v_add_f64_e64 v[17:18], v[5:6], -v[19:20]
                                        ; implicit-def: $vgpr5_vgpr6
	s_wait_alu 0xfffe
	s_cbranch_vccz .LBB238_130
; %bb.129:                              ;   in Loop: Header=BB238_114 Depth=2
	v_div_scale_f64 v[3:4], null, v[13:14], v[13:14], v[11:12]
	v_div_scale_f64 v[9:10], vcc_lo, v[11:12], v[13:14], v[11:12]
	s_mov_b32 s36, 0
	v_rcp_f64_e32 v[5:6], v[3:4]
	s_delay_alu instid0(TRANS32_DEP_1) | instskip(NEXT) | instid1(VALU_DEP_1)
	v_fma_f64 v[7:8], -v[3:4], v[5:6], 1.0
	v_fma_f64 v[5:6], v[5:6], v[7:8], v[5:6]
	s_delay_alu instid0(VALU_DEP_1) | instskip(NEXT) | instid1(VALU_DEP_1)
	v_fma_f64 v[7:8], -v[3:4], v[5:6], 1.0
	v_fma_f64 v[5:6], v[5:6], v[7:8], v[5:6]
	s_delay_alu instid0(VALU_DEP_1) | instskip(NEXT) | instid1(VALU_DEP_1)
	v_mul_f64_e32 v[7:8], v[9:10], v[5:6]
	v_fma_f64 v[3:4], -v[3:4], v[7:8], v[9:10]
	s_wait_alu 0xfffd
	s_delay_alu instid0(VALU_DEP_1) | instskip(NEXT) | instid1(VALU_DEP_1)
	v_div_fmas_f64 v[3:4], v[3:4], v[5:6], v[7:8]
	v_div_fixup_f64 v[3:4], v[3:4], v[13:14], v[11:12]
	s_delay_alu instid0(VALU_DEP_1) | instskip(NEXT) | instid1(VALU_DEP_1)
	v_fma_f64 v[5:6], v[11:12], v[3:4], v[13:14]
	v_div_scale_f64 v[7:8], null, v[5:6], v[5:6], 1.0
	v_div_scale_f64 v[21:22], vcc_lo, 1.0, v[5:6], 1.0
	s_delay_alu instid0(VALU_DEP_2) | instskip(NEXT) | instid1(TRANS32_DEP_1)
	v_rcp_f64_e32 v[9:10], v[7:8]
	v_fma_f64 v[19:20], -v[7:8], v[9:10], 1.0
	s_delay_alu instid0(VALU_DEP_1) | instskip(NEXT) | instid1(VALU_DEP_1)
	v_fma_f64 v[9:10], v[9:10], v[19:20], v[9:10]
	v_fma_f64 v[19:20], -v[7:8], v[9:10], 1.0
	s_delay_alu instid0(VALU_DEP_1) | instskip(NEXT) | instid1(VALU_DEP_1)
	v_fma_f64 v[9:10], v[9:10], v[19:20], v[9:10]
	v_mul_f64_e32 v[19:20], v[21:22], v[9:10]
	s_delay_alu instid0(VALU_DEP_1) | instskip(SKIP_1) | instid1(VALU_DEP_1)
	v_fma_f64 v[7:8], -v[7:8], v[19:20], v[21:22]
	s_wait_alu 0xfffd
	v_div_fmas_f64 v[7:8], v[7:8], v[9:10], v[19:20]
	v_fma_f64 v[9:10], v[3:4], v[15:16], v[17:18]
	s_delay_alu instid0(VALU_DEP_2) | instskip(SKIP_1) | instid1(VALU_DEP_2)
	v_div_fixup_f64 v[5:6], v[7:8], v[5:6], 1.0
	v_fma_f64 v[7:8], v[3:4], v[17:18], -v[15:16]
	v_mul_f64_e32 v[3:4], v[9:10], v[5:6]
	s_delay_alu instid0(VALU_DEP_2)
	v_mul_f64_e32 v[5:6], v[7:8], v[5:6]
.LBB238_130:                            ;   in Loop: Header=BB238_114 Depth=2
	s_wait_alu 0xfffe
	s_and_not1_b32 vcc_lo, exec_lo, s36
	s_wait_alu 0xfffe
	s_cbranch_vccnz .LBB238_132
; %bb.131:                              ;   in Loop: Header=BB238_114 Depth=2
	v_div_scale_f64 v[3:4], null, v[11:12], v[11:12], v[13:14]
	v_div_scale_f64 v[9:10], vcc_lo, v[13:14], v[11:12], v[13:14]
	s_delay_alu instid0(VALU_DEP_2) | instskip(NEXT) | instid1(TRANS32_DEP_1)
	v_rcp_f64_e32 v[5:6], v[3:4]
	v_fma_f64 v[7:8], -v[3:4], v[5:6], 1.0
	s_delay_alu instid0(VALU_DEP_1) | instskip(NEXT) | instid1(VALU_DEP_1)
	v_fma_f64 v[5:6], v[5:6], v[7:8], v[5:6]
	v_fma_f64 v[7:8], -v[3:4], v[5:6], 1.0
	s_delay_alu instid0(VALU_DEP_1) | instskip(NEXT) | instid1(VALU_DEP_1)
	v_fma_f64 v[5:6], v[5:6], v[7:8], v[5:6]
	v_mul_f64_e32 v[7:8], v[9:10], v[5:6]
	s_delay_alu instid0(VALU_DEP_1) | instskip(SKIP_1) | instid1(VALU_DEP_1)
	v_fma_f64 v[3:4], -v[3:4], v[7:8], v[9:10]
	s_wait_alu 0xfffd
	v_div_fmas_f64 v[3:4], v[3:4], v[5:6], v[7:8]
	s_delay_alu instid0(VALU_DEP_1) | instskip(NEXT) | instid1(VALU_DEP_1)
	v_div_fixup_f64 v[3:4], v[3:4], v[11:12], v[13:14]
	v_fma_f64 v[5:6], v[13:14], v[3:4], v[11:12]
	s_delay_alu instid0(VALU_DEP_1) | instskip(SKIP_1) | instid1(VALU_DEP_2)
	v_div_scale_f64 v[7:8], null, v[5:6], v[5:6], 1.0
	v_div_scale_f64 v[13:14], vcc_lo, 1.0, v[5:6], 1.0
	v_rcp_f64_e32 v[9:10], v[7:8]
	s_delay_alu instid0(TRANS32_DEP_1) | instskip(NEXT) | instid1(VALU_DEP_1)
	v_fma_f64 v[11:12], -v[7:8], v[9:10], 1.0
	v_fma_f64 v[9:10], v[9:10], v[11:12], v[9:10]
	s_delay_alu instid0(VALU_DEP_1) | instskip(NEXT) | instid1(VALU_DEP_1)
	v_fma_f64 v[11:12], -v[7:8], v[9:10], 1.0
	v_fma_f64 v[9:10], v[9:10], v[11:12], v[9:10]
	s_delay_alu instid0(VALU_DEP_1) | instskip(NEXT) | instid1(VALU_DEP_1)
	v_mul_f64_e32 v[11:12], v[13:14], v[9:10]
	v_fma_f64 v[7:8], -v[7:8], v[11:12], v[13:14]
	s_wait_alu 0xfffd
	s_delay_alu instid0(VALU_DEP_1) | instskip(SKIP_1) | instid1(VALU_DEP_2)
	v_div_fmas_f64 v[7:8], v[7:8], v[9:10], v[11:12]
	v_fma_f64 v[9:10], v[3:4], v[17:18], v[15:16]
	v_div_fixup_f64 v[5:6], v[7:8], v[5:6], 1.0
	v_fma_f64 v[7:8], -v[3:4], v[15:16], v[17:18]
	s_delay_alu instid0(VALU_DEP_2) | instskip(NEXT) | instid1(VALU_DEP_2)
	v_mul_f64_e32 v[3:4], v[9:10], v[5:6]
	v_mul_f64_e32 v[5:6], v[7:8], v[5:6]
.LBB238_132:                            ;   in Loop: Header=BB238_114 Depth=2
	s_add_co_i32 s36, s19, 4
	s_add_co_i32 s19, s19, 7
	s_addk_co_i32 s18, 0x800
	s_wait_alu 0xfffe
	s_cmp_ge_i32 s19, s28
	ds_store_b128 v38, v[3:6]
	s_cbranch_scc1 .LBB238_134
; %bb.133:                              ;   in Loop: Header=BB238_114 Depth=2
	s_mov_b32 s19, s36
	s_branch .LBB238_114
.LBB238_134:                            ;   in Loop: Header=BB238_3 Depth=1
	s_cmp_ge_i32 s36, s28
	s_cbranch_scc1 .LBB238_143
; %bb.135:                              ;   in Loop: Header=BB238_3 Depth=1
	s_lshl_b32 s18, s36, 9
	s_branch .LBB238_137
.LBB238_136:                            ;   in Loop: Header=BB238_137 Depth=2
	s_add_co_i32 s36, s36, 1
	s_addk_co_i32 s18, 0x200
	s_wait_alu 0xfffe
	s_cmp_ge_i32 s36, s28
	ds_store_b128 v15, v[11:14]
	s_cbranch_scc1 .LBB238_143
.LBB238_137:                            ;   Parent Loop BB238_3 Depth=1
                                        ; =>  This Loop Header: Depth=2
                                        ;       Child Loop BB238_138 Depth 3
	v_lshl_add_u32 v15, s36, 9, v30
	v_mov_b32_e32 v7, v30
	s_cmp_eq_u32 s36, 0
	s_wait_alu 0xfffe
	s_mov_b32 s19, s18
	s_mov_b32 s37, s36
	ds_load_b128 v[3:6], v15
	s_cbranch_scc1 .LBB238_139
.LBB238_138:                            ;   Parent Loop BB238_3 Depth=1
                                        ;     Parent Loop BB238_137 Depth=2
                                        ; =>    This Inner Loop Header: Depth=3
	s_wait_alu 0xfffe
	v_mov_b32_e32 v12, s19
	s_add_co_i32 s37, s37, -1
	s_add_co_i32 s19, s19, 16
	s_wait_alu 0xfffe
	s_cmp_eq_u32 s37, 0
	ds_load_b128 v[8:11], v7
	ds_load_b128 v[16:19], v12
	v_add_nc_u32_e32 v7, 0x200, v7
	s_wait_dscnt 0x0
	v_mul_f64_e32 v[12:13], v[18:19], v[10:11]
	v_mul_f64_e32 v[10:11], v[16:17], v[10:11]
	s_delay_alu instid0(VALU_DEP_2) | instskip(NEXT) | instid1(VALU_DEP_2)
	v_fma_f64 v[12:13], v[16:17], v[8:9], -v[12:13]
	v_fma_f64 v[8:9], v[18:19], v[8:9], v[10:11]
	s_delay_alu instid0(VALU_DEP_2) | instskip(NEXT) | instid1(VALU_DEP_2)
	v_add_f64_e64 v[3:4], v[3:4], -v[12:13]
	v_add_f64_e64 v[5:6], v[5:6], -v[8:9]
	s_cbranch_scc0 .LBB238_138
.LBB238_139:                            ;   in Loop: Header=BB238_137 Depth=2
	s_mul_i32 s19, s36, 0x210
                                        ; implicit-def: $vgpr11_vgpr12
	s_wait_alu 0xfffe
	v_mov_b32_e32 v7, s19
	ds_load_b128 v[7:10], v7
	s_wait_dscnt 0x0
	v_cmp_ngt_f64_e64 s19, |v[7:8]|, |v[9:10]|
	s_and_b32 vcc_lo, exec_lo, s19
	s_mov_b32 s19, -1
	s_wait_alu 0xfffe
	s_cbranch_vccz .LBB238_141
; %bb.140:                              ;   in Loop: Header=BB238_137 Depth=2
	v_div_scale_f64 v[11:12], null, v[9:10], v[9:10], v[7:8]
	v_div_scale_f64 v[18:19], vcc_lo, v[7:8], v[9:10], v[7:8]
	s_mov_b32 s19, 0
	v_rcp_f64_e32 v[13:14], v[11:12]
	s_delay_alu instid0(TRANS32_DEP_1) | instskip(NEXT) | instid1(VALU_DEP_1)
	v_fma_f64 v[16:17], -v[11:12], v[13:14], 1.0
	v_fma_f64 v[13:14], v[13:14], v[16:17], v[13:14]
	s_delay_alu instid0(VALU_DEP_1) | instskip(NEXT) | instid1(VALU_DEP_1)
	v_fma_f64 v[16:17], -v[11:12], v[13:14], 1.0
	v_fma_f64 v[13:14], v[13:14], v[16:17], v[13:14]
	s_delay_alu instid0(VALU_DEP_1) | instskip(NEXT) | instid1(VALU_DEP_1)
	v_mul_f64_e32 v[16:17], v[18:19], v[13:14]
	v_fma_f64 v[11:12], -v[11:12], v[16:17], v[18:19]
	s_wait_alu 0xfffd
	s_delay_alu instid0(VALU_DEP_1) | instskip(NEXT) | instid1(VALU_DEP_1)
	v_div_fmas_f64 v[11:12], v[11:12], v[13:14], v[16:17]
	v_div_fixup_f64 v[11:12], v[11:12], v[9:10], v[7:8]
	s_delay_alu instid0(VALU_DEP_1) | instskip(NEXT) | instid1(VALU_DEP_1)
	v_fma_f64 v[13:14], v[7:8], v[11:12], v[9:10]
	v_div_scale_f64 v[16:17], null, v[13:14], v[13:14], 1.0
	v_div_scale_f64 v[22:23], vcc_lo, 1.0, v[13:14], 1.0
	s_delay_alu instid0(VALU_DEP_2) | instskip(NEXT) | instid1(TRANS32_DEP_1)
	v_rcp_f64_e32 v[18:19], v[16:17]
	v_fma_f64 v[20:21], -v[16:17], v[18:19], 1.0
	s_delay_alu instid0(VALU_DEP_1) | instskip(NEXT) | instid1(VALU_DEP_1)
	v_fma_f64 v[18:19], v[18:19], v[20:21], v[18:19]
	v_fma_f64 v[20:21], -v[16:17], v[18:19], 1.0
	s_delay_alu instid0(VALU_DEP_1) | instskip(NEXT) | instid1(VALU_DEP_1)
	v_fma_f64 v[18:19], v[18:19], v[20:21], v[18:19]
	v_mul_f64_e32 v[20:21], v[22:23], v[18:19]
	s_delay_alu instid0(VALU_DEP_1) | instskip(SKIP_1) | instid1(VALU_DEP_1)
	v_fma_f64 v[16:17], -v[16:17], v[20:21], v[22:23]
	s_wait_alu 0xfffd
	v_div_fmas_f64 v[16:17], v[16:17], v[18:19], v[20:21]
	v_fma_f64 v[18:19], v[3:4], v[11:12], v[5:6]
	s_delay_alu instid0(VALU_DEP_2) | instskip(SKIP_1) | instid1(VALU_DEP_2)
	v_div_fixup_f64 v[13:14], v[16:17], v[13:14], 1.0
	v_fma_f64 v[16:17], v[5:6], v[11:12], -v[3:4]
	v_mul_f64_e32 v[11:12], v[18:19], v[13:14]
	s_delay_alu instid0(VALU_DEP_2)
	v_mul_f64_e32 v[13:14], v[16:17], v[13:14]
.LBB238_141:                            ;   in Loop: Header=BB238_137 Depth=2
	s_wait_alu 0xfffe
	s_and_not1_b32 vcc_lo, exec_lo, s19
	s_wait_alu 0xfffe
	s_cbranch_vccnz .LBB238_136
; %bb.142:                              ;   in Loop: Header=BB238_137 Depth=2
	v_div_scale_f64 v[11:12], null, v[7:8], v[7:8], v[9:10]
	v_div_scale_f64 v[18:19], vcc_lo, v[9:10], v[7:8], v[9:10]
	s_delay_alu instid0(VALU_DEP_2) | instskip(NEXT) | instid1(TRANS32_DEP_1)
	v_rcp_f64_e32 v[13:14], v[11:12]
	v_fma_f64 v[16:17], -v[11:12], v[13:14], 1.0
	s_delay_alu instid0(VALU_DEP_1) | instskip(NEXT) | instid1(VALU_DEP_1)
	v_fma_f64 v[13:14], v[13:14], v[16:17], v[13:14]
	v_fma_f64 v[16:17], -v[11:12], v[13:14], 1.0
	s_delay_alu instid0(VALU_DEP_1) | instskip(NEXT) | instid1(VALU_DEP_1)
	v_fma_f64 v[13:14], v[13:14], v[16:17], v[13:14]
	v_mul_f64_e32 v[16:17], v[18:19], v[13:14]
	s_delay_alu instid0(VALU_DEP_1) | instskip(SKIP_1) | instid1(VALU_DEP_1)
	v_fma_f64 v[11:12], -v[11:12], v[16:17], v[18:19]
	s_wait_alu 0xfffd
	v_div_fmas_f64 v[11:12], v[11:12], v[13:14], v[16:17]
	s_delay_alu instid0(VALU_DEP_1) | instskip(NEXT) | instid1(VALU_DEP_1)
	v_div_fixup_f64 v[11:12], v[11:12], v[7:8], v[9:10]
	v_fma_f64 v[7:8], v[9:10], v[11:12], v[7:8]
	s_delay_alu instid0(VALU_DEP_1) | instskip(SKIP_1) | instid1(VALU_DEP_2)
	v_div_scale_f64 v[9:10], null, v[7:8], v[7:8], 1.0
	v_div_scale_f64 v[18:19], vcc_lo, 1.0, v[7:8], 1.0
	v_rcp_f64_e32 v[13:14], v[9:10]
	s_delay_alu instid0(TRANS32_DEP_1) | instskip(NEXT) | instid1(VALU_DEP_1)
	v_fma_f64 v[16:17], -v[9:10], v[13:14], 1.0
	v_fma_f64 v[13:14], v[13:14], v[16:17], v[13:14]
	s_delay_alu instid0(VALU_DEP_1) | instskip(NEXT) | instid1(VALU_DEP_1)
	v_fma_f64 v[16:17], -v[9:10], v[13:14], 1.0
	v_fma_f64 v[13:14], v[13:14], v[16:17], v[13:14]
	s_delay_alu instid0(VALU_DEP_1) | instskip(NEXT) | instid1(VALU_DEP_1)
	v_mul_f64_e32 v[16:17], v[18:19], v[13:14]
	v_fma_f64 v[9:10], -v[9:10], v[16:17], v[18:19]
	s_wait_alu 0xfffd
	s_delay_alu instid0(VALU_DEP_1) | instskip(SKIP_2) | instid1(VALU_DEP_3)
	v_div_fmas_f64 v[9:10], v[9:10], v[13:14], v[16:17]
	v_fma_f64 v[13:14], v[5:6], v[11:12], v[3:4]
	v_fma_f64 v[3:4], -v[3:4], v[11:12], v[5:6]
	v_div_fixup_f64 v[7:8], v[9:10], v[7:8], 1.0
	s_delay_alu instid0(VALU_DEP_1) | instskip(NEXT) | instid1(VALU_DEP_3)
	v_mul_f64_e32 v[11:12], v[13:14], v[7:8]
	v_mul_f64_e32 v[13:14], v[3:4], v[7:8]
	s_branch .LBB238_136
.LBB238_143:                            ;   in Loop: Header=BB238_3 Depth=1
	s_and_saveexec_b32 s18, s35
	s_cbranch_execz .LBB238_2
; %bb.144:                              ;   in Loop: Header=BB238_3 Depth=1
	v_add_co_u32 v3, vcc_lo, v27, s14
	s_wait_alu 0xfffd
	v_add_co_ci_u32_e64 v4, null, s15, v28, vcc_lo
	v_mov_b32_e32 v5, v30
	s_delay_alu instid0(VALU_DEP_3) | instskip(SKIP_1) | instid1(VALU_DEP_3)
	v_add_co_u32 v3, vcc_lo, v3, s20
	s_wait_alu 0xfffd
	v_add_co_ci_u32_e64 v4, null, s21, v4, vcc_lo
	s_mov_b32 s19, s27
	v_add_co_u32 v3, vcc_lo, v3, v0
	s_wait_alu 0xfffd
	v_add_co_ci_u32_e64 v4, null, 0, v4, vcc_lo
.LBB238_145:                            ;   Parent Loop BB238_3 Depth=1
                                        ; =>  This Inner Loop Header: Depth=2
	ds_load_2addr_b64 v[6:9], v5 offset1:1
	v_add_nc_u32_e32 v5, 0x200, v5
	s_wait_alu 0xfffe
	s_add_co_i32 s19, s19, -1
	s_wait_alu 0xfffe
	s_cmp_lg_u32 s19, 0
	s_wait_dscnt 0x0
	flat_store_b128 v[3:4], v[6:9]
	v_add_co_u32 v3, vcc_lo, v3, s16
	s_wait_alu 0xfffd
	v_add_co_ci_u32_e64 v4, null, s17, v4, vcc_lo
	s_cbranch_scc1 .LBB238_145
	s_branch .LBB238_2
.LBB238_146:
	s_endpgm
	.section	.rodata,"a",@progbits
	.p2align	6, 0x0
	.amdhsa_kernel _ZL31rocblas_trsm_small_right_deviceI19rocblas_complex_numIdES1_PKPKS1_PKPS1_Li32EEv13rocblas_fill_18rocblas_operation_17rocblas_diagonal_iiT0_T1_lilT2_lili
		.amdhsa_group_segment_fixed_size 32768
		.amdhsa_private_segment_fixed_size 0
		.amdhsa_kernarg_size 368
		.amdhsa_user_sgpr_count 2
		.amdhsa_user_sgpr_dispatch_ptr 0
		.amdhsa_user_sgpr_queue_ptr 0
		.amdhsa_user_sgpr_kernarg_segment_ptr 1
		.amdhsa_user_sgpr_dispatch_id 0
		.amdhsa_user_sgpr_private_segment_size 0
		.amdhsa_wavefront_size32 1
		.amdhsa_uses_dynamic_stack 0
		.amdhsa_enable_private_segment 0
		.amdhsa_system_sgpr_workgroup_id_x 1
		.amdhsa_system_sgpr_workgroup_id_y 0
		.amdhsa_system_sgpr_workgroup_id_z 1
		.amdhsa_system_sgpr_workgroup_info 0
		.amdhsa_system_vgpr_workitem_id 0
		.amdhsa_next_free_vgpr 241
		.amdhsa_next_free_sgpr 44
		.amdhsa_reserve_vcc 1
		.amdhsa_float_round_mode_32 0
		.amdhsa_float_round_mode_16_64 0
		.amdhsa_float_denorm_mode_32 3
		.amdhsa_float_denorm_mode_16_64 3
		.amdhsa_fp16_overflow 0
		.amdhsa_workgroup_processor_mode 1
		.amdhsa_memory_ordered 1
		.amdhsa_forward_progress 1
		.amdhsa_inst_pref_size 130
		.amdhsa_round_robin_scheduling 0
		.amdhsa_exception_fp_ieee_invalid_op 0
		.amdhsa_exception_fp_denorm_src 0
		.amdhsa_exception_fp_ieee_div_zero 0
		.amdhsa_exception_fp_ieee_overflow 0
		.amdhsa_exception_fp_ieee_underflow 0
		.amdhsa_exception_fp_ieee_inexact 0
		.amdhsa_exception_int_div_zero 0
	.end_amdhsa_kernel
	.section	.text._ZL31rocblas_trsm_small_right_deviceI19rocblas_complex_numIdES1_PKPKS1_PKPS1_Li32EEv13rocblas_fill_18rocblas_operation_17rocblas_diagonal_iiT0_T1_lilT2_lili,"axG",@progbits,_ZL31rocblas_trsm_small_right_deviceI19rocblas_complex_numIdES1_PKPKS1_PKPS1_Li32EEv13rocblas_fill_18rocblas_operation_17rocblas_diagonal_iiT0_T1_lilT2_lili,comdat
.Lfunc_end238:
	.size	_ZL31rocblas_trsm_small_right_deviceI19rocblas_complex_numIdES1_PKPKS1_PKPS1_Li32EEv13rocblas_fill_18rocblas_operation_17rocblas_diagonal_iiT0_T1_lilT2_lili, .Lfunc_end238-_ZL31rocblas_trsm_small_right_deviceI19rocblas_complex_numIdES1_PKPKS1_PKPS1_Li32EEv13rocblas_fill_18rocblas_operation_17rocblas_diagonal_iiT0_T1_lilT2_lili
                                        ; -- End function
	.set _ZL31rocblas_trsm_small_right_deviceI19rocblas_complex_numIdES1_PKPKS1_PKPS1_Li32EEv13rocblas_fill_18rocblas_operation_17rocblas_diagonal_iiT0_T1_lilT2_lili.num_vgpr, 64
	.set _ZL31rocblas_trsm_small_right_deviceI19rocblas_complex_numIdES1_PKPKS1_PKPS1_Li32EEv13rocblas_fill_18rocblas_operation_17rocblas_diagonal_iiT0_T1_lilT2_lili.num_agpr, 0
	.set _ZL31rocblas_trsm_small_right_deviceI19rocblas_complex_numIdES1_PKPKS1_PKPS1_Li32EEv13rocblas_fill_18rocblas_operation_17rocblas_diagonal_iiT0_T1_lilT2_lili.numbered_sgpr, 44
	.set _ZL31rocblas_trsm_small_right_deviceI19rocblas_complex_numIdES1_PKPKS1_PKPS1_Li32EEv13rocblas_fill_18rocblas_operation_17rocblas_diagonal_iiT0_T1_lilT2_lili.num_named_barrier, 0
	.set _ZL31rocblas_trsm_small_right_deviceI19rocblas_complex_numIdES1_PKPKS1_PKPS1_Li32EEv13rocblas_fill_18rocblas_operation_17rocblas_diagonal_iiT0_T1_lilT2_lili.private_seg_size, 0
	.set _ZL31rocblas_trsm_small_right_deviceI19rocblas_complex_numIdES1_PKPKS1_PKPS1_Li32EEv13rocblas_fill_18rocblas_operation_17rocblas_diagonal_iiT0_T1_lilT2_lili.uses_vcc, 1
	.set _ZL31rocblas_trsm_small_right_deviceI19rocblas_complex_numIdES1_PKPKS1_PKPS1_Li32EEv13rocblas_fill_18rocblas_operation_17rocblas_diagonal_iiT0_T1_lilT2_lili.uses_flat_scratch, 0
	.set _ZL31rocblas_trsm_small_right_deviceI19rocblas_complex_numIdES1_PKPKS1_PKPS1_Li32EEv13rocblas_fill_18rocblas_operation_17rocblas_diagonal_iiT0_T1_lilT2_lili.has_dyn_sized_stack, 0
	.set _ZL31rocblas_trsm_small_right_deviceI19rocblas_complex_numIdES1_PKPKS1_PKPS1_Li32EEv13rocblas_fill_18rocblas_operation_17rocblas_diagonal_iiT0_T1_lilT2_lili.has_recursion, 0
	.set _ZL31rocblas_trsm_small_right_deviceI19rocblas_complex_numIdES1_PKPKS1_PKPS1_Li32EEv13rocblas_fill_18rocblas_operation_17rocblas_diagonal_iiT0_T1_lilT2_lili.has_indirect_call, 0
	.section	.AMDGPU.csdata,"",@progbits
; Kernel info:
; codeLenInByte = 16572
; TotalNumSgprs: 46
; NumVgprs: 64
; ScratchSize: 0
; MemoryBound: 0
; FloatMode: 240
; IeeeMode: 1
; LDSByteSize: 32768 bytes/workgroup (compile time only)
; SGPRBlocks: 0
; VGPRBlocks: 30
; NumSGPRsForWavesPerEU: 46
; NumVGPRsForWavesPerEU: 241
; Occupancy: 1
; WaveLimiterHint : 0
; COMPUTE_PGM_RSRC2:SCRATCH_EN: 0
; COMPUTE_PGM_RSRC2:USER_SGPR: 2
; COMPUTE_PGM_RSRC2:TRAP_HANDLER: 0
; COMPUTE_PGM_RSRC2:TGID_X_EN: 1
; COMPUTE_PGM_RSRC2:TGID_Y_EN: 0
; COMPUTE_PGM_RSRC2:TGID_Z_EN: 1
; COMPUTE_PGM_RSRC2:TIDIG_COMP_CNT: 0
	.section	.text._ZL33rocblas_trsm_small_64_left_deviceI19rocblas_complex_numIdES1_PKPKS1_PKPS1_Li64EEv13rocblas_fill_18rocblas_operation_17rocblas_diagonal_iiT0_T1_lilT2_lili,"axG",@progbits,_ZL33rocblas_trsm_small_64_left_deviceI19rocblas_complex_numIdES1_PKPKS1_PKPS1_Li64EEv13rocblas_fill_18rocblas_operation_17rocblas_diagonal_iiT0_T1_lilT2_lili,comdat
	.globl	_ZL33rocblas_trsm_small_64_left_deviceI19rocblas_complex_numIdES1_PKPKS1_PKPS1_Li64EEv13rocblas_fill_18rocblas_operation_17rocblas_diagonal_iiT0_T1_lilT2_lili ; -- Begin function _ZL33rocblas_trsm_small_64_left_deviceI19rocblas_complex_numIdES1_PKPKS1_PKPS1_Li64EEv13rocblas_fill_18rocblas_operation_17rocblas_diagonal_iiT0_T1_lilT2_lili
	.p2align	8
	.type	_ZL33rocblas_trsm_small_64_left_deviceI19rocblas_complex_numIdES1_PKPKS1_PKPS1_Li64EEv13rocblas_fill_18rocblas_operation_17rocblas_diagonal_iiT0_T1_lilT2_lili,@function
_ZL33rocblas_trsm_small_64_left_deviceI19rocblas_complex_numIdES1_PKPKS1_PKPS1_Li64EEv13rocblas_fill_18rocblas_operation_17rocblas_diagonal_iiT0_T1_lilT2_lili: ; @_ZL33rocblas_trsm_small_64_left_deviceI19rocblas_complex_numIdES1_PKPKS1_PKPS1_Li64EEv13rocblas_fill_18rocblas_operation_17rocblas_diagonal_iiT0_T1_lilT2_lili
; %bb.0:
	s_load_b32 s33, s[0:1], 0x68
	s_lshr_b32 s2, ttmp7, 16
	s_wait_kmcnt 0x0
	s_cmp_ge_u32 s2, s33
	s_cbranch_scc1 .LBB239_63
; %bb.1:
	s_clause 0x6
	s_load_b32 s20, s[0:1], 0x38
	s_load_b32 s24, s[0:1], 0x58
	s_load_b128 s[16:19], s[0:1], 0x0
	s_load_b32 s3, s[0:1], 0x70
	s_load_b32 s22, s[0:1], 0x10
	s_load_b128 s[12:15], s[0:1], 0x48
	s_load_b256 s[4:11], s[0:1], 0x18
	v_dual_mov_b32 v15, 0 :: v_dual_lshlrev_b32 v14, 4, v0
	v_lshlrev_b32_e32 v22, 4, v0
	s_mov_b32 s23, 0
	s_delay_alu instid0(VALU_DEP_2)
	v_mad_u32_u24 v16, 0x3f0, v0, v14
	s_wait_kmcnt 0x0
	s_ashr_i32 s21, s20, 31
	s_ashr_i32 s25, s24, 31
	s_cmp_eq_u32 s16, 0x7a
	v_cmp_gt_i32_e32 vcc_lo, s19, v0
	s_cselect_b32 s28, -1, 0
	s_cmp_lg_u32 s16, 0x7a
	s_cselect_b32 s16, -1, 0
	s_cmp_eq_u32 s17, 0x71
	v_cndmask_b32_e64 v17, 0, 1, s16
	s_cselect_b32 s0, -1, 0
	s_min_i32 s40, s19, 64
	s_lshl_b32 s26, ttmp9, 6
	s_add_co_i32 s3, s3, -1
	s_add_co_i32 s41, s40, -1
	s_sub_co_i32 s1, s22, s26
	s_cmp_ge_u32 ttmp9, s3
	s_cselect_b32 s42, s1, 64
	s_ashr_i32 s27, s26, 31
	s_cmp_gt_i32 s42, 0
	s_mul_u64 s[26:27], s[24:25], s[26:27]
	s_cselect_b32 s3, -1, 0
	s_cmp_lg_u32 s17, 0x6f
	v_cmp_gt_i32_e64 s1, s40, v0
	s_cselect_b32 s17, -1, 0
	s_wait_alu 0xfffe
	s_or_b32 s43, s16, s17
	s_or_b32 s44, s17, s28
	s_cmp_gt_i32 s19, 0
	s_add_nc_u64 s[16:17], s[20:21], 1
	s_cselect_b32 s45, -1, 0
	s_cmp_lg_u32 s18, 0x84
	v_cndmask_b32_e64 v21, 0, 1, s45
	s_cselect_b32 s46, -1, 0
	s_lshl_b64 s[18:19], s[26:27], 4
	s_lshl_b64 s[14:15], s[14:15], 4
	s_and_b32 s47, s1, s3
	s_wait_alu 0xfffe
	s_add_nc_u64 s[26:27], s[18:19], s[14:15]
	s_and_b32 s48, vcc_lo, s3
	v_add_co_u32 v1, s1, s26, v14
	s_lshl_b32 s3, s40, 4
	v_add_co_ci_u32_e64 v18, null, s27, 0, s1
	v_or_b32_e32 v19, 8, v1
	v_add3_u32 v20, s3, v16, -16
	s_lshl_b64 s[10:11], s[10:11], 4
	s_lshl_b64 s[24:25], s[24:25], 4
	s_or_b32 s26, s10, 8
	s_mov_b32 s27, s11
	s_lshl_b64 s[28:29], s[20:21], 4
	s_branch .LBB239_3
.LBB239_2:                              ;   in Loop: Header=BB239_3 Depth=1
	s_wait_alu 0xfffe
	s_or_b32 exec_lo, exec_lo, s1
	s_add_co_i32 s2, s2, 0x10000
	s_wait_alu 0xfffe
	s_cmp_lt_u32 s2, s33
	s_cbranch_scc0 .LBB239_63
.LBB239_3:                              ; =>This Loop Header: Depth=1
                                        ;     Child Loop BB239_5 Depth 2
                                        ;     Child Loop BB239_13 Depth 2
                                        ;       Child Loop BB239_14 Depth 3
                                        ;     Child Loop BB239_52 Depth 2
                                        ;       Child Loop BB239_54 Depth 3
	;; [unrolled: 2-line block ×4, first 2 shown]
                                        ;     Child Loop BB239_62 Depth 2
	s_mov_b32 s3, s23
	s_wait_alu 0xfffe
	s_lshl_b64 s[30:31], s[2:3], 3
	s_delay_alu instid0(SALU_CYCLE_1)
	s_add_nc_u64 s[34:35], s[8:9], s[30:31]
	s_add_nc_u64 s[30:31], s[12:13], s[30:31]
	s_clause 0x1
	global_load_b64 v[0:1], v15, s[34:35]
	global_load_b64 v[12:13], v15, s[30:31]
	s_wait_loadcnt 0x1
	v_readfirstlane_b32 s34, v0
	v_readfirstlane_b32 s35, v1
	s_and_saveexec_b32 s1, s47
	s_cbranch_execz .LBB239_6
; %bb.4:                                ;   in Loop: Header=BB239_3 Depth=1
	s_wait_loadcnt 0x0
	v_add_co_u32 v0, vcc_lo, v12, v19
	s_wait_alu 0xfffd
	v_add_co_ci_u32_e64 v1, null, v13, v18, vcc_lo
	v_mov_b32_e32 v2, v14
	s_mov_b32 s3, s42
.LBB239_5:                              ;   Parent Loop BB239_3 Depth=1
                                        ; =>  This Inner Loop Header: Depth=2
	flat_load_b128 v[3:6], v[0:1] offset:-8
	v_add_co_u32 v0, vcc_lo, v0, s24
	s_wait_alu 0xfffd
	v_add_co_ci_u32_e64 v1, null, s25, v1, vcc_lo
	s_wait_alu 0xfffe
	s_add_co_i32 s3, s3, -1
	s_wait_alu 0xfffe
	s_cmp_lg_u32 s3, 0
	s_wait_loadcnt_dscnt 0x0
	v_mul_f64_e32 v[7:8], s[6:7], v[5:6]
	v_mul_f64_e32 v[9:10], s[4:5], v[5:6]
	s_delay_alu instid0(VALU_DEP_2) | instskip(NEXT) | instid1(VALU_DEP_2)
	v_fma_f64 v[5:6], s[4:5], v[3:4], -v[7:8]
	v_fma_f64 v[7:8], s[6:7], v[3:4], v[9:10]
	ds_store_b128 v2, v[5:8]
	v_add_nc_u32_e32 v2, 0x400, v2
	s_cbranch_scc1 .LBB239_5
.LBB239_6:                              ;   in Loop: Header=BB239_3 Depth=1
	s_wait_alu 0xfffe
	s_or_b32 exec_lo, exec_lo, s1
	s_add_nc_u64 s[30:31], s[34:35], s[10:11]
	s_and_b32 vcc_lo, exec_lo, s43
	s_mov_b32 s1, -1
	s_wait_loadcnt_dscnt 0x0
	s_barrier_signal -1
	s_barrier_wait -1
	global_inv scope:SCOPE_SE
	s_wait_alu 0xfffe
	s_cbranch_vccz .LBB239_27
; %bb.7:                                ;   in Loop: Header=BB239_3 Depth=1
	s_and_b32 vcc_lo, exec_lo, s44
	s_wait_alu 0xfffe
	s_cbranch_vccz .LBB239_24
; %bb.8:                                ;   in Loop: Header=BB239_3 Depth=1
	v_cmp_ne_u32_e32 vcc_lo, 1, v17
	v_cmp_ne_u32_e64 s1, 1, v21
	s_mov_b32 s3, -1
	s_cbranch_vccnz .LBB239_21
; %bb.9:                                ;   in Loop: Header=BB239_3 Depth=1
	s_and_b32 vcc_lo, exec_lo, s1
	s_wait_alu 0xfffe
	s_cbranch_vccnz .LBB239_20
; %bb.10:                               ;   in Loop: Header=BB239_3 Depth=1
	s_add_nc_u64 s[36:37], s[34:35], s[26:27]
	s_mov_b32 s22, 0
	s_branch .LBB239_13
.LBB239_11:                             ;   in Loop: Header=BB239_13 Depth=2
	s_wait_alu 0xfffe
	s_or_b32 exec_lo, exec_lo, s1
	ds_store_b128 v23, v[6:9]
.LBB239_12:                             ;   in Loop: Header=BB239_13 Depth=2
	s_add_co_i32 s22, s22, 1
	s_add_nc_u64 s[36:37], s[36:37], s[28:29]
	s_wait_alu 0xfffe
	s_cmp_lg_u32 s22, s40
	s_cbranch_scc0 .LBB239_20
.LBB239_13:                             ;   Parent Loop BB239_3 Depth=1
                                        ; =>  This Loop Header: Depth=2
                                        ;       Child Loop BB239_14 Depth 3
	s_wait_alu 0xfffe
	v_lshl_add_u32 v23, s22, 4, v16
	v_mov_b32_e32 v4, v16
	s_cmp_eq_u32 s22, 0
	s_mov_b64 s[38:39], s[36:37]
	s_mov_b32 s1, s22
	ds_load_b128 v[0:3], v23
	s_cbranch_scc1 .LBB239_15
.LBB239_14:                             ;   Parent Loop BB239_3 Depth=1
                                        ;     Parent Loop BB239_13 Depth=2
                                        ; =>    This Inner Loop Header: Depth=3
	s_wait_alu 0xfffe
	v_dual_mov_b32 v5, s38 :: v_dual_mov_b32 v6, s39
	ds_load_b128 v[24:27], v4
	v_add_nc_u32_e32 v4, 16, v4
	s_add_co_i32 s1, s1, -1
	s_add_nc_u64 s[38:39], s[38:39], 16
	flat_load_b128 v[5:8], v[5:6] offset:-8
	s_wait_alu 0xfffe
	s_cmp_eq_u32 s1, 0
	s_wait_loadcnt_dscnt 0x0
	v_xor_b32_e32 v9, 0x80000000, v8
	s_delay_alu instid0(VALU_DEP_1) | instskip(SKIP_1) | instid1(VALU_DEP_2)
	v_cndmask_b32_e64 v8, v8, v9, s0
	v_mul_f64_e32 v[9:10], v[5:6], v[26:27]
	v_mul_f64_e32 v[26:27], v[7:8], v[26:27]
	s_delay_alu instid0(VALU_DEP_2) | instskip(NEXT) | instid1(VALU_DEP_2)
	v_fma_f64 v[7:8], v[7:8], v[24:25], v[9:10]
	v_fma_f64 v[5:6], v[5:6], v[24:25], -v[26:27]
	s_delay_alu instid0(VALU_DEP_2) | instskip(NEXT) | instid1(VALU_DEP_2)
	v_add_f64_e64 v[2:3], v[2:3], -v[7:8]
	v_add_f64_e64 v[0:1], v[0:1], -v[5:6]
	s_cbranch_scc0 .LBB239_14
.LBB239_15:                             ;   in Loop: Header=BB239_13 Depth=2
	s_and_b32 vcc_lo, exec_lo, s46
	s_wait_dscnt 0x0
	ds_store_b128 v23, v[0:3]
	s_wait_alu 0xfffe
	s_cbranch_vccz .LBB239_12
; %bb.16:                               ;   in Loop: Header=BB239_13 Depth=2
	s_mul_u64 s[38:39], s[16:17], s[22:23]
	s_wait_alu 0xfffe
	s_lshl_b64 s[38:39], s[38:39], 4
	s_wait_alu 0xfffe
	s_add_nc_u64 s[38:39], s[30:31], s[38:39]
	s_wait_alu 0xfffe
	v_dual_mov_b32 v4, s38 :: v_dual_mov_b32 v5, s39
	flat_load_b128 v[4:7], v[4:5]
	s_wait_loadcnt_dscnt 0x0
	v_cmp_ngt_f64_e64 s1, |v[4:5]|, |v[6:7]|
	v_xor_b32_e32 v8, 0x80000000, v7
	v_mov_b32_e32 v10, v6
	s_delay_alu instid0(VALU_DEP_2)
	v_cndmask_b32_e64 v11, v7, v8, s0
                                        ; implicit-def: $vgpr8_vgpr9
	s_and_saveexec_b32 s3, s1
	s_wait_alu 0xfffe
	s_xor_b32 s1, exec_lo, s3
	s_cbranch_execz .LBB239_18
; %bb.17:                               ;   in Loop: Header=BB239_13 Depth=2
	v_div_scale_f64 v[6:7], null, v[10:11], v[10:11], v[4:5]
	v_div_scale_f64 v[26:27], vcc_lo, v[4:5], v[10:11], v[4:5]
	s_delay_alu instid0(VALU_DEP_2) | instskip(NEXT) | instid1(TRANS32_DEP_1)
	v_rcp_f64_e32 v[8:9], v[6:7]
	v_fma_f64 v[24:25], -v[6:7], v[8:9], 1.0
	s_delay_alu instid0(VALU_DEP_1) | instskip(NEXT) | instid1(VALU_DEP_1)
	v_fma_f64 v[8:9], v[8:9], v[24:25], v[8:9]
	v_fma_f64 v[24:25], -v[6:7], v[8:9], 1.0
	s_delay_alu instid0(VALU_DEP_1) | instskip(NEXT) | instid1(VALU_DEP_1)
	v_fma_f64 v[8:9], v[8:9], v[24:25], v[8:9]
	v_mul_f64_e32 v[24:25], v[26:27], v[8:9]
	s_delay_alu instid0(VALU_DEP_1) | instskip(SKIP_1) | instid1(VALU_DEP_1)
	v_fma_f64 v[6:7], -v[6:7], v[24:25], v[26:27]
	s_wait_alu 0xfffd
	v_div_fmas_f64 v[6:7], v[6:7], v[8:9], v[24:25]
	s_delay_alu instid0(VALU_DEP_1) | instskip(NEXT) | instid1(VALU_DEP_1)
	v_div_fixup_f64 v[6:7], v[6:7], v[10:11], v[4:5]
	v_fma_f64 v[4:5], v[4:5], v[6:7], v[10:11]
	s_delay_alu instid0(VALU_DEP_1) | instskip(SKIP_1) | instid1(VALU_DEP_2)
	v_div_scale_f64 v[8:9], null, v[4:5], v[4:5], 1.0
	v_div_scale_f64 v[26:27], vcc_lo, 1.0, v[4:5], 1.0
	v_rcp_f64_e32 v[10:11], v[8:9]
	s_delay_alu instid0(TRANS32_DEP_1) | instskip(NEXT) | instid1(VALU_DEP_1)
	v_fma_f64 v[24:25], -v[8:9], v[10:11], 1.0
	v_fma_f64 v[10:11], v[10:11], v[24:25], v[10:11]
	s_delay_alu instid0(VALU_DEP_1) | instskip(NEXT) | instid1(VALU_DEP_1)
	v_fma_f64 v[24:25], -v[8:9], v[10:11], 1.0
	v_fma_f64 v[10:11], v[10:11], v[24:25], v[10:11]
	s_delay_alu instid0(VALU_DEP_1) | instskip(NEXT) | instid1(VALU_DEP_1)
	v_mul_f64_e32 v[24:25], v[26:27], v[10:11]
	v_fma_f64 v[8:9], -v[8:9], v[24:25], v[26:27]
	s_wait_alu 0xfffd
	s_delay_alu instid0(VALU_DEP_1) | instskip(SKIP_2) | instid1(VALU_DEP_3)
	v_div_fmas_f64 v[8:9], v[8:9], v[10:11], v[24:25]
	v_fma_f64 v[10:11], v[0:1], v[6:7], v[2:3]
	v_fma_f64 v[0:1], v[2:3], v[6:7], -v[0:1]
	v_div_fixup_f64 v[4:5], v[8:9], v[4:5], 1.0
	s_delay_alu instid0(VALU_DEP_1) | instskip(NEXT) | instid1(VALU_DEP_3)
	v_mul_f64_e32 v[6:7], v[10:11], v[4:5]
	v_mul_f64_e32 v[8:9], v[0:1], v[4:5]
                                        ; implicit-def: $vgpr4_vgpr5
                                        ; implicit-def: $vgpr10_vgpr11
                                        ; implicit-def: $vgpr2_vgpr3
.LBB239_18:                             ;   in Loop: Header=BB239_13 Depth=2
	s_wait_alu 0xfffe
	s_and_not1_saveexec_b32 s1, s1
	s_cbranch_execz .LBB239_11
; %bb.19:                               ;   in Loop: Header=BB239_13 Depth=2
	v_div_scale_f64 v[6:7], null, v[4:5], v[4:5], v[10:11]
	v_div_scale_f64 v[26:27], vcc_lo, v[10:11], v[4:5], v[10:11]
	s_delay_alu instid0(VALU_DEP_2) | instskip(NEXT) | instid1(TRANS32_DEP_1)
	v_rcp_f64_e32 v[8:9], v[6:7]
	v_fma_f64 v[24:25], -v[6:7], v[8:9], 1.0
	s_delay_alu instid0(VALU_DEP_1) | instskip(NEXT) | instid1(VALU_DEP_1)
	v_fma_f64 v[8:9], v[8:9], v[24:25], v[8:9]
	v_fma_f64 v[24:25], -v[6:7], v[8:9], 1.0
	s_delay_alu instid0(VALU_DEP_1) | instskip(NEXT) | instid1(VALU_DEP_1)
	v_fma_f64 v[8:9], v[8:9], v[24:25], v[8:9]
	v_mul_f64_e32 v[24:25], v[26:27], v[8:9]
	s_delay_alu instid0(VALU_DEP_1) | instskip(SKIP_1) | instid1(VALU_DEP_1)
	v_fma_f64 v[6:7], -v[6:7], v[24:25], v[26:27]
	s_wait_alu 0xfffd
	v_div_fmas_f64 v[6:7], v[6:7], v[8:9], v[24:25]
	s_delay_alu instid0(VALU_DEP_1) | instskip(NEXT) | instid1(VALU_DEP_1)
	v_div_fixup_f64 v[6:7], v[6:7], v[4:5], v[10:11]
	v_fma_f64 v[4:5], v[10:11], v[6:7], v[4:5]
	s_delay_alu instid0(VALU_DEP_1) | instskip(SKIP_1) | instid1(VALU_DEP_2)
	v_div_scale_f64 v[8:9], null, v[4:5], v[4:5], 1.0
	v_div_scale_f64 v[26:27], vcc_lo, 1.0, v[4:5], 1.0
	v_rcp_f64_e32 v[10:11], v[8:9]
	s_delay_alu instid0(TRANS32_DEP_1) | instskip(NEXT) | instid1(VALU_DEP_1)
	v_fma_f64 v[24:25], -v[8:9], v[10:11], 1.0
	v_fma_f64 v[10:11], v[10:11], v[24:25], v[10:11]
	s_delay_alu instid0(VALU_DEP_1) | instskip(NEXT) | instid1(VALU_DEP_1)
	v_fma_f64 v[24:25], -v[8:9], v[10:11], 1.0
	v_fma_f64 v[10:11], v[10:11], v[24:25], v[10:11]
	s_delay_alu instid0(VALU_DEP_1) | instskip(NEXT) | instid1(VALU_DEP_1)
	v_mul_f64_e32 v[24:25], v[26:27], v[10:11]
	v_fma_f64 v[8:9], -v[8:9], v[24:25], v[26:27]
	s_wait_alu 0xfffd
	s_delay_alu instid0(VALU_DEP_1) | instskip(SKIP_2) | instid1(VALU_DEP_3)
	v_div_fmas_f64 v[8:9], v[8:9], v[10:11], v[24:25]
	v_fma_f64 v[10:11], v[2:3], v[6:7], v[0:1]
	v_fma_f64 v[0:1], -v[0:1], v[6:7], v[2:3]
	v_div_fixup_f64 v[4:5], v[8:9], v[4:5], 1.0
	s_delay_alu instid0(VALU_DEP_1) | instskip(NEXT) | instid1(VALU_DEP_3)
	v_mul_f64_e32 v[6:7], v[10:11], v[4:5]
	v_mul_f64_e32 v[8:9], v[0:1], v[4:5]
	s_branch .LBB239_11
.LBB239_20:                             ;   in Loop: Header=BB239_3 Depth=1
	s_mov_b32 s3, 0
.LBB239_21:                             ;   in Loop: Header=BB239_3 Depth=1
	s_wait_alu 0xfffe
	s_and_not1_b32 vcc_lo, exec_lo, s3
	s_wait_alu 0xfffe
	s_cbranch_vccnz .LBB239_23
; %bb.22:                               ;   in Loop: Header=BB239_3 Depth=1
	s_and_not1_b32 vcc_lo, exec_lo, s45
	s_mov_b32 s36, s41
	s_wait_alu 0xfffe
	s_cbranch_vccz .LBB239_52
.LBB239_23:                             ;   in Loop: Header=BB239_3 Depth=1
	s_mov_b32 s1, 0
.LBB239_24:                             ;   in Loop: Header=BB239_3 Depth=1
	s_wait_alu 0xfffe
	s_and_not1_b32 vcc_lo, exec_lo, s1
	s_wait_alu 0xfffe
	s_cbranch_vccnz .LBB239_26
; %bb.25:                               ;   in Loop: Header=BB239_3 Depth=1
	s_and_not1_b32 vcc_lo, exec_lo, s45
	s_mov_b32 s36, s41
	s_wait_alu 0xfffe
	s_cbranch_vccz .LBB239_42
.LBB239_26:                             ;   in Loop: Header=BB239_3 Depth=1
	s_mov_b32 s1, 0
.LBB239_27:                             ;   in Loop: Header=BB239_3 Depth=1
	s_wait_alu 0xfffe
	s_and_not1_b32 vcc_lo, exec_lo, s1
	s_wait_alu 0xfffe
	s_cbranch_vccnz .LBB239_60
; %bb.28:                               ;   in Loop: Header=BB239_3 Depth=1
	s_and_not1_b32 vcc_lo, exec_lo, s45
	s_wait_alu 0xfffe
	s_cbranch_vccnz .LBB239_60
; %bb.29:                               ;   in Loop: Header=BB239_3 Depth=1
	s_add_nc_u64 s[34:35], s[34:35], s[26:27]
	s_mov_b32 s22, 0
	s_branch .LBB239_32
.LBB239_30:                             ;   in Loop: Header=BB239_32 Depth=2
	s_wait_alu 0xfffe
	s_or_b32 exec_lo, exec_lo, s1
.LBB239_31:                             ;   in Loop: Header=BB239_32 Depth=2
	s_add_co_i32 s22, s22, 1
	s_add_nc_u64 s[34:35], s[34:35], 16
	s_wait_alu 0xfffe
	s_cmp_eq_u32 s22, s40
	s_cbranch_scc1 .LBB239_60
.LBB239_32:                             ;   Parent Loop BB239_3 Depth=1
                                        ; =>  This Loop Header: Depth=2
                                        ;       Child Loop BB239_34 Depth 3
	s_wait_alu 0xfffe
	v_lshl_add_u32 v4, s22, 4, v16
	s_cmp_eq_u32 s22, 0
	s_cbranch_scc1 .LBB239_35
; %bb.33:                               ;   in Loop: Header=BB239_32 Depth=2
	ds_load_b128 v[0:3], v4
	v_mov_b32_e32 v5, v16
	s_mov_b64 s[36:37], s[34:35]
	s_mov_b32 s1, s22
.LBB239_34:                             ;   Parent Loop BB239_3 Depth=1
                                        ;     Parent Loop BB239_32 Depth=2
                                        ; =>    This Inner Loop Header: Depth=3
	s_wait_alu 0xfffe
	v_dual_mov_b32 v6, s36 :: v_dual_mov_b32 v7, s37
	ds_load_b128 v[23:26], v5
	v_add_nc_u32_e32 v5, 16, v5
	s_add_co_i32 s1, s1, -1
	s_add_nc_u64 s[36:37], s[36:37], s[28:29]
	flat_load_b128 v[6:9], v[6:7] offset:-8
	s_wait_alu 0xfffe
	s_cmp_eq_u32 s1, 0
	s_wait_loadcnt_dscnt 0x0
	v_mul_f64_e32 v[10:11], v[8:9], v[25:26]
	v_mul_f64_e32 v[25:26], v[6:7], v[25:26]
	s_delay_alu instid0(VALU_DEP_2) | instskip(NEXT) | instid1(VALU_DEP_2)
	v_fma_f64 v[6:7], v[6:7], v[23:24], -v[10:11]
	v_fma_f64 v[8:9], v[8:9], v[23:24], v[25:26]
	s_delay_alu instid0(VALU_DEP_2) | instskip(NEXT) | instid1(VALU_DEP_2)
	v_add_f64_e64 v[0:1], v[0:1], -v[6:7]
	v_add_f64_e64 v[2:3], v[2:3], -v[8:9]
	ds_store_b128 v4, v[0:3]
	s_cbranch_scc0 .LBB239_34
.LBB239_35:                             ;   in Loop: Header=BB239_32 Depth=2
	s_and_b32 vcc_lo, exec_lo, s46
	s_wait_alu 0xfffe
	s_cbranch_vccz .LBB239_31
; %bb.36:                               ;   in Loop: Header=BB239_32 Depth=2
	s_mul_u64 s[36:37], s[16:17], s[22:23]
	s_wait_alu 0xfffe
	s_lshl_b64 s[36:37], s[36:37], 4
	s_wait_alu 0xfffe
	s_add_nc_u64 s[36:37], s[30:31], s[36:37]
	s_wait_alu 0xfffe
	v_dual_mov_b32 v0, s36 :: v_dual_mov_b32 v1, s37
	flat_load_b128 v[0:3], v[0:1]
	s_wait_loadcnt_dscnt 0x0
	v_cmp_ngt_f64_e64 s1, |v[0:1]|, |v[2:3]|
	s_and_saveexec_b32 s3, s1
	s_wait_alu 0xfffe
	s_xor_b32 s1, exec_lo, s3
	s_cbranch_execz .LBB239_38
; %bb.37:                               ;   in Loop: Header=BB239_32 Depth=2
	v_div_scale_f64 v[5:6], null, v[2:3], v[2:3], v[0:1]
	v_div_scale_f64 v[23:24], vcc_lo, v[0:1], v[2:3], v[0:1]
	s_delay_alu instid0(VALU_DEP_2) | instskip(NEXT) | instid1(TRANS32_DEP_1)
	v_rcp_f64_e32 v[7:8], v[5:6]
	v_fma_f64 v[9:10], -v[5:6], v[7:8], 1.0
	s_delay_alu instid0(VALU_DEP_1) | instskip(NEXT) | instid1(VALU_DEP_1)
	v_fma_f64 v[7:8], v[7:8], v[9:10], v[7:8]
	v_fma_f64 v[9:10], -v[5:6], v[7:8], 1.0
	s_delay_alu instid0(VALU_DEP_1) | instskip(NEXT) | instid1(VALU_DEP_1)
	v_fma_f64 v[7:8], v[7:8], v[9:10], v[7:8]
	v_mul_f64_e32 v[9:10], v[23:24], v[7:8]
	s_delay_alu instid0(VALU_DEP_1) | instskip(SKIP_1) | instid1(VALU_DEP_1)
	v_fma_f64 v[5:6], -v[5:6], v[9:10], v[23:24]
	s_wait_alu 0xfffd
	v_div_fmas_f64 v[5:6], v[5:6], v[7:8], v[9:10]
	s_delay_alu instid0(VALU_DEP_1) | instskip(NEXT) | instid1(VALU_DEP_1)
	v_div_fixup_f64 v[5:6], v[5:6], v[2:3], v[0:1]
	v_fma_f64 v[7:8], v[0:1], v[5:6], v[2:3]
	s_delay_alu instid0(VALU_DEP_1) | instskip(SKIP_1) | instid1(VALU_DEP_2)
	v_div_scale_f64 v[0:1], null, v[7:8], v[7:8], 1.0
	v_div_scale_f64 v[23:24], vcc_lo, 1.0, v[7:8], 1.0
	v_rcp_f64_e32 v[2:3], v[0:1]
	s_delay_alu instid0(TRANS32_DEP_1) | instskip(NEXT) | instid1(VALU_DEP_1)
	v_fma_f64 v[9:10], -v[0:1], v[2:3], 1.0
	v_fma_f64 v[2:3], v[2:3], v[9:10], v[2:3]
	s_delay_alu instid0(VALU_DEP_1) | instskip(NEXT) | instid1(VALU_DEP_1)
	v_fma_f64 v[9:10], -v[0:1], v[2:3], 1.0
	v_fma_f64 v[2:3], v[2:3], v[9:10], v[2:3]
	s_delay_alu instid0(VALU_DEP_1) | instskip(NEXT) | instid1(VALU_DEP_1)
	v_mul_f64_e32 v[9:10], v[23:24], v[2:3]
	v_fma_f64 v[0:1], -v[0:1], v[9:10], v[23:24]
	s_wait_alu 0xfffd
	s_delay_alu instid0(VALU_DEP_1)
	v_div_fmas_f64 v[9:10], v[0:1], v[2:3], v[9:10]
	ds_load_b128 v[0:3], v4
	s_wait_dscnt 0x0
	v_fma_f64 v[23:24], v[5:6], v[0:1], v[2:3]
	v_fma_f64 v[2:3], v[5:6], v[2:3], -v[0:1]
	v_div_fixup_f64 v[7:8], v[9:10], v[7:8], 1.0
	s_delay_alu instid0(VALU_DEP_1) | instskip(NEXT) | instid1(VALU_DEP_3)
	v_mul_f64_e32 v[0:1], v[7:8], v[23:24]
	v_mul_f64_e32 v[2:3], v[7:8], v[2:3]
	ds_store_b128 v4, v[0:3]
                                        ; implicit-def: $vgpr0_vgpr1
                                        ; implicit-def: $vgpr4
.LBB239_38:                             ;   in Loop: Header=BB239_32 Depth=2
	s_wait_alu 0xfffe
	s_and_not1_saveexec_b32 s1, s1
	s_cbranch_execz .LBB239_30
; %bb.39:                               ;   in Loop: Header=BB239_32 Depth=2
	v_div_scale_f64 v[5:6], null, v[0:1], v[0:1], v[2:3]
	v_div_scale_f64 v[23:24], vcc_lo, v[2:3], v[0:1], v[2:3]
	s_delay_alu instid0(VALU_DEP_2) | instskip(NEXT) | instid1(TRANS32_DEP_1)
	v_rcp_f64_e32 v[7:8], v[5:6]
	v_fma_f64 v[9:10], -v[5:6], v[7:8], 1.0
	s_delay_alu instid0(VALU_DEP_1) | instskip(NEXT) | instid1(VALU_DEP_1)
	v_fma_f64 v[7:8], v[7:8], v[9:10], v[7:8]
	v_fma_f64 v[9:10], -v[5:6], v[7:8], 1.0
	s_delay_alu instid0(VALU_DEP_1) | instskip(NEXT) | instid1(VALU_DEP_1)
	v_fma_f64 v[7:8], v[7:8], v[9:10], v[7:8]
	v_mul_f64_e32 v[9:10], v[23:24], v[7:8]
	s_delay_alu instid0(VALU_DEP_1) | instskip(SKIP_1) | instid1(VALU_DEP_1)
	v_fma_f64 v[5:6], -v[5:6], v[9:10], v[23:24]
	s_wait_alu 0xfffd
	v_div_fmas_f64 v[5:6], v[5:6], v[7:8], v[9:10]
	s_delay_alu instid0(VALU_DEP_1) | instskip(NEXT) | instid1(VALU_DEP_1)
	v_div_fixup_f64 v[5:6], v[5:6], v[0:1], v[2:3]
	v_fma_f64 v[7:8], v[2:3], v[5:6], v[0:1]
	s_delay_alu instid0(VALU_DEP_1) | instskip(SKIP_1) | instid1(VALU_DEP_2)
	v_div_scale_f64 v[0:1], null, v[7:8], v[7:8], 1.0
	v_div_scale_f64 v[23:24], vcc_lo, 1.0, v[7:8], 1.0
	v_rcp_f64_e32 v[2:3], v[0:1]
	s_delay_alu instid0(TRANS32_DEP_1) | instskip(NEXT) | instid1(VALU_DEP_1)
	v_fma_f64 v[9:10], -v[0:1], v[2:3], 1.0
	v_fma_f64 v[2:3], v[2:3], v[9:10], v[2:3]
	s_delay_alu instid0(VALU_DEP_1) | instskip(NEXT) | instid1(VALU_DEP_1)
	v_fma_f64 v[9:10], -v[0:1], v[2:3], 1.0
	v_fma_f64 v[2:3], v[2:3], v[9:10], v[2:3]
	s_delay_alu instid0(VALU_DEP_1) | instskip(NEXT) | instid1(VALU_DEP_1)
	v_mul_f64_e32 v[9:10], v[23:24], v[2:3]
	v_fma_f64 v[0:1], -v[0:1], v[9:10], v[23:24]
	s_wait_alu 0xfffd
	s_delay_alu instid0(VALU_DEP_1)
	v_div_fmas_f64 v[9:10], v[0:1], v[2:3], v[9:10]
	ds_load_b128 v[0:3], v4
	s_wait_dscnt 0x0
	v_fma_f64 v[23:24], v[5:6], v[2:3], v[0:1]
	v_fma_f64 v[2:3], -v[5:6], v[0:1], v[2:3]
	v_div_fixup_f64 v[7:8], v[9:10], v[7:8], 1.0
	s_delay_alu instid0(VALU_DEP_1) | instskip(NEXT) | instid1(VALU_DEP_3)
	v_mul_f64_e32 v[0:1], v[7:8], v[23:24]
	v_mul_f64_e32 v[2:3], v[7:8], v[2:3]
	ds_store_b128 v4, v[0:3]
	s_branch .LBB239_30
.LBB239_40:                             ;   in Loop: Header=BB239_42 Depth=2
	s_wait_alu 0xfffe
	s_or_b32 exec_lo, exec_lo, s1
	ds_store_b128 v23, v[8:11]
.LBB239_41:                             ;   in Loop: Header=BB239_42 Depth=2
	s_add_co_i32 s1, s36, -1
	s_cmp_lt_i32 s36, 1
	s_wait_alu 0xfffe
	s_mov_b32 s36, s1
	s_cbranch_scc1 .LBB239_26
.LBB239_42:                             ;   Parent Loop BB239_3 Depth=1
                                        ; =>  This Loop Header: Depth=2
                                        ;       Child Loop BB239_44 Depth 3
	s_wait_alu 0xfffe
	v_lshl_add_u32 v23, s36, 4, v16
	s_cmp_le_i32 s41, s36
	ds_load_b128 v[0:3], v23
	s_cbranch_scc1 .LBB239_45
; %bb.43:                               ;   in Loop: Header=BB239_42 Depth=2
	s_mov_b32 s37, s23
	v_mov_b32_e32 v4, v20
	s_wait_alu 0xfffe
	s_lshl_b64 s[38:39], s[36:37], 4
	s_mov_b32 s22, s41
	s_wait_alu 0xfffe
	s_add_nc_u64 s[38:39], s[30:31], s[38:39]
.LBB239_44:                             ;   Parent Loop BB239_3 Depth=1
                                        ;     Parent Loop BB239_42 Depth=2
                                        ; =>    This Inner Loop Header: Depth=3
	s_mul_u64 s[50:51], s[22:23], s[20:21]
	ds_load_b128 v[24:27], v4
	s_wait_alu 0xfffe
	s_lshl_b64 s[50:51], s[50:51], 4
	v_add_nc_u32_e32 v4, -16, v4
	s_wait_alu 0xfffe
	s_add_nc_u64 s[50:51], s[38:39], s[50:51]
	s_add_co_i32 s22, s22, -1
	s_wait_alu 0xfffe
	v_dual_mov_b32 v5, s50 :: v_dual_mov_b32 v6, s51
	s_cmp_le_i32 s22, s36
	flat_load_b128 v[5:8], v[5:6]
	s_wait_loadcnt_dscnt 0x0
	v_mul_f64_e32 v[9:10], v[7:8], v[26:27]
	v_mul_f64_e32 v[26:27], v[5:6], v[26:27]
	s_delay_alu instid0(VALU_DEP_2) | instskip(NEXT) | instid1(VALU_DEP_2)
	v_fma_f64 v[5:6], v[5:6], v[24:25], -v[9:10]
	v_fma_f64 v[7:8], v[7:8], v[24:25], v[26:27]
	s_delay_alu instid0(VALU_DEP_2) | instskip(NEXT) | instid1(VALU_DEP_2)
	v_add_f64_e64 v[0:1], v[0:1], -v[5:6]
	v_add_f64_e64 v[2:3], v[2:3], -v[7:8]
	s_cbranch_scc0 .LBB239_44
.LBB239_45:                             ;   in Loop: Header=BB239_42 Depth=2
	s_and_b32 vcc_lo, exec_lo, s46
	s_wait_dscnt 0x0
	ds_store_b128 v23, v[0:3]
	s_wait_alu 0xfffe
	s_cbranch_vccz .LBB239_41
; %bb.46:                               ;   in Loop: Header=BB239_42 Depth=2
	s_mov_b32 s37, s23
                                        ; implicit-def: $vgpr10_vgpr11
	s_wait_alu 0xfffe
	s_mul_u64 s[38:39], s[16:17], s[36:37]
	s_wait_alu 0xfffe
	s_lshl_b64 s[38:39], s[38:39], 4
	s_wait_alu 0xfffe
	s_add_nc_u64 s[38:39], s[30:31], s[38:39]
	s_wait_alu 0xfffe
	v_dual_mov_b32 v4, s38 :: v_dual_mov_b32 v5, s39
	flat_load_b128 v[4:7], v[4:5]
	s_wait_loadcnt_dscnt 0x0
	v_cmp_ngt_f64_e64 s1, |v[4:5]|, |v[6:7]|
	s_and_saveexec_b32 s3, s1
	s_wait_alu 0xfffe
	s_xor_b32 s1, exec_lo, s3
	s_cbranch_execz .LBB239_48
; %bb.47:                               ;   in Loop: Header=BB239_42 Depth=2
	v_div_scale_f64 v[8:9], null, v[6:7], v[6:7], v[4:5]
	v_div_scale_f64 v[26:27], vcc_lo, v[4:5], v[6:7], v[4:5]
	s_delay_alu instid0(VALU_DEP_2) | instskip(NEXT) | instid1(TRANS32_DEP_1)
	v_rcp_f64_e32 v[10:11], v[8:9]
	v_fma_f64 v[24:25], -v[8:9], v[10:11], 1.0
	s_delay_alu instid0(VALU_DEP_1) | instskip(NEXT) | instid1(VALU_DEP_1)
	v_fma_f64 v[10:11], v[10:11], v[24:25], v[10:11]
	v_fma_f64 v[24:25], -v[8:9], v[10:11], 1.0
	s_delay_alu instid0(VALU_DEP_1) | instskip(NEXT) | instid1(VALU_DEP_1)
	v_fma_f64 v[10:11], v[10:11], v[24:25], v[10:11]
	v_mul_f64_e32 v[24:25], v[26:27], v[10:11]
	s_delay_alu instid0(VALU_DEP_1) | instskip(SKIP_1) | instid1(VALU_DEP_1)
	v_fma_f64 v[8:9], -v[8:9], v[24:25], v[26:27]
	s_wait_alu 0xfffd
	v_div_fmas_f64 v[8:9], v[8:9], v[10:11], v[24:25]
	s_delay_alu instid0(VALU_DEP_1) | instskip(NEXT) | instid1(VALU_DEP_1)
	v_div_fixup_f64 v[8:9], v[8:9], v[6:7], v[4:5]
	v_fma_f64 v[4:5], v[4:5], v[8:9], v[6:7]
	s_delay_alu instid0(VALU_DEP_1) | instskip(SKIP_1) | instid1(VALU_DEP_2)
	v_div_scale_f64 v[6:7], null, v[4:5], v[4:5], 1.0
	v_div_scale_f64 v[26:27], vcc_lo, 1.0, v[4:5], 1.0
	v_rcp_f64_e32 v[10:11], v[6:7]
	s_delay_alu instid0(TRANS32_DEP_1) | instskip(NEXT) | instid1(VALU_DEP_1)
	v_fma_f64 v[24:25], -v[6:7], v[10:11], 1.0
	v_fma_f64 v[10:11], v[10:11], v[24:25], v[10:11]
	s_delay_alu instid0(VALU_DEP_1) | instskip(NEXT) | instid1(VALU_DEP_1)
	v_fma_f64 v[24:25], -v[6:7], v[10:11], 1.0
	v_fma_f64 v[10:11], v[10:11], v[24:25], v[10:11]
	s_delay_alu instid0(VALU_DEP_1) | instskip(NEXT) | instid1(VALU_DEP_1)
	v_mul_f64_e32 v[24:25], v[26:27], v[10:11]
	v_fma_f64 v[6:7], -v[6:7], v[24:25], v[26:27]
	s_wait_alu 0xfffd
	s_delay_alu instid0(VALU_DEP_1) | instskip(SKIP_2) | instid1(VALU_DEP_3)
	v_div_fmas_f64 v[6:7], v[6:7], v[10:11], v[24:25]
	v_fma_f64 v[10:11], v[0:1], v[8:9], v[2:3]
	v_fma_f64 v[0:1], v[2:3], v[8:9], -v[0:1]
	v_div_fixup_f64 v[4:5], v[6:7], v[4:5], 1.0
	s_delay_alu instid0(VALU_DEP_1) | instskip(NEXT) | instid1(VALU_DEP_3)
	v_mul_f64_e32 v[8:9], v[10:11], v[4:5]
	v_mul_f64_e32 v[10:11], v[0:1], v[4:5]
                                        ; implicit-def: $vgpr4_vgpr5
                                        ; implicit-def: $vgpr2_vgpr3
.LBB239_48:                             ;   in Loop: Header=BB239_42 Depth=2
	s_wait_alu 0xfffe
	s_and_not1_saveexec_b32 s1, s1
	s_cbranch_execz .LBB239_40
; %bb.49:                               ;   in Loop: Header=BB239_42 Depth=2
	v_div_scale_f64 v[8:9], null, v[4:5], v[4:5], v[6:7]
	v_div_scale_f64 v[26:27], vcc_lo, v[6:7], v[4:5], v[6:7]
	s_delay_alu instid0(VALU_DEP_2) | instskip(NEXT) | instid1(TRANS32_DEP_1)
	v_rcp_f64_e32 v[10:11], v[8:9]
	v_fma_f64 v[24:25], -v[8:9], v[10:11], 1.0
	s_delay_alu instid0(VALU_DEP_1) | instskip(NEXT) | instid1(VALU_DEP_1)
	v_fma_f64 v[10:11], v[10:11], v[24:25], v[10:11]
	v_fma_f64 v[24:25], -v[8:9], v[10:11], 1.0
	s_delay_alu instid0(VALU_DEP_1) | instskip(NEXT) | instid1(VALU_DEP_1)
	v_fma_f64 v[10:11], v[10:11], v[24:25], v[10:11]
	v_mul_f64_e32 v[24:25], v[26:27], v[10:11]
	s_delay_alu instid0(VALU_DEP_1) | instskip(SKIP_1) | instid1(VALU_DEP_1)
	v_fma_f64 v[8:9], -v[8:9], v[24:25], v[26:27]
	s_wait_alu 0xfffd
	v_div_fmas_f64 v[8:9], v[8:9], v[10:11], v[24:25]
	s_delay_alu instid0(VALU_DEP_1) | instskip(NEXT) | instid1(VALU_DEP_1)
	v_div_fixup_f64 v[8:9], v[8:9], v[4:5], v[6:7]
	v_fma_f64 v[4:5], v[6:7], v[8:9], v[4:5]
	s_delay_alu instid0(VALU_DEP_1) | instskip(SKIP_1) | instid1(VALU_DEP_2)
	v_div_scale_f64 v[6:7], null, v[4:5], v[4:5], 1.0
	v_div_scale_f64 v[26:27], vcc_lo, 1.0, v[4:5], 1.0
	v_rcp_f64_e32 v[10:11], v[6:7]
	s_delay_alu instid0(TRANS32_DEP_1) | instskip(NEXT) | instid1(VALU_DEP_1)
	v_fma_f64 v[24:25], -v[6:7], v[10:11], 1.0
	v_fma_f64 v[10:11], v[10:11], v[24:25], v[10:11]
	s_delay_alu instid0(VALU_DEP_1) | instskip(NEXT) | instid1(VALU_DEP_1)
	v_fma_f64 v[24:25], -v[6:7], v[10:11], 1.0
	v_fma_f64 v[10:11], v[10:11], v[24:25], v[10:11]
	s_delay_alu instid0(VALU_DEP_1) | instskip(NEXT) | instid1(VALU_DEP_1)
	v_mul_f64_e32 v[24:25], v[26:27], v[10:11]
	v_fma_f64 v[6:7], -v[6:7], v[24:25], v[26:27]
	s_wait_alu 0xfffd
	s_delay_alu instid0(VALU_DEP_1) | instskip(SKIP_2) | instid1(VALU_DEP_3)
	v_div_fmas_f64 v[6:7], v[6:7], v[10:11], v[24:25]
	v_fma_f64 v[10:11], v[2:3], v[8:9], v[0:1]
	v_fma_f64 v[0:1], -v[0:1], v[8:9], v[2:3]
	v_div_fixup_f64 v[4:5], v[6:7], v[4:5], 1.0
	s_delay_alu instid0(VALU_DEP_1) | instskip(NEXT) | instid1(VALU_DEP_3)
	v_mul_f64_e32 v[8:9], v[10:11], v[4:5]
	v_mul_f64_e32 v[10:11], v[0:1], v[4:5]
	s_branch .LBB239_40
.LBB239_50:                             ;   in Loop: Header=BB239_52 Depth=2
	s_wait_alu 0xfffe
	s_or_b32 exec_lo, exec_lo, s1
	ds_store_b128 v23, v[6:9]
.LBB239_51:                             ;   in Loop: Header=BB239_52 Depth=2
	s_add_co_i32 s1, s36, -1
	s_cmp_lt_i32 s36, 1
	s_wait_alu 0xfffe
	s_mov_b32 s36, s1
	s_cbranch_scc1 .LBB239_23
.LBB239_52:                             ;   Parent Loop BB239_3 Depth=1
                                        ; =>  This Loop Header: Depth=2
                                        ;       Child Loop BB239_54 Depth 3
	s_wait_alu 0xfffe
	v_lshl_add_u32 v23, s36, 4, v16
	s_cmp_le_i32 s41, s36
	ds_load_b128 v[0:3], v23
	s_cbranch_scc1 .LBB239_55
; %bb.53:                               ;   in Loop: Header=BB239_52 Depth=2
	s_mov_b32 s37, s23
	v_mov_b32_e32 v4, v20
	s_wait_alu 0xfffe
	s_mul_u64 s[38:39], s[36:37], s[20:21]
	s_mov_b32 s22, s41
	s_wait_alu 0xfffe
	s_lshl_b64 s[38:39], s[38:39], 4
	s_wait_alu 0xfffe
	s_add_nc_u64 s[38:39], s[30:31], s[38:39]
.LBB239_54:                             ;   Parent Loop BB239_3 Depth=1
                                        ;     Parent Loop BB239_52 Depth=2
                                        ; =>    This Inner Loop Header: Depth=3
	s_lshl_b64 s[50:51], s[22:23], 4
	ds_load_b128 v[24:27], v4
	s_wait_alu 0xfffe
	s_add_nc_u64 s[50:51], s[38:39], s[50:51]
	s_wait_alu 0xfffe
	v_dual_mov_b32 v5, s50 :: v_dual_add_nc_u32 v4, -16, v4
	v_mov_b32_e32 v6, s51
	s_add_co_i32 s22, s22, -1
	s_wait_alu 0xfffe
	s_cmp_le_i32 s22, s36
	flat_load_b128 v[5:8], v[5:6]
	s_wait_loadcnt_dscnt 0x0
	v_xor_b32_e32 v9, 0x80000000, v8
	s_delay_alu instid0(VALU_DEP_1) | instskip(SKIP_1) | instid1(VALU_DEP_2)
	v_cndmask_b32_e64 v8, v8, v9, s0
	v_mul_f64_e32 v[9:10], v[5:6], v[26:27]
	v_mul_f64_e32 v[26:27], v[7:8], v[26:27]
	s_delay_alu instid0(VALU_DEP_2) | instskip(NEXT) | instid1(VALU_DEP_2)
	v_fma_f64 v[7:8], v[7:8], v[24:25], v[9:10]
	v_fma_f64 v[5:6], v[5:6], v[24:25], -v[26:27]
	s_delay_alu instid0(VALU_DEP_2) | instskip(NEXT) | instid1(VALU_DEP_2)
	v_add_f64_e64 v[2:3], v[2:3], -v[7:8]
	v_add_f64_e64 v[0:1], v[0:1], -v[5:6]
	s_cbranch_scc0 .LBB239_54
.LBB239_55:                             ;   in Loop: Header=BB239_52 Depth=2
	s_and_b32 vcc_lo, exec_lo, s46
	s_wait_dscnt 0x0
	ds_store_b128 v23, v[0:3]
	s_wait_alu 0xfffe
	s_cbranch_vccz .LBB239_51
; %bb.56:                               ;   in Loop: Header=BB239_52 Depth=2
	s_mov_b32 s37, s23
	s_wait_alu 0xfffe
	s_mul_u64 s[38:39], s[16:17], s[36:37]
	s_wait_alu 0xfffe
	s_lshl_b64 s[38:39], s[38:39], 4
	s_wait_alu 0xfffe
	s_add_nc_u64 s[38:39], s[30:31], s[38:39]
	s_wait_alu 0xfffe
	v_dual_mov_b32 v4, s38 :: v_dual_mov_b32 v5, s39
	flat_load_b128 v[4:7], v[4:5]
	s_wait_loadcnt_dscnt 0x0
	v_cmp_ngt_f64_e64 s1, |v[4:5]|, |v[6:7]|
	v_xor_b32_e32 v8, 0x80000000, v7
	v_mov_b32_e32 v10, v6
	s_delay_alu instid0(VALU_DEP_2)
	v_cndmask_b32_e64 v11, v7, v8, s0
                                        ; implicit-def: $vgpr8_vgpr9
	s_and_saveexec_b32 s3, s1
	s_wait_alu 0xfffe
	s_xor_b32 s1, exec_lo, s3
	s_cbranch_execz .LBB239_58
; %bb.57:                               ;   in Loop: Header=BB239_52 Depth=2
	v_div_scale_f64 v[6:7], null, v[10:11], v[10:11], v[4:5]
	v_div_scale_f64 v[26:27], vcc_lo, v[4:5], v[10:11], v[4:5]
	s_delay_alu instid0(VALU_DEP_2) | instskip(NEXT) | instid1(TRANS32_DEP_1)
	v_rcp_f64_e32 v[8:9], v[6:7]
	v_fma_f64 v[24:25], -v[6:7], v[8:9], 1.0
	s_delay_alu instid0(VALU_DEP_1) | instskip(NEXT) | instid1(VALU_DEP_1)
	v_fma_f64 v[8:9], v[8:9], v[24:25], v[8:9]
	v_fma_f64 v[24:25], -v[6:7], v[8:9], 1.0
	s_delay_alu instid0(VALU_DEP_1) | instskip(NEXT) | instid1(VALU_DEP_1)
	v_fma_f64 v[8:9], v[8:9], v[24:25], v[8:9]
	v_mul_f64_e32 v[24:25], v[26:27], v[8:9]
	s_delay_alu instid0(VALU_DEP_1) | instskip(SKIP_1) | instid1(VALU_DEP_1)
	v_fma_f64 v[6:7], -v[6:7], v[24:25], v[26:27]
	s_wait_alu 0xfffd
	v_div_fmas_f64 v[6:7], v[6:7], v[8:9], v[24:25]
	s_delay_alu instid0(VALU_DEP_1) | instskip(NEXT) | instid1(VALU_DEP_1)
	v_div_fixup_f64 v[6:7], v[6:7], v[10:11], v[4:5]
	v_fma_f64 v[4:5], v[4:5], v[6:7], v[10:11]
	s_delay_alu instid0(VALU_DEP_1) | instskip(SKIP_1) | instid1(VALU_DEP_2)
	v_div_scale_f64 v[8:9], null, v[4:5], v[4:5], 1.0
	v_div_scale_f64 v[26:27], vcc_lo, 1.0, v[4:5], 1.0
	v_rcp_f64_e32 v[10:11], v[8:9]
	s_delay_alu instid0(TRANS32_DEP_1) | instskip(NEXT) | instid1(VALU_DEP_1)
	v_fma_f64 v[24:25], -v[8:9], v[10:11], 1.0
	v_fma_f64 v[10:11], v[10:11], v[24:25], v[10:11]
	s_delay_alu instid0(VALU_DEP_1) | instskip(NEXT) | instid1(VALU_DEP_1)
	v_fma_f64 v[24:25], -v[8:9], v[10:11], 1.0
	v_fma_f64 v[10:11], v[10:11], v[24:25], v[10:11]
	s_delay_alu instid0(VALU_DEP_1) | instskip(NEXT) | instid1(VALU_DEP_1)
	v_mul_f64_e32 v[24:25], v[26:27], v[10:11]
	v_fma_f64 v[8:9], -v[8:9], v[24:25], v[26:27]
	s_wait_alu 0xfffd
	s_delay_alu instid0(VALU_DEP_1) | instskip(SKIP_2) | instid1(VALU_DEP_3)
	v_div_fmas_f64 v[8:9], v[8:9], v[10:11], v[24:25]
	v_fma_f64 v[10:11], v[0:1], v[6:7], v[2:3]
	v_fma_f64 v[0:1], v[2:3], v[6:7], -v[0:1]
	v_div_fixup_f64 v[4:5], v[8:9], v[4:5], 1.0
	s_delay_alu instid0(VALU_DEP_1) | instskip(NEXT) | instid1(VALU_DEP_3)
	v_mul_f64_e32 v[6:7], v[10:11], v[4:5]
	v_mul_f64_e32 v[8:9], v[0:1], v[4:5]
                                        ; implicit-def: $vgpr4_vgpr5
                                        ; implicit-def: $vgpr10_vgpr11
                                        ; implicit-def: $vgpr2_vgpr3
.LBB239_58:                             ;   in Loop: Header=BB239_52 Depth=2
	s_wait_alu 0xfffe
	s_and_not1_saveexec_b32 s1, s1
	s_cbranch_execz .LBB239_50
; %bb.59:                               ;   in Loop: Header=BB239_52 Depth=2
	v_div_scale_f64 v[6:7], null, v[4:5], v[4:5], v[10:11]
	v_div_scale_f64 v[26:27], vcc_lo, v[10:11], v[4:5], v[10:11]
	s_delay_alu instid0(VALU_DEP_2) | instskip(NEXT) | instid1(TRANS32_DEP_1)
	v_rcp_f64_e32 v[8:9], v[6:7]
	v_fma_f64 v[24:25], -v[6:7], v[8:9], 1.0
	s_delay_alu instid0(VALU_DEP_1) | instskip(NEXT) | instid1(VALU_DEP_1)
	v_fma_f64 v[8:9], v[8:9], v[24:25], v[8:9]
	v_fma_f64 v[24:25], -v[6:7], v[8:9], 1.0
	s_delay_alu instid0(VALU_DEP_1) | instskip(NEXT) | instid1(VALU_DEP_1)
	v_fma_f64 v[8:9], v[8:9], v[24:25], v[8:9]
	v_mul_f64_e32 v[24:25], v[26:27], v[8:9]
	s_delay_alu instid0(VALU_DEP_1) | instskip(SKIP_1) | instid1(VALU_DEP_1)
	v_fma_f64 v[6:7], -v[6:7], v[24:25], v[26:27]
	s_wait_alu 0xfffd
	v_div_fmas_f64 v[6:7], v[6:7], v[8:9], v[24:25]
	s_delay_alu instid0(VALU_DEP_1) | instskip(NEXT) | instid1(VALU_DEP_1)
	v_div_fixup_f64 v[6:7], v[6:7], v[4:5], v[10:11]
	v_fma_f64 v[4:5], v[10:11], v[6:7], v[4:5]
	s_delay_alu instid0(VALU_DEP_1) | instskip(SKIP_1) | instid1(VALU_DEP_2)
	v_div_scale_f64 v[8:9], null, v[4:5], v[4:5], 1.0
	v_div_scale_f64 v[26:27], vcc_lo, 1.0, v[4:5], 1.0
	v_rcp_f64_e32 v[10:11], v[8:9]
	s_delay_alu instid0(TRANS32_DEP_1) | instskip(NEXT) | instid1(VALU_DEP_1)
	v_fma_f64 v[24:25], -v[8:9], v[10:11], 1.0
	v_fma_f64 v[10:11], v[10:11], v[24:25], v[10:11]
	s_delay_alu instid0(VALU_DEP_1) | instskip(NEXT) | instid1(VALU_DEP_1)
	v_fma_f64 v[24:25], -v[8:9], v[10:11], 1.0
	v_fma_f64 v[10:11], v[10:11], v[24:25], v[10:11]
	s_delay_alu instid0(VALU_DEP_1) | instskip(NEXT) | instid1(VALU_DEP_1)
	v_mul_f64_e32 v[24:25], v[26:27], v[10:11]
	v_fma_f64 v[8:9], -v[8:9], v[24:25], v[26:27]
	s_wait_alu 0xfffd
	s_delay_alu instid0(VALU_DEP_1) | instskip(SKIP_2) | instid1(VALU_DEP_3)
	v_div_fmas_f64 v[8:9], v[8:9], v[10:11], v[24:25]
	v_fma_f64 v[10:11], v[2:3], v[6:7], v[0:1]
	v_fma_f64 v[0:1], -v[0:1], v[6:7], v[2:3]
	v_div_fixup_f64 v[4:5], v[8:9], v[4:5], 1.0
	s_delay_alu instid0(VALU_DEP_1) | instskip(NEXT) | instid1(VALU_DEP_3)
	v_mul_f64_e32 v[6:7], v[10:11], v[4:5]
	v_mul_f64_e32 v[8:9], v[0:1], v[4:5]
	s_branch .LBB239_50
.LBB239_60:                             ;   in Loop: Header=BB239_3 Depth=1
	s_wait_loadcnt_dscnt 0x0
	s_barrier_signal -1
	s_barrier_wait -1
	global_inv scope:SCOPE_SE
	s_and_saveexec_b32 s1, s48
	s_cbranch_execz .LBB239_2
; %bb.61:                               ;   in Loop: Header=BB239_3 Depth=1
	v_add_co_u32 v0, vcc_lo, v12, s14
	s_wait_alu 0xfffd
	v_add_co_ci_u32_e64 v1, null, s15, v13, vcc_lo
	v_mov_b32_e32 v2, v14
	s_delay_alu instid0(VALU_DEP_3) | instskip(SKIP_1) | instid1(VALU_DEP_3)
	v_add_co_u32 v0, vcc_lo, v0, s18
	s_wait_alu 0xfffd
	v_add_co_ci_u32_e64 v1, null, s19, v1, vcc_lo
	s_mov_b32 s3, s42
	v_add_co_u32 v0, vcc_lo, v0, v22
	s_wait_alu 0xfffd
	v_add_co_ci_u32_e64 v1, null, 0, v1, vcc_lo
.LBB239_62:                             ;   Parent Loop BB239_3 Depth=1
                                        ; =>  This Inner Loop Header: Depth=2
	ds_load_2addr_b64 v[3:6], v2 offset1:1
	v_add_nc_u32_e32 v2, 0x400, v2
	s_wait_alu 0xfffe
	s_add_co_i32 s3, s3, -1
	s_wait_alu 0xfffe
	s_cmp_lg_u32 s3, 0
	s_wait_dscnt 0x0
	flat_store_b128 v[0:1], v[3:6]
	v_add_co_u32 v0, vcc_lo, v0, s24
	s_wait_alu 0xfffd
	v_add_co_ci_u32_e64 v1, null, s25, v1, vcc_lo
	s_cbranch_scc1 .LBB239_62
	s_branch .LBB239_2
.LBB239_63:
	s_endpgm
	.section	.rodata,"a",@progbits
	.p2align	6, 0x0
	.amdhsa_kernel _ZL33rocblas_trsm_small_64_left_deviceI19rocblas_complex_numIdES1_PKPKS1_PKPS1_Li64EEv13rocblas_fill_18rocblas_operation_17rocblas_diagonal_iiT0_T1_lilT2_lili
		.amdhsa_group_segment_fixed_size 65536
		.amdhsa_private_segment_fixed_size 0
		.amdhsa_kernarg_size 368
		.amdhsa_user_sgpr_count 2
		.amdhsa_user_sgpr_dispatch_ptr 0
		.amdhsa_user_sgpr_queue_ptr 0
		.amdhsa_user_sgpr_kernarg_segment_ptr 1
		.amdhsa_user_sgpr_dispatch_id 0
		.amdhsa_user_sgpr_private_segment_size 0
		.amdhsa_wavefront_size32 1
		.amdhsa_uses_dynamic_stack 0
		.amdhsa_enable_private_segment 0
		.amdhsa_system_sgpr_workgroup_id_x 1
		.amdhsa_system_sgpr_workgroup_id_y 0
		.amdhsa_system_sgpr_workgroup_id_z 1
		.amdhsa_system_sgpr_workgroup_info 0
		.amdhsa_system_vgpr_workitem_id 0
		.amdhsa_next_free_vgpr 241
		.amdhsa_next_free_sgpr 52
		.amdhsa_reserve_vcc 1
		.amdhsa_float_round_mode_32 0
		.amdhsa_float_round_mode_16_64 0
		.amdhsa_float_denorm_mode_32 3
		.amdhsa_float_denorm_mode_16_64 3
		.amdhsa_fp16_overflow 0
		.amdhsa_workgroup_processor_mode 1
		.amdhsa_memory_ordered 1
		.amdhsa_forward_progress 1
		.amdhsa_inst_pref_size 34
		.amdhsa_round_robin_scheduling 0
		.amdhsa_exception_fp_ieee_invalid_op 0
		.amdhsa_exception_fp_denorm_src 0
		.amdhsa_exception_fp_ieee_div_zero 0
		.amdhsa_exception_fp_ieee_overflow 0
		.amdhsa_exception_fp_ieee_underflow 0
		.amdhsa_exception_fp_ieee_inexact 0
		.amdhsa_exception_int_div_zero 0
	.end_amdhsa_kernel
	.section	.text._ZL33rocblas_trsm_small_64_left_deviceI19rocblas_complex_numIdES1_PKPKS1_PKPS1_Li64EEv13rocblas_fill_18rocblas_operation_17rocblas_diagonal_iiT0_T1_lilT2_lili,"axG",@progbits,_ZL33rocblas_trsm_small_64_left_deviceI19rocblas_complex_numIdES1_PKPKS1_PKPS1_Li64EEv13rocblas_fill_18rocblas_operation_17rocblas_diagonal_iiT0_T1_lilT2_lili,comdat
.Lfunc_end239:
	.size	_ZL33rocblas_trsm_small_64_left_deviceI19rocblas_complex_numIdES1_PKPKS1_PKPS1_Li64EEv13rocblas_fill_18rocblas_operation_17rocblas_diagonal_iiT0_T1_lilT2_lili, .Lfunc_end239-_ZL33rocblas_trsm_small_64_left_deviceI19rocblas_complex_numIdES1_PKPKS1_PKPS1_Li64EEv13rocblas_fill_18rocblas_operation_17rocblas_diagonal_iiT0_T1_lilT2_lili
                                        ; -- End function
	.set _ZL33rocblas_trsm_small_64_left_deviceI19rocblas_complex_numIdES1_PKPKS1_PKPS1_Li64EEv13rocblas_fill_18rocblas_operation_17rocblas_diagonal_iiT0_T1_lilT2_lili.num_vgpr, 28
	.set _ZL33rocblas_trsm_small_64_left_deviceI19rocblas_complex_numIdES1_PKPKS1_PKPS1_Li64EEv13rocblas_fill_18rocblas_operation_17rocblas_diagonal_iiT0_T1_lilT2_lili.num_agpr, 0
	.set _ZL33rocblas_trsm_small_64_left_deviceI19rocblas_complex_numIdES1_PKPKS1_PKPS1_Li64EEv13rocblas_fill_18rocblas_operation_17rocblas_diagonal_iiT0_T1_lilT2_lili.numbered_sgpr, 52
	.set _ZL33rocblas_trsm_small_64_left_deviceI19rocblas_complex_numIdES1_PKPKS1_PKPS1_Li64EEv13rocblas_fill_18rocblas_operation_17rocblas_diagonal_iiT0_T1_lilT2_lili.num_named_barrier, 0
	.set _ZL33rocblas_trsm_small_64_left_deviceI19rocblas_complex_numIdES1_PKPKS1_PKPS1_Li64EEv13rocblas_fill_18rocblas_operation_17rocblas_diagonal_iiT0_T1_lilT2_lili.private_seg_size, 0
	.set _ZL33rocblas_trsm_small_64_left_deviceI19rocblas_complex_numIdES1_PKPKS1_PKPS1_Li64EEv13rocblas_fill_18rocblas_operation_17rocblas_diagonal_iiT0_T1_lilT2_lili.uses_vcc, 1
	.set _ZL33rocblas_trsm_small_64_left_deviceI19rocblas_complex_numIdES1_PKPKS1_PKPS1_Li64EEv13rocblas_fill_18rocblas_operation_17rocblas_diagonal_iiT0_T1_lilT2_lili.uses_flat_scratch, 0
	.set _ZL33rocblas_trsm_small_64_left_deviceI19rocblas_complex_numIdES1_PKPKS1_PKPS1_Li64EEv13rocblas_fill_18rocblas_operation_17rocblas_diagonal_iiT0_T1_lilT2_lili.has_dyn_sized_stack, 0
	.set _ZL33rocblas_trsm_small_64_left_deviceI19rocblas_complex_numIdES1_PKPKS1_PKPS1_Li64EEv13rocblas_fill_18rocblas_operation_17rocblas_diagonal_iiT0_T1_lilT2_lili.has_recursion, 0
	.set _ZL33rocblas_trsm_small_64_left_deviceI19rocblas_complex_numIdES1_PKPKS1_PKPS1_Li64EEv13rocblas_fill_18rocblas_operation_17rocblas_diagonal_iiT0_T1_lilT2_lili.has_indirect_call, 0
	.section	.AMDGPU.csdata,"",@progbits
; Kernel info:
; codeLenInByte = 4332
; TotalNumSgprs: 54
; NumVgprs: 28
; ScratchSize: 0
; MemoryBound: 0
; FloatMode: 240
; IeeeMode: 1
; LDSByteSize: 65536 bytes/workgroup (compile time only)
; SGPRBlocks: 0
; VGPRBlocks: 30
; NumSGPRsForWavesPerEU: 54
; NumVGPRsForWavesPerEU: 241
; Occupancy: 1
; WaveLimiterHint : 1
; COMPUTE_PGM_RSRC2:SCRATCH_EN: 0
; COMPUTE_PGM_RSRC2:USER_SGPR: 2
; COMPUTE_PGM_RSRC2:TRAP_HANDLER: 0
; COMPUTE_PGM_RSRC2:TGID_X_EN: 1
; COMPUTE_PGM_RSRC2:TGID_Y_EN: 0
; COMPUTE_PGM_RSRC2:TGID_Z_EN: 1
; COMPUTE_PGM_RSRC2:TIDIG_COMP_CNT: 0
	.section	.text._ZL34rocblas_trsm_small_64_right_deviceI19rocblas_complex_numIdES1_PKPKS1_PKPS1_Li64EEv13rocblas_fill_18rocblas_operation_17rocblas_diagonal_iiT0_T1_lilT2_lili,"axG",@progbits,_ZL34rocblas_trsm_small_64_right_deviceI19rocblas_complex_numIdES1_PKPKS1_PKPS1_Li64EEv13rocblas_fill_18rocblas_operation_17rocblas_diagonal_iiT0_T1_lilT2_lili,comdat
	.globl	_ZL34rocblas_trsm_small_64_right_deviceI19rocblas_complex_numIdES1_PKPKS1_PKPS1_Li64EEv13rocblas_fill_18rocblas_operation_17rocblas_diagonal_iiT0_T1_lilT2_lili ; -- Begin function _ZL34rocblas_trsm_small_64_right_deviceI19rocblas_complex_numIdES1_PKPKS1_PKPS1_Li64EEv13rocblas_fill_18rocblas_operation_17rocblas_diagonal_iiT0_T1_lilT2_lili
	.p2align	8
	.type	_ZL34rocblas_trsm_small_64_right_deviceI19rocblas_complex_numIdES1_PKPKS1_PKPS1_Li64EEv13rocblas_fill_18rocblas_operation_17rocblas_diagonal_iiT0_T1_lilT2_lili,@function
_ZL34rocblas_trsm_small_64_right_deviceI19rocblas_complex_numIdES1_PKPKS1_PKPS1_Li64EEv13rocblas_fill_18rocblas_operation_17rocblas_diagonal_iiT0_T1_lilT2_lili: ; @_ZL34rocblas_trsm_small_64_right_deviceI19rocblas_complex_numIdES1_PKPKS1_PKPS1_Li64EEv13rocblas_fill_18rocblas_operation_17rocblas_diagonal_iiT0_T1_lilT2_lili
; %bb.0:
	s_load_b32 s33, s[0:1], 0x68
	s_lshr_b32 s2, ttmp7, 16
	s_wait_kmcnt 0x0
	s_cmp_ge_u32 s2, s33
	s_cbranch_scc1 .LBB240_62
; %bb.1:
	s_clause 0x6
	s_load_b32 s20, s[0:1], 0x38
	s_load_b32 s26, s[0:1], 0x58
	s_load_b128 s[16:19], s[0:1], 0x0
	s_load_b32 s40, s[0:1], 0x10
	s_load_b32 s3, s[0:1], 0x70
	s_load_b128 s[12:15], s[0:1], 0x48
	s_load_b256 s[4:11], s[0:1], 0x18
	s_mov_b32 s24, ttmp9
	v_dual_mov_b32 v15, 0 :: v_dual_lshlrev_b32 v14, 4, v0
	v_lshlrev_b32_e32 v21, 4, v0
	s_wait_kmcnt 0x0
	s_ashr_i32 s21, s20, 31
	s_ashr_i32 s27, s26, 31
	s_cmp_lg_u32 s16, 0x7a
	s_cselect_b32 s1, -1, 0
	s_cmp_eq_u32 s17, 0x71
	s_cselect_b32 s0, -1, 0
	s_min_i32 s41, s40, 64
	s_lshl_b32 s22, ttmp9, 6
	s_add_co_i32 s3, s3, -1
	s_add_co_i32 s42, s41, -1
	s_sub_co_i32 s22, s19, s22
	s_cmp_ge_u32 ttmp9, s3
	v_lshl_or_b32 v1, s41, 10, v14
	s_cselect_b32 s3, s22, 64
	s_ashr_i32 s25, ttmp9, 31
	v_cmp_gt_i32_e32 vcc_lo, s3, v0
	s_lshl_b64 s[24:25], s[24:25], 10
	s_cmp_lg_u32 s17, 0x6f
	v_add_nc_u32_e32 v17, 0xfffffc00, v1
	s_cselect_b32 s17, -1, 0
	s_cmp_lg_u32 s16, 0x79
	s_mov_b32 s19, 0
	s_cselect_b32 s3, -1, 0
	s_or_b32 s43, s1, s17
	s_wait_alu 0xfffe
	s_or_b32 s44, s3, s17
	s_cmp_gt_i32 s40, 0
	v_cndmask_b32_e64 v16, 0, 1, s3
	s_cselect_b32 s1, -1, 0
	s_cmp_lg_u32 s18, 0x84
	v_cndmask_b32_e64 v18, 0, 1, s1
	s_cselect_b32 s45, -1, 0
	s_lshl_b64 s[14:15], s[14:15], 4
	s_and_b32 s46, vcc_lo, s1
	s_add_nc_u64 s[28:29], s[24:25], s[14:15]
	s_lshl_b64 s[10:11], s[10:11], 4
	v_add_co_u32 v1, s1, s28, v14
	s_wait_alu 0xf1ff
	v_add_co_ci_u32_e64 v19, null, s29, 0, s1
	s_add_nc_u64 s[22:23], s[20:21], 1
	v_or_b32_e32 v20, 8, v1
	s_lshl_b64 s[16:17], s[26:27], 4
	s_or_b32 s26, s10, 8
	s_mov_b32 s27, s11
	s_lshl_b64 s[28:29], s[20:21], 4
	s_branch .LBB240_3
.LBB240_2:                              ;   in Loop: Header=BB240_3 Depth=1
	s_wait_alu 0xfffe
	s_or_b32 exec_lo, exec_lo, s1
	s_add_co_i32 s2, s2, 0x10000
	s_wait_alu 0xfffe
	s_cmp_lt_u32 s2, s33
	s_cbranch_scc0 .LBB240_62
.LBB240_3:                              ; =>This Loop Header: Depth=1
                                        ;     Child Loop BB240_5 Depth 2
                                        ;     Child Loop BB240_13 Depth 2
                                        ;       Child Loop BB240_14 Depth 3
                                        ;     Child Loop BB240_51 Depth 2
                                        ;       Child Loop BB240_53 Depth 3
                                        ;     Child Loop BB240_41 Depth 2
                                        ;       Child Loop BB240_43 Depth 3
                                        ;     Child Loop BB240_32 Depth 2
                                        ;       Child Loop BB240_33 Depth 3
                                        ;     Child Loop BB240_61 Depth 2
	s_mov_b32 s3, s19
	s_wait_alu 0xfffe
	s_lshl_b64 s[30:31], s[2:3], 3
	s_delay_alu instid0(SALU_CYCLE_1)
	s_add_nc_u64 s[34:35], s[8:9], s[30:31]
	s_add_nc_u64 s[30:31], s[12:13], s[30:31]
	s_clause 0x1
	global_load_b64 v[0:1], v15, s[34:35]
	global_load_b64 v[12:13], v15, s[30:31]
	s_wait_loadcnt 0x1
	v_readfirstlane_b32 s34, v0
	v_readfirstlane_b32 s35, v1
	s_and_saveexec_b32 s1, s46
	s_cbranch_execz .LBB240_6
; %bb.4:                                ;   in Loop: Header=BB240_3 Depth=1
	s_wait_loadcnt 0x0
	v_add_co_u32 v0, vcc_lo, v12, v20
	s_wait_alu 0xfffd
	v_add_co_ci_u32_e64 v1, null, v13, v19, vcc_lo
	v_mov_b32_e32 v2, v14
	s_mov_b32 s3, s40
.LBB240_5:                              ;   Parent Loop BB240_3 Depth=1
                                        ; =>  This Inner Loop Header: Depth=2
	flat_load_b128 v[3:6], v[0:1] offset:-8
	v_add_co_u32 v0, vcc_lo, v0, s16
	s_wait_alu 0xfffd
	v_add_co_ci_u32_e64 v1, null, s17, v1, vcc_lo
	s_wait_alu 0xfffe
	s_add_co_i32 s3, s3, -1
	s_wait_alu 0xfffe
	s_cmp_lg_u32 s3, 0
	s_wait_loadcnt_dscnt 0x0
	v_mul_f64_e32 v[7:8], s[6:7], v[5:6]
	v_mul_f64_e32 v[9:10], s[4:5], v[5:6]
	s_delay_alu instid0(VALU_DEP_2) | instskip(NEXT) | instid1(VALU_DEP_2)
	v_fma_f64 v[5:6], s[4:5], v[3:4], -v[7:8]
	v_fma_f64 v[7:8], s[6:7], v[3:4], v[9:10]
	ds_store_b128 v2, v[5:8]
	v_add_nc_u32_e32 v2, 0x400, v2
	s_cbranch_scc1 .LBB240_5
.LBB240_6:                              ;   in Loop: Header=BB240_3 Depth=1
	s_wait_alu 0xfffe
	s_or_b32 exec_lo, exec_lo, s1
	s_add_nc_u64 s[30:31], s[34:35], s[10:11]
	s_and_b32 vcc_lo, exec_lo, s44
	s_mov_b32 s1, -1
	s_wait_loadcnt_dscnt 0x0
	s_barrier_signal -1
	s_barrier_wait -1
	global_inv scope:SCOPE_SE
	s_wait_alu 0xfffe
	s_cbranch_vccz .LBB240_27
; %bb.7:                                ;   in Loop: Header=BB240_3 Depth=1
	s_and_b32 vcc_lo, exec_lo, s43
	s_wait_alu 0xfffe
	s_cbranch_vccz .LBB240_24
; %bb.8:                                ;   in Loop: Header=BB240_3 Depth=1
	v_cmp_ne_u32_e32 vcc_lo, 1, v16
	v_cmp_ne_u32_e64 s1, 1, v18
	s_mov_b32 s3, -1
	s_cbranch_vccnz .LBB240_21
; %bb.9:                                ;   in Loop: Header=BB240_3 Depth=1
	s_and_b32 vcc_lo, exec_lo, s1
	s_wait_alu 0xfffe
	s_cbranch_vccnz .LBB240_20
; %bb.10:                               ;   in Loop: Header=BB240_3 Depth=1
	s_add_nc_u64 s[36:37], s[34:35], s[26:27]
	s_mov_b32 s18, 0
	s_branch .LBB240_13
.LBB240_11:                             ;   in Loop: Header=BB240_13 Depth=2
	s_wait_alu 0xfffe
	s_or_b32 exec_lo, exec_lo, s1
	ds_store_b128 v22, v[6:9]
.LBB240_12:                             ;   in Loop: Header=BB240_13 Depth=2
	s_add_co_i32 s18, s18, 1
	s_add_nc_u64 s[36:37], s[36:37], 16
	s_cmp_lg_u32 s18, s41
	s_cbranch_scc0 .LBB240_20
.LBB240_13:                             ;   Parent Loop BB240_3 Depth=1
                                        ; =>  This Loop Header: Depth=2
                                        ;       Child Loop BB240_14 Depth 3
	s_lshl_b32 s1, s18, 10
	v_mov_b32_e32 v4, v14
	s_wait_alu 0xfffe
	v_or_b32_e32 v0, s1, v14
	s_cmp_eq_u32 s18, 0
	s_mov_b64 s[38:39], s[36:37]
	s_mov_b32 s3, s18
	ds_load_b128 v[0:3], v0
	s_cbranch_scc1 .LBB240_15
.LBB240_14:                             ;   Parent Loop BB240_3 Depth=1
                                        ;     Parent Loop BB240_13 Depth=2
                                        ; =>    This Inner Loop Header: Depth=3
	s_wait_alu 0xfffe
	v_dual_mov_b32 v5, s38 :: v_dual_mov_b32 v6, s39
	ds_load_b128 v[22:25], v4
	v_add_nc_u32_e32 v4, 0x400, v4
	s_add_co_i32 s3, s3, -1
	s_add_nc_u64 s[38:39], s[38:39], s[28:29]
	flat_load_b128 v[5:8], v[5:6] offset:-8
	s_wait_alu 0xfffe
	s_cmp_eq_u32 s3, 0
	s_wait_loadcnt_dscnt 0x0
	v_xor_b32_e32 v9, 0x80000000, v8
	s_delay_alu instid0(VALU_DEP_1) | instskip(SKIP_1) | instid1(VALU_DEP_2)
	v_cndmask_b32_e64 v8, v8, v9, s0
	v_mul_f64_e32 v[9:10], v[5:6], v[24:25]
	v_mul_f64_e32 v[24:25], v[7:8], v[24:25]
	s_delay_alu instid0(VALU_DEP_2) | instskip(NEXT) | instid1(VALU_DEP_2)
	v_fma_f64 v[7:8], v[7:8], v[22:23], v[9:10]
	v_fma_f64 v[5:6], v[5:6], v[22:23], -v[24:25]
	s_delay_alu instid0(VALU_DEP_2) | instskip(NEXT) | instid1(VALU_DEP_2)
	v_add_f64_e64 v[2:3], v[2:3], -v[7:8]
	v_add_f64_e64 v[0:1], v[0:1], -v[5:6]
	s_cbranch_scc0 .LBB240_14
.LBB240_15:                             ;   in Loop: Header=BB240_13 Depth=2
	v_add_nc_u32_e32 v22, s1, v14
	s_and_b32 vcc_lo, exec_lo, s45
	s_wait_dscnt 0x0
	ds_store_b128 v22, v[0:3]
	s_wait_alu 0xfffe
	s_cbranch_vccz .LBB240_12
; %bb.16:                               ;   in Loop: Header=BB240_13 Depth=2
	s_mul_u64 s[38:39], s[22:23], s[18:19]
	s_wait_alu 0xfffe
	s_lshl_b64 s[38:39], s[38:39], 4
	s_wait_alu 0xfffe
	s_add_nc_u64 s[38:39], s[30:31], s[38:39]
	s_wait_alu 0xfffe
	v_dual_mov_b32 v4, s38 :: v_dual_mov_b32 v5, s39
	flat_load_b128 v[4:7], v[4:5]
	s_wait_loadcnt_dscnt 0x0
	v_cmp_ngt_f64_e64 s1, |v[4:5]|, |v[6:7]|
	v_xor_b32_e32 v8, 0x80000000, v7
	v_mov_b32_e32 v10, v6
	s_delay_alu instid0(VALU_DEP_2)
	v_cndmask_b32_e64 v11, v7, v8, s0
                                        ; implicit-def: $vgpr8_vgpr9
	s_and_saveexec_b32 s3, s1
	s_wait_alu 0xfffe
	s_xor_b32 s1, exec_lo, s3
	s_cbranch_execz .LBB240_18
; %bb.17:                               ;   in Loop: Header=BB240_13 Depth=2
	v_div_scale_f64 v[6:7], null, v[10:11], v[10:11], v[4:5]
	v_div_scale_f64 v[25:26], vcc_lo, v[4:5], v[10:11], v[4:5]
	s_delay_alu instid0(VALU_DEP_2) | instskip(NEXT) | instid1(TRANS32_DEP_1)
	v_rcp_f64_e32 v[8:9], v[6:7]
	v_fma_f64 v[23:24], -v[6:7], v[8:9], 1.0
	s_delay_alu instid0(VALU_DEP_1) | instskip(NEXT) | instid1(VALU_DEP_1)
	v_fma_f64 v[8:9], v[8:9], v[23:24], v[8:9]
	v_fma_f64 v[23:24], -v[6:7], v[8:9], 1.0
	s_delay_alu instid0(VALU_DEP_1) | instskip(NEXT) | instid1(VALU_DEP_1)
	v_fma_f64 v[8:9], v[8:9], v[23:24], v[8:9]
	v_mul_f64_e32 v[23:24], v[25:26], v[8:9]
	s_delay_alu instid0(VALU_DEP_1) | instskip(SKIP_1) | instid1(VALU_DEP_1)
	v_fma_f64 v[6:7], -v[6:7], v[23:24], v[25:26]
	s_wait_alu 0xfffd
	v_div_fmas_f64 v[6:7], v[6:7], v[8:9], v[23:24]
	s_delay_alu instid0(VALU_DEP_1) | instskip(NEXT) | instid1(VALU_DEP_1)
	v_div_fixup_f64 v[6:7], v[6:7], v[10:11], v[4:5]
	v_fma_f64 v[4:5], v[4:5], v[6:7], v[10:11]
	s_delay_alu instid0(VALU_DEP_1) | instskip(SKIP_1) | instid1(VALU_DEP_2)
	v_div_scale_f64 v[8:9], null, v[4:5], v[4:5], 1.0
	v_div_scale_f64 v[25:26], vcc_lo, 1.0, v[4:5], 1.0
	v_rcp_f64_e32 v[10:11], v[8:9]
	s_delay_alu instid0(TRANS32_DEP_1) | instskip(NEXT) | instid1(VALU_DEP_1)
	v_fma_f64 v[23:24], -v[8:9], v[10:11], 1.0
	v_fma_f64 v[10:11], v[10:11], v[23:24], v[10:11]
	s_delay_alu instid0(VALU_DEP_1) | instskip(NEXT) | instid1(VALU_DEP_1)
	v_fma_f64 v[23:24], -v[8:9], v[10:11], 1.0
	v_fma_f64 v[10:11], v[10:11], v[23:24], v[10:11]
	s_delay_alu instid0(VALU_DEP_1) | instskip(NEXT) | instid1(VALU_DEP_1)
	v_mul_f64_e32 v[23:24], v[25:26], v[10:11]
	v_fma_f64 v[8:9], -v[8:9], v[23:24], v[25:26]
	s_wait_alu 0xfffd
	s_delay_alu instid0(VALU_DEP_1) | instskip(SKIP_2) | instid1(VALU_DEP_3)
	v_div_fmas_f64 v[8:9], v[8:9], v[10:11], v[23:24]
	v_fma_f64 v[10:11], v[0:1], v[6:7], v[2:3]
	v_fma_f64 v[0:1], v[2:3], v[6:7], -v[0:1]
	v_div_fixup_f64 v[4:5], v[8:9], v[4:5], 1.0
	s_delay_alu instid0(VALU_DEP_1) | instskip(NEXT) | instid1(VALU_DEP_3)
	v_mul_f64_e32 v[6:7], v[10:11], v[4:5]
	v_mul_f64_e32 v[8:9], v[0:1], v[4:5]
                                        ; implicit-def: $vgpr4_vgpr5
                                        ; implicit-def: $vgpr10_vgpr11
                                        ; implicit-def: $vgpr2_vgpr3
.LBB240_18:                             ;   in Loop: Header=BB240_13 Depth=2
	s_wait_alu 0xfffe
	s_and_not1_saveexec_b32 s1, s1
	s_cbranch_execz .LBB240_11
; %bb.19:                               ;   in Loop: Header=BB240_13 Depth=2
	v_div_scale_f64 v[6:7], null, v[4:5], v[4:5], v[10:11]
	v_div_scale_f64 v[25:26], vcc_lo, v[10:11], v[4:5], v[10:11]
	s_delay_alu instid0(VALU_DEP_2) | instskip(NEXT) | instid1(TRANS32_DEP_1)
	v_rcp_f64_e32 v[8:9], v[6:7]
	v_fma_f64 v[23:24], -v[6:7], v[8:9], 1.0
	s_delay_alu instid0(VALU_DEP_1) | instskip(NEXT) | instid1(VALU_DEP_1)
	v_fma_f64 v[8:9], v[8:9], v[23:24], v[8:9]
	v_fma_f64 v[23:24], -v[6:7], v[8:9], 1.0
	s_delay_alu instid0(VALU_DEP_1) | instskip(NEXT) | instid1(VALU_DEP_1)
	v_fma_f64 v[8:9], v[8:9], v[23:24], v[8:9]
	v_mul_f64_e32 v[23:24], v[25:26], v[8:9]
	s_delay_alu instid0(VALU_DEP_1) | instskip(SKIP_1) | instid1(VALU_DEP_1)
	v_fma_f64 v[6:7], -v[6:7], v[23:24], v[25:26]
	s_wait_alu 0xfffd
	v_div_fmas_f64 v[6:7], v[6:7], v[8:9], v[23:24]
	s_delay_alu instid0(VALU_DEP_1) | instskip(NEXT) | instid1(VALU_DEP_1)
	v_div_fixup_f64 v[6:7], v[6:7], v[4:5], v[10:11]
	v_fma_f64 v[4:5], v[10:11], v[6:7], v[4:5]
	s_delay_alu instid0(VALU_DEP_1) | instskip(SKIP_1) | instid1(VALU_DEP_2)
	v_div_scale_f64 v[8:9], null, v[4:5], v[4:5], 1.0
	v_div_scale_f64 v[25:26], vcc_lo, 1.0, v[4:5], 1.0
	v_rcp_f64_e32 v[10:11], v[8:9]
	s_delay_alu instid0(TRANS32_DEP_1) | instskip(NEXT) | instid1(VALU_DEP_1)
	v_fma_f64 v[23:24], -v[8:9], v[10:11], 1.0
	v_fma_f64 v[10:11], v[10:11], v[23:24], v[10:11]
	s_delay_alu instid0(VALU_DEP_1) | instskip(NEXT) | instid1(VALU_DEP_1)
	v_fma_f64 v[23:24], -v[8:9], v[10:11], 1.0
	v_fma_f64 v[10:11], v[10:11], v[23:24], v[10:11]
	s_delay_alu instid0(VALU_DEP_1) | instskip(NEXT) | instid1(VALU_DEP_1)
	v_mul_f64_e32 v[23:24], v[25:26], v[10:11]
	v_fma_f64 v[8:9], -v[8:9], v[23:24], v[25:26]
	s_wait_alu 0xfffd
	s_delay_alu instid0(VALU_DEP_1) | instskip(SKIP_2) | instid1(VALU_DEP_3)
	v_div_fmas_f64 v[8:9], v[8:9], v[10:11], v[23:24]
	v_fma_f64 v[10:11], v[2:3], v[6:7], v[0:1]
	v_fma_f64 v[0:1], -v[0:1], v[6:7], v[2:3]
	v_div_fixup_f64 v[4:5], v[8:9], v[4:5], 1.0
	s_delay_alu instid0(VALU_DEP_1) | instskip(NEXT) | instid1(VALU_DEP_3)
	v_mul_f64_e32 v[6:7], v[10:11], v[4:5]
	v_mul_f64_e32 v[8:9], v[0:1], v[4:5]
	s_branch .LBB240_11
.LBB240_20:                             ;   in Loop: Header=BB240_3 Depth=1
	s_mov_b32 s3, 0
.LBB240_21:                             ;   in Loop: Header=BB240_3 Depth=1
	s_wait_alu 0xfffe
	s_and_not1_b32 vcc_lo, exec_lo, s3
	s_wait_alu 0xfffe
	s_cbranch_vccnz .LBB240_23
; %bb.22:                               ;   in Loop: Header=BB240_3 Depth=1
	v_cmp_ne_u32_e32 vcc_lo, 1, v18
	s_mov_b32 s36, s42
	s_cbranch_vccz .LBB240_51
.LBB240_23:                             ;   in Loop: Header=BB240_3 Depth=1
	s_mov_b32 s1, 0
.LBB240_24:                             ;   in Loop: Header=BB240_3 Depth=1
	s_wait_alu 0xfffe
	s_and_not1_b32 vcc_lo, exec_lo, s1
	s_wait_alu 0xfffe
	s_cbranch_vccnz .LBB240_26
; %bb.25:                               ;   in Loop: Header=BB240_3 Depth=1
	v_cmp_ne_u32_e32 vcc_lo, 1, v18
	s_mov_b32 s36, s42
	s_cbranch_vccz .LBB240_41
.LBB240_26:                             ;   in Loop: Header=BB240_3 Depth=1
	s_mov_b32 s1, 0
.LBB240_27:                             ;   in Loop: Header=BB240_3 Depth=1
	s_wait_alu 0xfffe
	s_and_not1_b32 vcc_lo, exec_lo, s1
	s_wait_alu 0xfffe
	s_cbranch_vccnz .LBB240_59
; %bb.28:                               ;   in Loop: Header=BB240_3 Depth=1
	v_cmp_ne_u32_e32 vcc_lo, 1, v18
	s_cbranch_vccnz .LBB240_59
; %bb.29:                               ;   in Loop: Header=BB240_3 Depth=1
	s_add_nc_u64 s[34:35], s[34:35], s[26:27]
	s_mov_b32 s18, 0
	s_branch .LBB240_32
.LBB240_30:                             ;   in Loop: Header=BB240_32 Depth=2
	s_wait_alu 0xfffe
	s_or_b32 exec_lo, exec_lo, s1
	ds_store_b128 v22, v[8:11]
.LBB240_31:                             ;   in Loop: Header=BB240_32 Depth=2
	s_add_co_i32 s18, s18, 1
	s_add_nc_u64 s[34:35], s[34:35], s[28:29]
	s_cmp_eq_u32 s18, s41
	s_cbranch_scc1 .LBB240_59
.LBB240_32:                             ;   Parent Loop BB240_3 Depth=1
                                        ; =>  This Loop Header: Depth=2
                                        ;       Child Loop BB240_33 Depth 3
	s_lshl_b32 s1, s18, 10
	v_mov_b32_e32 v4, v14
	s_wait_alu 0xfffe
	v_or_b32_e32 v0, s1, v14
	s_cmp_eq_u32 s18, 0
	s_mov_b64 s[36:37], s[34:35]
	s_mov_b32 s3, s18
	ds_load_b128 v[0:3], v0
	s_cbranch_scc1 .LBB240_34
.LBB240_33:                             ;   Parent Loop BB240_3 Depth=1
                                        ;     Parent Loop BB240_32 Depth=2
                                        ; =>    This Inner Loop Header: Depth=3
	s_wait_alu 0xfffe
	v_dual_mov_b32 v5, s36 :: v_dual_mov_b32 v6, s37
	ds_load_b128 v[22:25], v4
	v_add_nc_u32_e32 v4, 0x400, v4
	s_add_co_i32 s3, s3, -1
	s_add_nc_u64 s[36:37], s[36:37], 16
	flat_load_b128 v[5:8], v[5:6] offset:-8
	s_wait_alu 0xfffe
	s_cmp_eq_u32 s3, 0
	s_wait_loadcnt_dscnt 0x0
	v_mul_f64_e32 v[9:10], v[7:8], v[24:25]
	v_mul_f64_e32 v[24:25], v[5:6], v[24:25]
	s_delay_alu instid0(VALU_DEP_2) | instskip(NEXT) | instid1(VALU_DEP_2)
	v_fma_f64 v[5:6], v[5:6], v[22:23], -v[9:10]
	v_fma_f64 v[7:8], v[7:8], v[22:23], v[24:25]
	s_delay_alu instid0(VALU_DEP_2) | instskip(NEXT) | instid1(VALU_DEP_2)
	v_add_f64_e64 v[0:1], v[0:1], -v[5:6]
	v_add_f64_e64 v[2:3], v[2:3], -v[7:8]
	s_cbranch_scc0 .LBB240_33
.LBB240_34:                             ;   in Loop: Header=BB240_32 Depth=2
	v_add_nc_u32_e32 v22, s1, v14
	s_and_b32 vcc_lo, exec_lo, s45
	s_wait_dscnt 0x0
	ds_store_b128 v22, v[0:3]
	s_wait_alu 0xfffe
	s_cbranch_vccz .LBB240_31
; %bb.35:                               ;   in Loop: Header=BB240_32 Depth=2
	s_mul_u64 s[36:37], s[22:23], s[18:19]
                                        ; implicit-def: $vgpr10_vgpr11
	s_wait_alu 0xfffe
	s_lshl_b64 s[36:37], s[36:37], 4
	s_wait_alu 0xfffe
	s_add_nc_u64 s[36:37], s[30:31], s[36:37]
	s_wait_alu 0xfffe
	v_dual_mov_b32 v4, s36 :: v_dual_mov_b32 v5, s37
	flat_load_b128 v[4:7], v[4:5]
	s_wait_loadcnt_dscnt 0x0
	v_cmp_ngt_f64_e64 s1, |v[4:5]|, |v[6:7]|
	s_and_saveexec_b32 s3, s1
	s_wait_alu 0xfffe
	s_xor_b32 s1, exec_lo, s3
	s_cbranch_execz .LBB240_37
; %bb.36:                               ;   in Loop: Header=BB240_32 Depth=2
	v_div_scale_f64 v[8:9], null, v[6:7], v[6:7], v[4:5]
	v_div_scale_f64 v[25:26], vcc_lo, v[4:5], v[6:7], v[4:5]
	s_delay_alu instid0(VALU_DEP_2) | instskip(NEXT) | instid1(TRANS32_DEP_1)
	v_rcp_f64_e32 v[10:11], v[8:9]
	v_fma_f64 v[23:24], -v[8:9], v[10:11], 1.0
	s_delay_alu instid0(VALU_DEP_1) | instskip(NEXT) | instid1(VALU_DEP_1)
	v_fma_f64 v[10:11], v[10:11], v[23:24], v[10:11]
	v_fma_f64 v[23:24], -v[8:9], v[10:11], 1.0
	s_delay_alu instid0(VALU_DEP_1) | instskip(NEXT) | instid1(VALU_DEP_1)
	v_fma_f64 v[10:11], v[10:11], v[23:24], v[10:11]
	v_mul_f64_e32 v[23:24], v[25:26], v[10:11]
	s_delay_alu instid0(VALU_DEP_1) | instskip(SKIP_1) | instid1(VALU_DEP_1)
	v_fma_f64 v[8:9], -v[8:9], v[23:24], v[25:26]
	s_wait_alu 0xfffd
	v_div_fmas_f64 v[8:9], v[8:9], v[10:11], v[23:24]
	s_delay_alu instid0(VALU_DEP_1) | instskip(NEXT) | instid1(VALU_DEP_1)
	v_div_fixup_f64 v[8:9], v[8:9], v[6:7], v[4:5]
	v_fma_f64 v[4:5], v[4:5], v[8:9], v[6:7]
	s_delay_alu instid0(VALU_DEP_1) | instskip(SKIP_1) | instid1(VALU_DEP_2)
	v_div_scale_f64 v[6:7], null, v[4:5], v[4:5], 1.0
	v_div_scale_f64 v[25:26], vcc_lo, 1.0, v[4:5], 1.0
	v_rcp_f64_e32 v[10:11], v[6:7]
	s_delay_alu instid0(TRANS32_DEP_1) | instskip(NEXT) | instid1(VALU_DEP_1)
	v_fma_f64 v[23:24], -v[6:7], v[10:11], 1.0
	v_fma_f64 v[10:11], v[10:11], v[23:24], v[10:11]
	s_delay_alu instid0(VALU_DEP_1) | instskip(NEXT) | instid1(VALU_DEP_1)
	v_fma_f64 v[23:24], -v[6:7], v[10:11], 1.0
	v_fma_f64 v[10:11], v[10:11], v[23:24], v[10:11]
	s_delay_alu instid0(VALU_DEP_1) | instskip(NEXT) | instid1(VALU_DEP_1)
	v_mul_f64_e32 v[23:24], v[25:26], v[10:11]
	v_fma_f64 v[6:7], -v[6:7], v[23:24], v[25:26]
	s_wait_alu 0xfffd
	s_delay_alu instid0(VALU_DEP_1) | instskip(SKIP_2) | instid1(VALU_DEP_3)
	v_div_fmas_f64 v[6:7], v[6:7], v[10:11], v[23:24]
	v_fma_f64 v[10:11], v[0:1], v[8:9], v[2:3]
	v_fma_f64 v[0:1], v[2:3], v[8:9], -v[0:1]
	v_div_fixup_f64 v[4:5], v[6:7], v[4:5], 1.0
	s_delay_alu instid0(VALU_DEP_1) | instskip(NEXT) | instid1(VALU_DEP_3)
	v_mul_f64_e32 v[8:9], v[10:11], v[4:5]
	v_mul_f64_e32 v[10:11], v[0:1], v[4:5]
                                        ; implicit-def: $vgpr4_vgpr5
                                        ; implicit-def: $vgpr2_vgpr3
.LBB240_37:                             ;   in Loop: Header=BB240_32 Depth=2
	s_wait_alu 0xfffe
	s_and_not1_saveexec_b32 s1, s1
	s_cbranch_execz .LBB240_30
; %bb.38:                               ;   in Loop: Header=BB240_32 Depth=2
	v_div_scale_f64 v[8:9], null, v[4:5], v[4:5], v[6:7]
	v_div_scale_f64 v[25:26], vcc_lo, v[6:7], v[4:5], v[6:7]
	s_delay_alu instid0(VALU_DEP_2) | instskip(NEXT) | instid1(TRANS32_DEP_1)
	v_rcp_f64_e32 v[10:11], v[8:9]
	v_fma_f64 v[23:24], -v[8:9], v[10:11], 1.0
	s_delay_alu instid0(VALU_DEP_1) | instskip(NEXT) | instid1(VALU_DEP_1)
	v_fma_f64 v[10:11], v[10:11], v[23:24], v[10:11]
	v_fma_f64 v[23:24], -v[8:9], v[10:11], 1.0
	s_delay_alu instid0(VALU_DEP_1) | instskip(NEXT) | instid1(VALU_DEP_1)
	v_fma_f64 v[10:11], v[10:11], v[23:24], v[10:11]
	v_mul_f64_e32 v[23:24], v[25:26], v[10:11]
	s_delay_alu instid0(VALU_DEP_1) | instskip(SKIP_1) | instid1(VALU_DEP_1)
	v_fma_f64 v[8:9], -v[8:9], v[23:24], v[25:26]
	s_wait_alu 0xfffd
	v_div_fmas_f64 v[8:9], v[8:9], v[10:11], v[23:24]
	s_delay_alu instid0(VALU_DEP_1) | instskip(NEXT) | instid1(VALU_DEP_1)
	v_div_fixup_f64 v[8:9], v[8:9], v[4:5], v[6:7]
	v_fma_f64 v[4:5], v[6:7], v[8:9], v[4:5]
	s_delay_alu instid0(VALU_DEP_1) | instskip(SKIP_1) | instid1(VALU_DEP_2)
	v_div_scale_f64 v[6:7], null, v[4:5], v[4:5], 1.0
	v_div_scale_f64 v[25:26], vcc_lo, 1.0, v[4:5], 1.0
	v_rcp_f64_e32 v[10:11], v[6:7]
	s_delay_alu instid0(TRANS32_DEP_1) | instskip(NEXT) | instid1(VALU_DEP_1)
	v_fma_f64 v[23:24], -v[6:7], v[10:11], 1.0
	v_fma_f64 v[10:11], v[10:11], v[23:24], v[10:11]
	s_delay_alu instid0(VALU_DEP_1) | instskip(NEXT) | instid1(VALU_DEP_1)
	v_fma_f64 v[23:24], -v[6:7], v[10:11], 1.0
	v_fma_f64 v[10:11], v[10:11], v[23:24], v[10:11]
	s_delay_alu instid0(VALU_DEP_1) | instskip(NEXT) | instid1(VALU_DEP_1)
	v_mul_f64_e32 v[23:24], v[25:26], v[10:11]
	v_fma_f64 v[6:7], -v[6:7], v[23:24], v[25:26]
	s_wait_alu 0xfffd
	s_delay_alu instid0(VALU_DEP_1) | instskip(SKIP_2) | instid1(VALU_DEP_3)
	v_div_fmas_f64 v[6:7], v[6:7], v[10:11], v[23:24]
	v_fma_f64 v[10:11], v[2:3], v[8:9], v[0:1]
	v_fma_f64 v[0:1], -v[0:1], v[8:9], v[2:3]
	v_div_fixup_f64 v[4:5], v[6:7], v[4:5], 1.0
	s_delay_alu instid0(VALU_DEP_1) | instskip(NEXT) | instid1(VALU_DEP_3)
	v_mul_f64_e32 v[8:9], v[10:11], v[4:5]
	v_mul_f64_e32 v[10:11], v[0:1], v[4:5]
	s_branch .LBB240_30
.LBB240_39:                             ;   in Loop: Header=BB240_41 Depth=2
	s_wait_alu 0xfffe
	s_or_b32 exec_lo, exec_lo, s1
	ds_store_b128 v22, v[8:11]
.LBB240_40:                             ;   in Loop: Header=BB240_41 Depth=2
	s_add_co_i32 s1, s36, -1
	s_cmp_lt_i32 s36, 1
	s_wait_alu 0xfffe
	s_mov_b32 s36, s1
	s_cbranch_scc1 .LBB240_26
.LBB240_41:                             ;   Parent Loop BB240_3 Depth=1
                                        ; =>  This Loop Header: Depth=2
                                        ;       Child Loop BB240_43 Depth 3
	s_wait_alu 0xfffe
	s_lshl_b32 s1, s36, 10
	s_cmp_le_i32 s42, s36
	s_wait_alu 0xfffe
	v_or_b32_e32 v0, s1, v14
	ds_load_b128 v[0:3], v0
	s_cbranch_scc1 .LBB240_44
; %bb.42:                               ;   in Loop: Header=BB240_41 Depth=2
	s_mov_b32 s37, s19
	v_mov_b32_e32 v4, v17
	s_wait_alu 0xfffe
	s_mul_u64 s[38:39], s[36:37], s[20:21]
	s_mov_b32 s18, s42
	s_wait_alu 0xfffe
	s_lshl_b64 s[38:39], s[38:39], 4
	s_wait_alu 0xfffe
	s_add_nc_u64 s[38:39], s[30:31], s[38:39]
.LBB240_43:                             ;   Parent Loop BB240_3 Depth=1
                                        ;     Parent Loop BB240_41 Depth=2
                                        ; =>    This Inner Loop Header: Depth=3
	s_lshl_b64 s[48:49], s[18:19], 4
	ds_load_b128 v[22:25], v4
	s_wait_alu 0xfffe
	s_add_nc_u64 s[48:49], s[38:39], s[48:49]
	s_wait_alu 0xfffe
	v_dual_mov_b32 v5, s48 :: v_dual_add_nc_u32 v4, 0xfffffc00, v4
	v_mov_b32_e32 v6, s49
	s_add_co_i32 s18, s18, -1
	s_delay_alu instid0(SALU_CYCLE_1) | instskip(SKIP_4) | instid1(VALU_DEP_2)
	s_cmp_le_i32 s18, s36
	flat_load_b128 v[5:8], v[5:6]
	s_wait_loadcnt_dscnt 0x0
	v_mul_f64_e32 v[9:10], v[7:8], v[24:25]
	v_mul_f64_e32 v[24:25], v[5:6], v[24:25]
	v_fma_f64 v[5:6], v[5:6], v[22:23], -v[9:10]
	s_delay_alu instid0(VALU_DEP_2) | instskip(NEXT) | instid1(VALU_DEP_2)
	v_fma_f64 v[7:8], v[7:8], v[22:23], v[24:25]
	v_add_f64_e64 v[0:1], v[0:1], -v[5:6]
	s_delay_alu instid0(VALU_DEP_2)
	v_add_f64_e64 v[2:3], v[2:3], -v[7:8]
	s_cbranch_scc0 .LBB240_43
.LBB240_44:                             ;   in Loop: Header=BB240_41 Depth=2
	v_add_nc_u32_e32 v22, s1, v14
	s_and_b32 vcc_lo, exec_lo, s45
	s_wait_dscnt 0x0
	ds_store_b128 v22, v[0:3]
	s_wait_alu 0xfffe
	s_cbranch_vccz .LBB240_40
; %bb.45:                               ;   in Loop: Header=BB240_41 Depth=2
	s_mov_b32 s37, s19
                                        ; implicit-def: $vgpr10_vgpr11
	s_wait_alu 0xfffe
	s_mul_u64 s[38:39], s[22:23], s[36:37]
	s_wait_alu 0xfffe
	s_lshl_b64 s[38:39], s[38:39], 4
	s_wait_alu 0xfffe
	s_add_nc_u64 s[38:39], s[30:31], s[38:39]
	s_wait_alu 0xfffe
	v_dual_mov_b32 v4, s38 :: v_dual_mov_b32 v5, s39
	flat_load_b128 v[4:7], v[4:5]
	s_wait_loadcnt_dscnt 0x0
	v_cmp_ngt_f64_e64 s1, |v[4:5]|, |v[6:7]|
	s_and_saveexec_b32 s3, s1
	s_wait_alu 0xfffe
	s_xor_b32 s1, exec_lo, s3
	s_cbranch_execz .LBB240_47
; %bb.46:                               ;   in Loop: Header=BB240_41 Depth=2
	v_div_scale_f64 v[8:9], null, v[6:7], v[6:7], v[4:5]
	v_div_scale_f64 v[25:26], vcc_lo, v[4:5], v[6:7], v[4:5]
	s_delay_alu instid0(VALU_DEP_2) | instskip(NEXT) | instid1(TRANS32_DEP_1)
	v_rcp_f64_e32 v[10:11], v[8:9]
	v_fma_f64 v[23:24], -v[8:9], v[10:11], 1.0
	s_delay_alu instid0(VALU_DEP_1) | instskip(NEXT) | instid1(VALU_DEP_1)
	v_fma_f64 v[10:11], v[10:11], v[23:24], v[10:11]
	v_fma_f64 v[23:24], -v[8:9], v[10:11], 1.0
	s_delay_alu instid0(VALU_DEP_1) | instskip(NEXT) | instid1(VALU_DEP_1)
	v_fma_f64 v[10:11], v[10:11], v[23:24], v[10:11]
	v_mul_f64_e32 v[23:24], v[25:26], v[10:11]
	s_delay_alu instid0(VALU_DEP_1) | instskip(SKIP_1) | instid1(VALU_DEP_1)
	v_fma_f64 v[8:9], -v[8:9], v[23:24], v[25:26]
	s_wait_alu 0xfffd
	v_div_fmas_f64 v[8:9], v[8:9], v[10:11], v[23:24]
	s_delay_alu instid0(VALU_DEP_1) | instskip(NEXT) | instid1(VALU_DEP_1)
	v_div_fixup_f64 v[8:9], v[8:9], v[6:7], v[4:5]
	v_fma_f64 v[4:5], v[4:5], v[8:9], v[6:7]
	s_delay_alu instid0(VALU_DEP_1) | instskip(SKIP_1) | instid1(VALU_DEP_2)
	v_div_scale_f64 v[6:7], null, v[4:5], v[4:5], 1.0
	v_div_scale_f64 v[25:26], vcc_lo, 1.0, v[4:5], 1.0
	v_rcp_f64_e32 v[10:11], v[6:7]
	s_delay_alu instid0(TRANS32_DEP_1) | instskip(NEXT) | instid1(VALU_DEP_1)
	v_fma_f64 v[23:24], -v[6:7], v[10:11], 1.0
	v_fma_f64 v[10:11], v[10:11], v[23:24], v[10:11]
	s_delay_alu instid0(VALU_DEP_1) | instskip(NEXT) | instid1(VALU_DEP_1)
	v_fma_f64 v[23:24], -v[6:7], v[10:11], 1.0
	v_fma_f64 v[10:11], v[10:11], v[23:24], v[10:11]
	s_delay_alu instid0(VALU_DEP_1) | instskip(NEXT) | instid1(VALU_DEP_1)
	v_mul_f64_e32 v[23:24], v[25:26], v[10:11]
	v_fma_f64 v[6:7], -v[6:7], v[23:24], v[25:26]
	s_wait_alu 0xfffd
	s_delay_alu instid0(VALU_DEP_1) | instskip(SKIP_2) | instid1(VALU_DEP_3)
	v_div_fmas_f64 v[6:7], v[6:7], v[10:11], v[23:24]
	v_fma_f64 v[10:11], v[0:1], v[8:9], v[2:3]
	v_fma_f64 v[0:1], v[2:3], v[8:9], -v[0:1]
	v_div_fixup_f64 v[4:5], v[6:7], v[4:5], 1.0
	s_delay_alu instid0(VALU_DEP_1) | instskip(NEXT) | instid1(VALU_DEP_3)
	v_mul_f64_e32 v[8:9], v[10:11], v[4:5]
	v_mul_f64_e32 v[10:11], v[0:1], v[4:5]
                                        ; implicit-def: $vgpr4_vgpr5
                                        ; implicit-def: $vgpr2_vgpr3
.LBB240_47:                             ;   in Loop: Header=BB240_41 Depth=2
	s_wait_alu 0xfffe
	s_and_not1_saveexec_b32 s1, s1
	s_cbranch_execz .LBB240_39
; %bb.48:                               ;   in Loop: Header=BB240_41 Depth=2
	v_div_scale_f64 v[8:9], null, v[4:5], v[4:5], v[6:7]
	v_div_scale_f64 v[25:26], vcc_lo, v[6:7], v[4:5], v[6:7]
	s_delay_alu instid0(VALU_DEP_2) | instskip(NEXT) | instid1(TRANS32_DEP_1)
	v_rcp_f64_e32 v[10:11], v[8:9]
	v_fma_f64 v[23:24], -v[8:9], v[10:11], 1.0
	s_delay_alu instid0(VALU_DEP_1) | instskip(NEXT) | instid1(VALU_DEP_1)
	v_fma_f64 v[10:11], v[10:11], v[23:24], v[10:11]
	v_fma_f64 v[23:24], -v[8:9], v[10:11], 1.0
	s_delay_alu instid0(VALU_DEP_1) | instskip(NEXT) | instid1(VALU_DEP_1)
	v_fma_f64 v[10:11], v[10:11], v[23:24], v[10:11]
	v_mul_f64_e32 v[23:24], v[25:26], v[10:11]
	s_delay_alu instid0(VALU_DEP_1) | instskip(SKIP_1) | instid1(VALU_DEP_1)
	v_fma_f64 v[8:9], -v[8:9], v[23:24], v[25:26]
	s_wait_alu 0xfffd
	v_div_fmas_f64 v[8:9], v[8:9], v[10:11], v[23:24]
	s_delay_alu instid0(VALU_DEP_1) | instskip(NEXT) | instid1(VALU_DEP_1)
	v_div_fixup_f64 v[8:9], v[8:9], v[4:5], v[6:7]
	v_fma_f64 v[4:5], v[6:7], v[8:9], v[4:5]
	s_delay_alu instid0(VALU_DEP_1) | instskip(SKIP_1) | instid1(VALU_DEP_2)
	v_div_scale_f64 v[6:7], null, v[4:5], v[4:5], 1.0
	v_div_scale_f64 v[25:26], vcc_lo, 1.0, v[4:5], 1.0
	v_rcp_f64_e32 v[10:11], v[6:7]
	s_delay_alu instid0(TRANS32_DEP_1) | instskip(NEXT) | instid1(VALU_DEP_1)
	v_fma_f64 v[23:24], -v[6:7], v[10:11], 1.0
	v_fma_f64 v[10:11], v[10:11], v[23:24], v[10:11]
	s_delay_alu instid0(VALU_DEP_1) | instskip(NEXT) | instid1(VALU_DEP_1)
	v_fma_f64 v[23:24], -v[6:7], v[10:11], 1.0
	v_fma_f64 v[10:11], v[10:11], v[23:24], v[10:11]
	s_delay_alu instid0(VALU_DEP_1) | instskip(NEXT) | instid1(VALU_DEP_1)
	v_mul_f64_e32 v[23:24], v[25:26], v[10:11]
	v_fma_f64 v[6:7], -v[6:7], v[23:24], v[25:26]
	s_wait_alu 0xfffd
	s_delay_alu instid0(VALU_DEP_1) | instskip(SKIP_2) | instid1(VALU_DEP_3)
	v_div_fmas_f64 v[6:7], v[6:7], v[10:11], v[23:24]
	v_fma_f64 v[10:11], v[2:3], v[8:9], v[0:1]
	v_fma_f64 v[0:1], -v[0:1], v[8:9], v[2:3]
	v_div_fixup_f64 v[4:5], v[6:7], v[4:5], 1.0
	s_delay_alu instid0(VALU_DEP_1) | instskip(NEXT) | instid1(VALU_DEP_3)
	v_mul_f64_e32 v[8:9], v[10:11], v[4:5]
	v_mul_f64_e32 v[10:11], v[0:1], v[4:5]
	s_branch .LBB240_39
.LBB240_49:                             ;   in Loop: Header=BB240_51 Depth=2
	s_wait_alu 0xfffe
	s_or_b32 exec_lo, exec_lo, s1
	ds_store_b128 v22, v[6:9]
.LBB240_50:                             ;   in Loop: Header=BB240_51 Depth=2
	s_add_co_i32 s1, s36, -1
	s_cmp_lt_i32 s36, 1
	s_wait_alu 0xfffe
	s_mov_b32 s36, s1
	s_cbranch_scc1 .LBB240_23
.LBB240_51:                             ;   Parent Loop BB240_3 Depth=1
                                        ; =>  This Loop Header: Depth=2
                                        ;       Child Loop BB240_53 Depth 3
	s_wait_alu 0xfffe
	s_lshl_b32 s1, s36, 10
	s_cmp_le_i32 s42, s36
	s_wait_alu 0xfffe
	v_or_b32_e32 v0, s1, v14
	ds_load_b128 v[0:3], v0
	s_cbranch_scc1 .LBB240_54
; %bb.52:                               ;   in Loop: Header=BB240_51 Depth=2
	s_mov_b32 s37, s19
	v_mov_b32_e32 v4, v17
	s_wait_alu 0xfffe
	s_lshl_b64 s[38:39], s[36:37], 4
	s_mov_b32 s18, s42
	s_wait_alu 0xfffe
	s_add_nc_u64 s[38:39], s[30:31], s[38:39]
.LBB240_53:                             ;   Parent Loop BB240_3 Depth=1
                                        ;     Parent Loop BB240_51 Depth=2
                                        ; =>    This Inner Loop Header: Depth=3
	s_mul_u64 s[48:49], s[18:19], s[20:21]
	ds_load_b128 v[22:25], v4
	s_wait_alu 0xfffe
	s_lshl_b64 s[48:49], s[48:49], 4
	v_add_nc_u32_e32 v4, 0xfffffc00, v4
	s_wait_alu 0xfffe
	s_add_nc_u64 s[48:49], s[38:39], s[48:49]
	s_add_co_i32 s18, s18, -1
	s_wait_alu 0xfffe
	v_dual_mov_b32 v5, s48 :: v_dual_mov_b32 v6, s49
	s_cmp_le_i32 s18, s36
	flat_load_b128 v[5:8], v[5:6]
	s_wait_loadcnt_dscnt 0x0
	v_xor_b32_e32 v9, 0x80000000, v8
	s_delay_alu instid0(VALU_DEP_1) | instskip(SKIP_1) | instid1(VALU_DEP_2)
	v_cndmask_b32_e64 v8, v8, v9, s0
	v_mul_f64_e32 v[9:10], v[5:6], v[24:25]
	v_mul_f64_e32 v[24:25], v[7:8], v[24:25]
	s_delay_alu instid0(VALU_DEP_2) | instskip(NEXT) | instid1(VALU_DEP_2)
	v_fma_f64 v[7:8], v[7:8], v[22:23], v[9:10]
	v_fma_f64 v[5:6], v[5:6], v[22:23], -v[24:25]
	s_delay_alu instid0(VALU_DEP_2) | instskip(NEXT) | instid1(VALU_DEP_2)
	v_add_f64_e64 v[2:3], v[2:3], -v[7:8]
	v_add_f64_e64 v[0:1], v[0:1], -v[5:6]
	s_cbranch_scc0 .LBB240_53
.LBB240_54:                             ;   in Loop: Header=BB240_51 Depth=2
	v_add_nc_u32_e32 v22, s1, v14
	s_and_b32 vcc_lo, exec_lo, s45
	s_wait_dscnt 0x0
	ds_store_b128 v22, v[0:3]
	s_wait_alu 0xfffe
	s_cbranch_vccz .LBB240_50
; %bb.55:                               ;   in Loop: Header=BB240_51 Depth=2
	s_mov_b32 s37, s19
	s_wait_alu 0xfffe
	s_mul_u64 s[38:39], s[22:23], s[36:37]
	s_wait_alu 0xfffe
	s_lshl_b64 s[38:39], s[38:39], 4
	s_wait_alu 0xfffe
	s_add_nc_u64 s[38:39], s[30:31], s[38:39]
	s_wait_alu 0xfffe
	v_dual_mov_b32 v4, s38 :: v_dual_mov_b32 v5, s39
	flat_load_b128 v[4:7], v[4:5]
	s_wait_loadcnt_dscnt 0x0
	v_cmp_ngt_f64_e64 s1, |v[4:5]|, |v[6:7]|
	v_xor_b32_e32 v8, 0x80000000, v7
	v_mov_b32_e32 v10, v6
	s_delay_alu instid0(VALU_DEP_2)
	v_cndmask_b32_e64 v11, v7, v8, s0
                                        ; implicit-def: $vgpr8_vgpr9
	s_and_saveexec_b32 s3, s1
	s_wait_alu 0xfffe
	s_xor_b32 s1, exec_lo, s3
	s_cbranch_execz .LBB240_57
; %bb.56:                               ;   in Loop: Header=BB240_51 Depth=2
	v_div_scale_f64 v[6:7], null, v[10:11], v[10:11], v[4:5]
	v_div_scale_f64 v[25:26], vcc_lo, v[4:5], v[10:11], v[4:5]
	s_delay_alu instid0(VALU_DEP_2) | instskip(NEXT) | instid1(TRANS32_DEP_1)
	v_rcp_f64_e32 v[8:9], v[6:7]
	v_fma_f64 v[23:24], -v[6:7], v[8:9], 1.0
	s_delay_alu instid0(VALU_DEP_1) | instskip(NEXT) | instid1(VALU_DEP_1)
	v_fma_f64 v[8:9], v[8:9], v[23:24], v[8:9]
	v_fma_f64 v[23:24], -v[6:7], v[8:9], 1.0
	s_delay_alu instid0(VALU_DEP_1) | instskip(NEXT) | instid1(VALU_DEP_1)
	v_fma_f64 v[8:9], v[8:9], v[23:24], v[8:9]
	v_mul_f64_e32 v[23:24], v[25:26], v[8:9]
	s_delay_alu instid0(VALU_DEP_1) | instskip(SKIP_1) | instid1(VALU_DEP_1)
	v_fma_f64 v[6:7], -v[6:7], v[23:24], v[25:26]
	s_wait_alu 0xfffd
	v_div_fmas_f64 v[6:7], v[6:7], v[8:9], v[23:24]
	s_delay_alu instid0(VALU_DEP_1) | instskip(NEXT) | instid1(VALU_DEP_1)
	v_div_fixup_f64 v[6:7], v[6:7], v[10:11], v[4:5]
	v_fma_f64 v[4:5], v[4:5], v[6:7], v[10:11]
	s_delay_alu instid0(VALU_DEP_1) | instskip(SKIP_1) | instid1(VALU_DEP_2)
	v_div_scale_f64 v[8:9], null, v[4:5], v[4:5], 1.0
	v_div_scale_f64 v[25:26], vcc_lo, 1.0, v[4:5], 1.0
	v_rcp_f64_e32 v[10:11], v[8:9]
	s_delay_alu instid0(TRANS32_DEP_1) | instskip(NEXT) | instid1(VALU_DEP_1)
	v_fma_f64 v[23:24], -v[8:9], v[10:11], 1.0
	v_fma_f64 v[10:11], v[10:11], v[23:24], v[10:11]
	s_delay_alu instid0(VALU_DEP_1) | instskip(NEXT) | instid1(VALU_DEP_1)
	v_fma_f64 v[23:24], -v[8:9], v[10:11], 1.0
	v_fma_f64 v[10:11], v[10:11], v[23:24], v[10:11]
	s_delay_alu instid0(VALU_DEP_1) | instskip(NEXT) | instid1(VALU_DEP_1)
	v_mul_f64_e32 v[23:24], v[25:26], v[10:11]
	v_fma_f64 v[8:9], -v[8:9], v[23:24], v[25:26]
	s_wait_alu 0xfffd
	s_delay_alu instid0(VALU_DEP_1) | instskip(SKIP_2) | instid1(VALU_DEP_3)
	v_div_fmas_f64 v[8:9], v[8:9], v[10:11], v[23:24]
	v_fma_f64 v[10:11], v[0:1], v[6:7], v[2:3]
	v_fma_f64 v[0:1], v[2:3], v[6:7], -v[0:1]
	v_div_fixup_f64 v[4:5], v[8:9], v[4:5], 1.0
	s_delay_alu instid0(VALU_DEP_1) | instskip(NEXT) | instid1(VALU_DEP_3)
	v_mul_f64_e32 v[6:7], v[10:11], v[4:5]
	v_mul_f64_e32 v[8:9], v[0:1], v[4:5]
                                        ; implicit-def: $vgpr4_vgpr5
                                        ; implicit-def: $vgpr10_vgpr11
                                        ; implicit-def: $vgpr2_vgpr3
.LBB240_57:                             ;   in Loop: Header=BB240_51 Depth=2
	s_wait_alu 0xfffe
	s_and_not1_saveexec_b32 s1, s1
	s_cbranch_execz .LBB240_49
; %bb.58:                               ;   in Loop: Header=BB240_51 Depth=2
	v_div_scale_f64 v[6:7], null, v[4:5], v[4:5], v[10:11]
	v_div_scale_f64 v[25:26], vcc_lo, v[10:11], v[4:5], v[10:11]
	s_delay_alu instid0(VALU_DEP_2) | instskip(NEXT) | instid1(TRANS32_DEP_1)
	v_rcp_f64_e32 v[8:9], v[6:7]
	v_fma_f64 v[23:24], -v[6:7], v[8:9], 1.0
	s_delay_alu instid0(VALU_DEP_1) | instskip(NEXT) | instid1(VALU_DEP_1)
	v_fma_f64 v[8:9], v[8:9], v[23:24], v[8:9]
	v_fma_f64 v[23:24], -v[6:7], v[8:9], 1.0
	s_delay_alu instid0(VALU_DEP_1) | instskip(NEXT) | instid1(VALU_DEP_1)
	v_fma_f64 v[8:9], v[8:9], v[23:24], v[8:9]
	v_mul_f64_e32 v[23:24], v[25:26], v[8:9]
	s_delay_alu instid0(VALU_DEP_1) | instskip(SKIP_1) | instid1(VALU_DEP_1)
	v_fma_f64 v[6:7], -v[6:7], v[23:24], v[25:26]
	s_wait_alu 0xfffd
	v_div_fmas_f64 v[6:7], v[6:7], v[8:9], v[23:24]
	s_delay_alu instid0(VALU_DEP_1) | instskip(NEXT) | instid1(VALU_DEP_1)
	v_div_fixup_f64 v[6:7], v[6:7], v[4:5], v[10:11]
	v_fma_f64 v[4:5], v[10:11], v[6:7], v[4:5]
	s_delay_alu instid0(VALU_DEP_1) | instskip(SKIP_1) | instid1(VALU_DEP_2)
	v_div_scale_f64 v[8:9], null, v[4:5], v[4:5], 1.0
	v_div_scale_f64 v[25:26], vcc_lo, 1.0, v[4:5], 1.0
	v_rcp_f64_e32 v[10:11], v[8:9]
	s_delay_alu instid0(TRANS32_DEP_1) | instskip(NEXT) | instid1(VALU_DEP_1)
	v_fma_f64 v[23:24], -v[8:9], v[10:11], 1.0
	v_fma_f64 v[10:11], v[10:11], v[23:24], v[10:11]
	s_delay_alu instid0(VALU_DEP_1) | instskip(NEXT) | instid1(VALU_DEP_1)
	v_fma_f64 v[23:24], -v[8:9], v[10:11], 1.0
	v_fma_f64 v[10:11], v[10:11], v[23:24], v[10:11]
	s_delay_alu instid0(VALU_DEP_1) | instskip(NEXT) | instid1(VALU_DEP_1)
	v_mul_f64_e32 v[23:24], v[25:26], v[10:11]
	v_fma_f64 v[8:9], -v[8:9], v[23:24], v[25:26]
	s_wait_alu 0xfffd
	s_delay_alu instid0(VALU_DEP_1) | instskip(SKIP_2) | instid1(VALU_DEP_3)
	v_div_fmas_f64 v[8:9], v[8:9], v[10:11], v[23:24]
	v_fma_f64 v[10:11], v[2:3], v[6:7], v[0:1]
	v_fma_f64 v[0:1], -v[0:1], v[6:7], v[2:3]
	v_div_fixup_f64 v[4:5], v[8:9], v[4:5], 1.0
	s_delay_alu instid0(VALU_DEP_1) | instskip(NEXT) | instid1(VALU_DEP_3)
	v_mul_f64_e32 v[6:7], v[10:11], v[4:5]
	v_mul_f64_e32 v[8:9], v[0:1], v[4:5]
	s_branch .LBB240_49
.LBB240_59:                             ;   in Loop: Header=BB240_3 Depth=1
	s_and_saveexec_b32 s1, s46
	s_cbranch_execz .LBB240_2
; %bb.60:                               ;   in Loop: Header=BB240_3 Depth=1
	v_add_co_u32 v0, vcc_lo, v12, s14
	s_wait_alu 0xfffd
	v_add_co_ci_u32_e64 v1, null, s15, v13, vcc_lo
	v_mov_b32_e32 v2, v14
	s_delay_alu instid0(VALU_DEP_3) | instskip(SKIP_1) | instid1(VALU_DEP_3)
	v_add_co_u32 v0, vcc_lo, v0, s24
	s_wait_alu 0xfffd
	v_add_co_ci_u32_e64 v1, null, s25, v1, vcc_lo
	s_mov_b32 s3, s40
	v_add_co_u32 v0, vcc_lo, v0, v21
	s_wait_alu 0xfffd
	v_add_co_ci_u32_e64 v1, null, 0, v1, vcc_lo
.LBB240_61:                             ;   Parent Loop BB240_3 Depth=1
                                        ; =>  This Inner Loop Header: Depth=2
	ds_load_2addr_b64 v[3:6], v2 offset1:1
	v_add_nc_u32_e32 v2, 0x400, v2
	s_wait_alu 0xfffe
	s_add_co_i32 s3, s3, -1
	s_wait_alu 0xfffe
	s_cmp_lg_u32 s3, 0
	s_wait_dscnt 0x0
	flat_store_b128 v[0:1], v[3:6]
	v_add_co_u32 v0, vcc_lo, v0, s16
	s_wait_alu 0xfffd
	v_add_co_ci_u32_e64 v1, null, s17, v1, vcc_lo
	s_cbranch_scc1 .LBB240_61
	s_branch .LBB240_2
.LBB240_62:
	s_endpgm
	.section	.rodata,"a",@progbits
	.p2align	6, 0x0
	.amdhsa_kernel _ZL34rocblas_trsm_small_64_right_deviceI19rocblas_complex_numIdES1_PKPKS1_PKPS1_Li64EEv13rocblas_fill_18rocblas_operation_17rocblas_diagonal_iiT0_T1_lilT2_lili
		.amdhsa_group_segment_fixed_size 65536
		.amdhsa_private_segment_fixed_size 0
		.amdhsa_kernarg_size 368
		.amdhsa_user_sgpr_count 2
		.amdhsa_user_sgpr_dispatch_ptr 0
		.amdhsa_user_sgpr_queue_ptr 0
		.amdhsa_user_sgpr_kernarg_segment_ptr 1
		.amdhsa_user_sgpr_dispatch_id 0
		.amdhsa_user_sgpr_private_segment_size 0
		.amdhsa_wavefront_size32 1
		.amdhsa_uses_dynamic_stack 0
		.amdhsa_enable_private_segment 0
		.amdhsa_system_sgpr_workgroup_id_x 1
		.amdhsa_system_sgpr_workgroup_id_y 0
		.amdhsa_system_sgpr_workgroup_id_z 1
		.amdhsa_system_sgpr_workgroup_info 0
		.amdhsa_system_vgpr_workitem_id 0
		.amdhsa_next_free_vgpr 241
		.amdhsa_next_free_sgpr 50
		.amdhsa_reserve_vcc 1
		.amdhsa_float_round_mode_32 0
		.amdhsa_float_round_mode_16_64 0
		.amdhsa_float_denorm_mode_32 3
		.amdhsa_float_denorm_mode_16_64 3
		.amdhsa_fp16_overflow 0
		.amdhsa_workgroup_processor_mode 1
		.amdhsa_memory_ordered 1
		.amdhsa_forward_progress 1
		.amdhsa_inst_pref_size 34
		.amdhsa_round_robin_scheduling 0
		.amdhsa_exception_fp_ieee_invalid_op 0
		.amdhsa_exception_fp_denorm_src 0
		.amdhsa_exception_fp_ieee_div_zero 0
		.amdhsa_exception_fp_ieee_overflow 0
		.amdhsa_exception_fp_ieee_underflow 0
		.amdhsa_exception_fp_ieee_inexact 0
		.amdhsa_exception_int_div_zero 0
	.end_amdhsa_kernel
	.section	.text._ZL34rocblas_trsm_small_64_right_deviceI19rocblas_complex_numIdES1_PKPKS1_PKPS1_Li64EEv13rocblas_fill_18rocblas_operation_17rocblas_diagonal_iiT0_T1_lilT2_lili,"axG",@progbits,_ZL34rocblas_trsm_small_64_right_deviceI19rocblas_complex_numIdES1_PKPKS1_PKPS1_Li64EEv13rocblas_fill_18rocblas_operation_17rocblas_diagonal_iiT0_T1_lilT2_lili,comdat
.Lfunc_end240:
	.size	_ZL34rocblas_trsm_small_64_right_deviceI19rocblas_complex_numIdES1_PKPKS1_PKPS1_Li64EEv13rocblas_fill_18rocblas_operation_17rocblas_diagonal_iiT0_T1_lilT2_lili, .Lfunc_end240-_ZL34rocblas_trsm_small_64_right_deviceI19rocblas_complex_numIdES1_PKPKS1_PKPS1_Li64EEv13rocblas_fill_18rocblas_operation_17rocblas_diagonal_iiT0_T1_lilT2_lili
                                        ; -- End function
	.set _ZL34rocblas_trsm_small_64_right_deviceI19rocblas_complex_numIdES1_PKPKS1_PKPS1_Li64EEv13rocblas_fill_18rocblas_operation_17rocblas_diagonal_iiT0_T1_lilT2_lili.num_vgpr, 27
	.set _ZL34rocblas_trsm_small_64_right_deviceI19rocblas_complex_numIdES1_PKPKS1_PKPS1_Li64EEv13rocblas_fill_18rocblas_operation_17rocblas_diagonal_iiT0_T1_lilT2_lili.num_agpr, 0
	.set _ZL34rocblas_trsm_small_64_right_deviceI19rocblas_complex_numIdES1_PKPKS1_PKPS1_Li64EEv13rocblas_fill_18rocblas_operation_17rocblas_diagonal_iiT0_T1_lilT2_lili.numbered_sgpr, 50
	.set _ZL34rocblas_trsm_small_64_right_deviceI19rocblas_complex_numIdES1_PKPKS1_PKPS1_Li64EEv13rocblas_fill_18rocblas_operation_17rocblas_diagonal_iiT0_T1_lilT2_lili.num_named_barrier, 0
	.set _ZL34rocblas_trsm_small_64_right_deviceI19rocblas_complex_numIdES1_PKPKS1_PKPS1_Li64EEv13rocblas_fill_18rocblas_operation_17rocblas_diagonal_iiT0_T1_lilT2_lili.private_seg_size, 0
	.set _ZL34rocblas_trsm_small_64_right_deviceI19rocblas_complex_numIdES1_PKPKS1_PKPS1_Li64EEv13rocblas_fill_18rocblas_operation_17rocblas_diagonal_iiT0_T1_lilT2_lili.uses_vcc, 1
	.set _ZL34rocblas_trsm_small_64_right_deviceI19rocblas_complex_numIdES1_PKPKS1_PKPS1_Li64EEv13rocblas_fill_18rocblas_operation_17rocblas_diagonal_iiT0_T1_lilT2_lili.uses_flat_scratch, 0
	.set _ZL34rocblas_trsm_small_64_right_deviceI19rocblas_complex_numIdES1_PKPKS1_PKPS1_Li64EEv13rocblas_fill_18rocblas_operation_17rocblas_diagonal_iiT0_T1_lilT2_lili.has_dyn_sized_stack, 0
	.set _ZL34rocblas_trsm_small_64_right_deviceI19rocblas_complex_numIdES1_PKPKS1_PKPS1_Li64EEv13rocblas_fill_18rocblas_operation_17rocblas_diagonal_iiT0_T1_lilT2_lili.has_recursion, 0
	.set _ZL34rocblas_trsm_small_64_right_deviceI19rocblas_complex_numIdES1_PKPKS1_PKPS1_Li64EEv13rocblas_fill_18rocblas_operation_17rocblas_diagonal_iiT0_T1_lilT2_lili.has_indirect_call, 0
	.section	.AMDGPU.csdata,"",@progbits
; Kernel info:
; codeLenInByte = 4268
; TotalNumSgprs: 52
; NumVgprs: 27
; ScratchSize: 0
; MemoryBound: 0
; FloatMode: 240
; IeeeMode: 1
; LDSByteSize: 65536 bytes/workgroup (compile time only)
; SGPRBlocks: 0
; VGPRBlocks: 30
; NumSGPRsForWavesPerEU: 52
; NumVGPRsForWavesPerEU: 241
; Occupancy: 1
; WaveLimiterHint : 1
; COMPUTE_PGM_RSRC2:SCRATCH_EN: 0
; COMPUTE_PGM_RSRC2:USER_SGPR: 2
; COMPUTE_PGM_RSRC2:TRAP_HANDLER: 0
; COMPUTE_PGM_RSRC2:TGID_X_EN: 1
; COMPUTE_PGM_RSRC2:TGID_Y_EN: 0
; COMPUTE_PGM_RSRC2:TGID_Z_EN: 1
; COMPUTE_PGM_RSRC2:TIDIG_COMP_CNT: 0
	.section	.text._ZL39rocblas_trsm_block_forward_substitutionI19rocblas_complex_numIdES1_PKPKS1_PKPS1_Lb0ELb0ELb0EEv18rocblas_operation_llT0_T1_lllT2_lllib,"axG",@progbits,_ZL39rocblas_trsm_block_forward_substitutionI19rocblas_complex_numIdES1_PKPKS1_PKPS1_Lb0ELb0ELb0EEv18rocblas_operation_llT0_T1_lllT2_lllib,comdat
	.globl	_ZL39rocblas_trsm_block_forward_substitutionI19rocblas_complex_numIdES1_PKPKS1_PKPS1_Lb0ELb0ELb0EEv18rocblas_operation_llT0_T1_lllT2_lllib ; -- Begin function _ZL39rocblas_trsm_block_forward_substitutionI19rocblas_complex_numIdES1_PKPKS1_PKPS1_Lb0ELb0ELb0EEv18rocblas_operation_llT0_T1_lllT2_lllib
	.p2align	8
	.type	_ZL39rocblas_trsm_block_forward_substitutionI19rocblas_complex_numIdES1_PKPKS1_PKPS1_Lb0ELb0ELb0EEv18rocblas_operation_llT0_T1_lllT2_lllib,@function
_ZL39rocblas_trsm_block_forward_substitutionI19rocblas_complex_numIdES1_PKPKS1_PKPS1_Lb0ELb0ELb0EEv18rocblas_operation_llT0_T1_lllT2_lllib: ; @_ZL39rocblas_trsm_block_forward_substitutionI19rocblas_complex_numIdES1_PKPKS1_PKPS1_Lb0ELb0ELb0EEv18rocblas_operation_llT0_T1_lllT2_lllib
; %bb.0:
	s_load_b64 s[20:21], s[0:1], 0x68
	s_lshr_b32 s22, ttmp7, 16
	s_wait_kmcnt 0x0
	s_cmp_ge_u32 s22, s20
	s_cbranch_scc1 .LBB241_41
; %bb.1:
	s_clause 0x2
	s_load_b32 s2, s[0:1], 0x0
	s_load_u16 s33, s[0:1], 0x7e
	s_load_b64 s[30:31], s[0:1], 0x58
	s_bitcmp1_b32 s21, 0
	v_bfe_u32 v6, v0, 10, 10
	s_cselect_b32 s3, -1, 0
	s_load_b256 s[4:11], s[0:1], 0x8
	s_xor_b32 s21, s3, -1
	v_cndmask_b32_e64 v21, 0, 1, s3
	s_clause 0x2
	s_load_b128 s[12:15], s[0:1], 0x48
	s_load_b128 s[16:19], s[0:1], 0x28
	s_load_b64 s[28:29], s[0:1], 0x38
	s_add_nc_u64 s[24:25], s[0:1], 0x70
	s_mov_b64 s[26:27], src_shared_base
	v_lshl_add_u32 v22, v6, 4, 0
	s_mov_b32 s23, 0
	v_mov_b32_e32 v8, 0
	s_wait_kmcnt 0x0
	s_cmp_eq_u32 s2, 0x71
	s_cselect_b32 s2, -1, 0
	s_and_b32 s3, ttmp7, 0xffff
	s_lshl_b32 s0, s33, 4
	s_wait_alu 0xfffe
	v_mad_co_u64_u32 v[1:2], null, s3, s33, v[6:7]
	v_and_b32_e32 v7, 0x3ff, v0
	s_add_co_i32 s26, s0, 0
	v_cmp_gt_i64_e64 s36, s[4:5], 1
	v_cmp_gt_i64_e64 s37, s[4:5], 0
	s_lshl_b64 s[14:15], s[14:15], 4
	v_cmp_le_i64_e32 vcc_lo, s[4:5], v[7:8]
	v_mad_co_u64_u32 v[3:4], null, s30, v1, 0
	v_lshlrev_b32_e32 v9, 4, v7
	v_cmp_gt_i64_e64 s1, s[4:5], v[7:8]
	v_lshlrev_b32_e32 v25, 4, v7
	s_xor_b32 s38, vcc_lo, -1
	v_mov_b32_e32 v0, v4
	v_dual_mov_b32 v2, v8 :: v_dual_add_nc_u32 v23, s26, v9
	v_or_b32_e32 v24, 8, v9
	s_delay_alu instid0(VALU_DEP_3)
	v_mad_co_u64_u32 v[4:5], null, s31, v1, v[0:1]
	s_add_nc_u64 s[30:31], s[4:5], -1
	v_cmp_gt_i64_e64 s3, s[6:7], v[1:2]
	s_wait_alu 0xfffe
	v_cmp_eq_u64_e64 s0, s[30:31], v[7:8]
	s_lshl_b64 s[6:7], s[18:19], 4
	v_lshlrev_b64_e32 v[9:10], 4, v[3:4]
	s_and_b32 s3, s3, s1
	s_branch .LBB241_6
.LBB241_2:                              ;   in Loop: Header=BB241_6 Depth=1
	s_wait_alu 0xfffe
	s_or_b32 exec_lo, exec_lo, s19
.LBB241_3:                              ;   in Loop: Header=BB241_6 Depth=1
	s_wait_loadcnt_dscnt 0x0
	s_delay_alu instid0(VALU_DEP_1) | instskip(NEXT) | instid1(VALU_DEP_3)
	v_mul_f64_e32 v[15:16], v[13:14], v[4:5]
	v_mul_f64_e32 v[13:14], v[13:14], v[2:3]
	s_delay_alu instid0(VALU_DEP_2) | instskip(NEXT) | instid1(VALU_DEP_2)
	v_fma_f64 v[2:3], v[0:1], v[2:3], -v[15:16]
	v_fma_f64 v[13:14], v[0:1], v[4:5], v[13:14]
	s_delay_alu instid0(VALU_DEP_2)
	v_dual_mov_b32 v0, v2 :: v_dual_mov_b32 v1, v3
.LBB241_4:                              ;   in Loop: Header=BB241_6 Depth=1
	s_wait_alu 0xfffe
	s_or_b32 exec_lo, exec_lo, s18
	s_delay_alu instid0(VALU_DEP_1)
	v_dual_mov_b32 v2, v13 :: v_dual_mov_b32 v3, v14
	flat_store_b128 v[11:12], v[0:3]
.LBB241_5:                              ;   in Loop: Header=BB241_6 Depth=1
	s_wait_alu 0xfffe
	s_or_b32 exec_lo, exec_lo, s1
	s_add_co_i32 s22, s22, 0x10000
	s_delay_alu instid0(SALU_CYCLE_1)
	s_cmp_lt_u32 s22, s20
	s_cbranch_scc0 .LBB241_41
.LBB241_6:                              ; =>This Loop Header: Depth=1
                                        ;     Child Loop BB241_13 Depth 2
                                        ;     Child Loop BB241_25 Depth 2
	s_lshl_b64 s[18:19], s[22:23], 3
	v_cmp_ne_u32_e32 vcc_lo, 1, v21
	s_wait_alu 0xfffe
	s_add_nc_u64 s[34:35], s[16:17], s[18:19]
	s_add_nc_u64 s[18:19], s[12:13], s[18:19]
	global_load_b64 v[0:1], v8, s[34:35]
	s_wait_loadcnt 0x1
	global_load_b64 v[4:5], v8, s[18:19]
	s_wait_loadcnt 0x1
	v_add_co_u32 v15, s1, v0, s6
	s_wait_alu 0xf1ff
	v_add_co_ci_u32_e64 v16, null, s7, v1, s1
	s_cbranch_vccz .LBB241_8
; %bb.7:                                ;   in Loop: Header=BB241_6 Depth=1
	s_and_saveexec_b32 s1, s3
	s_cbranch_execz .LBB241_5
	s_branch .LBB241_22
.LBB241_8:                              ;   in Loop: Header=BB241_6 Depth=1
	s_and_not1_b32 vcc_lo, exec_lo, s37
	s_wait_alu 0xfffe
	s_cbranch_vccnz .LBB241_21
; %bb.9:                                ;   in Loop: Header=BB241_6 Depth=1
	v_mad_co_u64_u32 v[0:1], null, s28, v7, 0
	v_add_co_u32 v17, vcc_lo, v15, v25
	s_wait_alu 0xfffd
	v_add_co_ci_u32_e64 v18, null, 0, v16, vcc_lo
	v_mov_b32_e32 v19, v6
	s_mov_b32 s18, s33
	s_delay_alu instid0(VALU_DEP_4) | instskip(NEXT) | instid1(VALU_DEP_1)
	v_mad_co_u64_u32 v[1:2], null, s29, v7, v[1:2]
	v_lshlrev_b64_e32 v[0:1], 4, v[0:1]
	s_delay_alu instid0(VALU_DEP_1) | instskip(SKIP_1) | instid1(VALU_DEP_2)
	v_add_co_u32 v11, vcc_lo, v17, v0
	s_wait_alu 0xfffd
	v_add_co_ci_u32_e64 v12, null, v18, v1, vcc_lo
	s_branch .LBB241_13
.LBB241_10:                             ;   in Loop: Header=BB241_13 Depth=2
	s_wait_alu 0xfffe
	s_or_b32 exec_lo, exec_lo, s34
	s_load_b32 s34, s[24:25], 0xc
	s_wait_kmcnt 0x0
	s_and_b32 s34, s34, 0xffff
	s_wait_alu 0xfffe
	v_mul_u32_u24_e32 v0, s34, v7
	s_delay_alu instid0(VALU_DEP_1)
	v_lshl_add_u32 v0, v0, 4, v23
	ds_store_2addr_b64 v0, v[13:14], v[15:16] offset1:1
.LBB241_11:                             ;   in Loop: Header=BB241_13 Depth=2
	s_wait_alu 0xfffe
	s_or_b32 exec_lo, exec_lo, s19
.LBB241_12:                             ;   in Loop: Header=BB241_13 Depth=2
	s_wait_alu 0xfffe
	s_or_b32 exec_lo, exec_lo, s1
	s_ashr_i32 s19, s18, 31
	v_add_nc_u32_e32 v19, s33, v19
	s_wait_alu 0xfffe
	v_cmp_le_i64_e64 s1, s[4:5], s[18:19]
	s_add_co_i32 s18, s18, s33
	s_and_b32 vcc_lo, exec_lo, s1
	s_wait_alu 0xfffe
	s_cbranch_vccnz .LBB241_21
.LBB241_13:                             ;   Parent Loop BB241_6 Depth=1
                                        ; =>  This Inner Loop Header: Depth=2
	v_cmp_gt_i32_e32 vcc_lo, v7, v19
	s_and_b32 s1, s38, vcc_lo
	s_wait_alu 0xfffe
	s_and_saveexec_b32 s19, s1
	s_wait_alu 0xfffe
	s_xor_b32 s1, exec_lo, s19
	s_cbranch_execz .LBB241_15
; %bb.14:                               ;   in Loop: Header=BB241_13 Depth=2
	v_ashrrev_i32_e32 v2, 31, v19
	v_mul_lo_u32 v3, s29, v19
	v_mad_co_u64_u32 v[0:1], null, s28, v19, 0
	s_load_b32 s19, s[24:25], 0xc
	v_mul_lo_u32 v2, s28, v2
	s_delay_alu instid0(VALU_DEP_1) | instskip(NEXT) | instid1(VALU_DEP_1)
	v_add3_u32 v1, v1, v2, v3
	v_lshlrev_b64_e32 v[0:1], 4, v[0:1]
	s_wait_kmcnt 0x0
	s_and_b32 s19, s19, 0xffff
	s_delay_alu instid0(VALU_DEP_1) | instskip(SKIP_1) | instid1(VALU_DEP_2)
	v_add_co_u32 v0, vcc_lo, v17, v0
	s_wait_alu 0xfffd
	v_add_co_ci_u32_e64 v1, null, v18, v1, vcc_lo
	s_wait_alu 0xfffe
	v_mul_lo_u32 v13, v19, s19
	flat_load_b128 v[0:3], v[0:1]
	v_lshl_add_u32 v13, v13, 4, v23
	s_wait_loadcnt_dscnt 0x0
	ds_store_2addr_b64 v13, v[0:1], v[2:3] offset1:1
.LBB241_15:                             ;   in Loop: Header=BB241_13 Depth=2
	s_wait_alu 0xfffe
	s_and_not1_saveexec_b32 s1, s1
	s_cbranch_execz .LBB241_12
; %bb.16:                               ;   in Loop: Header=BB241_13 Depth=2
	v_cmp_eq_u32_e32 vcc_lo, v7, v19
	s_and_b32 s34, s38, vcc_lo
	s_wait_alu 0xfffe
	s_and_saveexec_b32 s19, s34
	s_cbranch_execz .LBB241_11
; %bb.17:                               ;   in Loop: Header=BB241_13 Depth=2
	flat_load_b128 v[0:3], v[11:12]
                                        ; implicit-def: $vgpr13_vgpr14
	s_wait_loadcnt_dscnt 0x0
	v_cmp_ngt_f64_e64 s34, |v[0:1]|, |v[2:3]|
	s_and_saveexec_b32 s35, s34
	s_wait_alu 0xfffe
	s_xor_b32 s34, exec_lo, s35
                                        ; implicit-def: $vgpr15_vgpr16
	s_cbranch_execz .LBB241_19
; %bb.18:                               ;   in Loop: Header=BB241_13 Depth=2
	v_div_scale_f64 v[13:14], null, v[2:3], v[2:3], v[0:1]
	v_div_scale_f64 v[28:29], vcc_lo, v[0:1], v[2:3], v[0:1]
	s_delay_alu instid0(VALU_DEP_2) | instskip(NEXT) | instid1(TRANS32_DEP_1)
	v_rcp_f64_e32 v[15:16], v[13:14]
	v_fma_f64 v[26:27], -v[13:14], v[15:16], 1.0
	s_delay_alu instid0(VALU_DEP_1) | instskip(NEXT) | instid1(VALU_DEP_1)
	v_fma_f64 v[15:16], v[15:16], v[26:27], v[15:16]
	v_fma_f64 v[26:27], -v[13:14], v[15:16], 1.0
	s_delay_alu instid0(VALU_DEP_1) | instskip(NEXT) | instid1(VALU_DEP_1)
	v_fma_f64 v[15:16], v[15:16], v[26:27], v[15:16]
	v_mul_f64_e32 v[26:27], v[28:29], v[15:16]
	s_delay_alu instid0(VALU_DEP_1) | instskip(SKIP_1) | instid1(VALU_DEP_1)
	v_fma_f64 v[13:14], -v[13:14], v[26:27], v[28:29]
	s_wait_alu 0xfffd
	v_div_fmas_f64 v[13:14], v[13:14], v[15:16], v[26:27]
	s_delay_alu instid0(VALU_DEP_1) | instskip(NEXT) | instid1(VALU_DEP_1)
	v_div_fixup_f64 v[13:14], v[13:14], v[2:3], v[0:1]
	v_fma_f64 v[0:1], v[0:1], v[13:14], v[2:3]
	s_delay_alu instid0(VALU_DEP_1) | instskip(NEXT) | instid1(VALU_DEP_1)
	v_div_scale_f64 v[2:3], null, v[0:1], v[0:1], 1.0
	v_rcp_f64_e32 v[15:16], v[2:3]
	s_delay_alu instid0(TRANS32_DEP_1) | instskip(NEXT) | instid1(VALU_DEP_1)
	v_fma_f64 v[26:27], -v[2:3], v[15:16], 1.0
	v_fma_f64 v[15:16], v[15:16], v[26:27], v[15:16]
	s_delay_alu instid0(VALU_DEP_1) | instskip(NEXT) | instid1(VALU_DEP_1)
	v_fma_f64 v[26:27], -v[2:3], v[15:16], 1.0
	v_fma_f64 v[15:16], v[15:16], v[26:27], v[15:16]
	v_div_scale_f64 v[26:27], vcc_lo, 1.0, v[0:1], 1.0
	s_delay_alu instid0(VALU_DEP_1) | instskip(NEXT) | instid1(VALU_DEP_1)
	v_mul_f64_e32 v[28:29], v[26:27], v[15:16]
	v_fma_f64 v[2:3], -v[2:3], v[28:29], v[26:27]
	s_wait_alu 0xfffd
	s_delay_alu instid0(VALU_DEP_1) | instskip(NEXT) | instid1(VALU_DEP_1)
	v_div_fmas_f64 v[2:3], v[2:3], v[15:16], v[28:29]
	v_div_fixup_f64 v[15:16], v[2:3], v[0:1], 1.0
                                        ; implicit-def: $vgpr0_vgpr1
	s_delay_alu instid0(VALU_DEP_1)
	v_mul_f64_e32 v[13:14], v[13:14], v[15:16]
	v_xor_b32_e32 v16, 0x80000000, v16
.LBB241_19:                             ;   in Loop: Header=BB241_13 Depth=2
	s_wait_alu 0xfffe
	s_and_not1_saveexec_b32 s34, s34
	s_cbranch_execz .LBB241_10
; %bb.20:                               ;   in Loop: Header=BB241_13 Depth=2
	v_div_scale_f64 v[13:14], null, v[0:1], v[0:1], v[2:3]
	v_div_scale_f64 v[28:29], vcc_lo, v[2:3], v[0:1], v[2:3]
	s_delay_alu instid0(VALU_DEP_2) | instskip(NEXT) | instid1(TRANS32_DEP_1)
	v_rcp_f64_e32 v[15:16], v[13:14]
	v_fma_f64 v[26:27], -v[13:14], v[15:16], 1.0
	s_delay_alu instid0(VALU_DEP_1) | instskip(NEXT) | instid1(VALU_DEP_1)
	v_fma_f64 v[15:16], v[15:16], v[26:27], v[15:16]
	v_fma_f64 v[26:27], -v[13:14], v[15:16], 1.0
	s_delay_alu instid0(VALU_DEP_1) | instskip(NEXT) | instid1(VALU_DEP_1)
	v_fma_f64 v[15:16], v[15:16], v[26:27], v[15:16]
	v_mul_f64_e32 v[26:27], v[28:29], v[15:16]
	s_delay_alu instid0(VALU_DEP_1) | instskip(SKIP_1) | instid1(VALU_DEP_1)
	v_fma_f64 v[13:14], -v[13:14], v[26:27], v[28:29]
	s_wait_alu 0xfffd
	v_div_fmas_f64 v[13:14], v[13:14], v[15:16], v[26:27]
	s_delay_alu instid0(VALU_DEP_1) | instskip(NEXT) | instid1(VALU_DEP_1)
	v_div_fixup_f64 v[15:16], v[13:14], v[0:1], v[2:3]
	v_fma_f64 v[0:1], v[2:3], v[15:16], v[0:1]
	s_delay_alu instid0(VALU_DEP_1) | instskip(NEXT) | instid1(VALU_DEP_1)
	v_div_scale_f64 v[2:3], null, v[0:1], v[0:1], 1.0
	v_rcp_f64_e32 v[13:14], v[2:3]
	s_delay_alu instid0(TRANS32_DEP_1) | instskip(NEXT) | instid1(VALU_DEP_1)
	v_fma_f64 v[26:27], -v[2:3], v[13:14], 1.0
	v_fma_f64 v[13:14], v[13:14], v[26:27], v[13:14]
	s_delay_alu instid0(VALU_DEP_1) | instskip(NEXT) | instid1(VALU_DEP_1)
	v_fma_f64 v[26:27], -v[2:3], v[13:14], 1.0
	v_fma_f64 v[13:14], v[13:14], v[26:27], v[13:14]
	v_div_scale_f64 v[26:27], vcc_lo, 1.0, v[0:1], 1.0
	s_delay_alu instid0(VALU_DEP_1) | instskip(NEXT) | instid1(VALU_DEP_1)
	v_mul_f64_e32 v[28:29], v[26:27], v[13:14]
	v_fma_f64 v[2:3], -v[2:3], v[28:29], v[26:27]
	s_wait_alu 0xfffd
	s_delay_alu instid0(VALU_DEP_1) | instskip(NEXT) | instid1(VALU_DEP_1)
	v_div_fmas_f64 v[2:3], v[2:3], v[13:14], v[28:29]
	v_div_fixup_f64 v[13:14], v[2:3], v[0:1], 1.0
	s_delay_alu instid0(VALU_DEP_1)
	v_mul_f64_e64 v[15:16], v[15:16], -v[13:14]
	s_branch .LBB241_10
.LBB241_21:                             ;   in Loop: Header=BB241_6 Depth=1
	s_load_b32 s1, s[24:25], 0xc
	v_dual_mov_b32 v15, s26 :: v_dual_mov_b32 v16, s27
	s_mov_b32 s29, s23
	s_wait_kmcnt 0x0
	s_and_b32 s28, s1, 0xffff
	s_and_saveexec_b32 s1, s3
	s_cbranch_execz .LBB241_5
.LBB241_22:                             ;   in Loop: Header=BB241_6 Depth=1
	s_wait_loadcnt 0x0
	v_add_co_u32 v0, vcc_lo, v4, s14
	s_wait_alu 0xfffd
	v_add_co_ci_u32_e64 v1, null, s15, v5, vcc_lo
	s_delay_alu instid0(VALU_DEP_2) | instskip(SKIP_1) | instid1(VALU_DEP_2)
	v_add_co_u32 v0, vcc_lo, v0, v9
	s_wait_alu 0xfffd
	v_add_co_ci_u32_e64 v1, null, v1, v10, vcc_lo
	s_delay_alu instid0(VALU_DEP_2) | instskip(SKIP_1) | instid1(VALU_DEP_2)
	v_add_co_u32 v11, vcc_lo, v0, v25
	s_wait_alu 0xfffd
	v_add_co_ci_u32_e64 v12, null, 0, v1, vcc_lo
	s_and_not1_b32 vcc_lo, exec_lo, s36
	flat_load_b128 v[2:5], v[11:12]
	s_wait_loadcnt_dscnt 0x0
	v_mul_f64_e32 v[0:1], s[10:11], v[4:5]
	v_mul_f64_e32 v[4:5], s[8:9], v[4:5]
	s_delay_alu instid0(VALU_DEP_2) | instskip(NEXT) | instid1(VALU_DEP_2)
	v_fma_f64 v[0:1], s[8:9], v[2:3], -v[0:1]
	v_fma_f64 v[13:14], s[10:11], v[2:3], v[4:5]
	s_wait_alu 0xfffe
	s_cbranch_vccnz .LBB241_35
; %bb.23:                               ;   in Loop: Header=BB241_6 Depth=1
	v_mad_co_u64_u32 v[2:3], null, v7, s28, v[7:8]
	s_lshl_b64 s[18:19], s[28:29], 4
	s_mov_b64 s[34:35], 0
	v_mad_co_u64_u32 v[3:4], null, v7, s29, v[3:4]
	s_delay_alu instid0(VALU_DEP_1) | instskip(NEXT) | instid1(VALU_DEP_1)
	v_lshlrev_b64_e32 v[2:3], 4, v[2:3]
	v_add_co_u32 v17, vcc_lo, v15, v2
	s_wait_alu 0xfffd
	s_delay_alu instid0(VALU_DEP_2)
	v_add_co_ci_u32_e64 v18, null, v16, v3, vcc_lo
	v_add_co_u32 v19, vcc_lo, v15, v24
	s_wait_alu 0xfffd
	v_add_co_ci_u32_e64 v20, null, 0, v16, vcc_lo
	s_branch .LBB241_25
.LBB241_24:                             ;   in Loop: Header=BB241_25 Depth=2
	s_or_b32 exec_lo, exec_lo, s39
	v_add_co_u32 v19, vcc_lo, v19, s18
	s_wait_alu 0xfffd
	v_add_co_ci_u32_e64 v20, null, s19, v20, vcc_lo
	s_add_nc_u64 s[34:35], s[34:35], 1
	s_wait_alu 0xfffe
	s_cmp_eq_u64 s[30:31], s[34:35]
	s_cbranch_scc1 .LBB241_35
.LBB241_25:                             ;   Parent Loop BB241_6 Depth=1
                                        ; =>  This Inner Loop Header: Depth=2
	s_mov_b32 s39, exec_lo
	s_barrier_signal -1
	s_barrier_wait -1
	global_inv scope:SCOPE_SE
	s_wait_alu 0xfffe
	v_cmpx_eq_u64_e64 s[34:35], v[7:8]
	s_cbranch_execz .LBB241_33
; %bb.26:                               ;   in Loop: Header=BB241_25 Depth=2
	flat_load_b128 v[2:5], v[17:18]
	s_and_not1_b32 vcc_lo, exec_lo, s21
	s_wait_alu 0xfffe
	s_cbranch_vccnz .LBB241_32
; %bb.27:                               ;   in Loop: Header=BB241_25 Depth=2
	s_wait_loadcnt_dscnt 0x0
	v_cmp_ngt_f64_e64 s40, |v[2:3]|, |v[4:5]|
	s_and_saveexec_b32 s41, s40
	s_delay_alu instid0(SALU_CYCLE_1)
	s_xor_b32 s40, exec_lo, s41
	s_cbranch_execz .LBB241_29
; %bb.28:                               ;   in Loop: Header=BB241_25 Depth=2
	v_div_scale_f64 v[26:27], null, v[4:5], v[4:5], v[2:3]
	v_div_scale_f64 v[32:33], vcc_lo, v[2:3], v[4:5], v[2:3]
	s_delay_alu instid0(VALU_DEP_2) | instskip(NEXT) | instid1(TRANS32_DEP_1)
	v_rcp_f64_e32 v[28:29], v[26:27]
	v_fma_f64 v[30:31], -v[26:27], v[28:29], 1.0
	s_delay_alu instid0(VALU_DEP_1) | instskip(NEXT) | instid1(VALU_DEP_1)
	v_fma_f64 v[28:29], v[28:29], v[30:31], v[28:29]
	v_fma_f64 v[30:31], -v[26:27], v[28:29], 1.0
	s_delay_alu instid0(VALU_DEP_1) | instskip(NEXT) | instid1(VALU_DEP_1)
	v_fma_f64 v[28:29], v[28:29], v[30:31], v[28:29]
	v_mul_f64_e32 v[30:31], v[32:33], v[28:29]
	s_delay_alu instid0(VALU_DEP_1) | instskip(SKIP_1) | instid1(VALU_DEP_1)
	v_fma_f64 v[26:27], -v[26:27], v[30:31], v[32:33]
	s_wait_alu 0xfffd
	v_div_fmas_f64 v[26:27], v[26:27], v[28:29], v[30:31]
	s_delay_alu instid0(VALU_DEP_1) | instskip(NEXT) | instid1(VALU_DEP_1)
	v_div_fixup_f64 v[26:27], v[26:27], v[4:5], v[2:3]
	v_fma_f64 v[2:3], v[2:3], v[26:27], v[4:5]
	s_delay_alu instid0(VALU_DEP_1) | instskip(NEXT) | instid1(VALU_DEP_1)
	v_div_scale_f64 v[4:5], null, v[2:3], v[2:3], 1.0
	v_rcp_f64_e32 v[28:29], v[4:5]
	s_delay_alu instid0(TRANS32_DEP_1) | instskip(NEXT) | instid1(VALU_DEP_1)
	v_fma_f64 v[30:31], -v[4:5], v[28:29], 1.0
	v_fma_f64 v[28:29], v[28:29], v[30:31], v[28:29]
	s_delay_alu instid0(VALU_DEP_1) | instskip(NEXT) | instid1(VALU_DEP_1)
	v_fma_f64 v[30:31], -v[4:5], v[28:29], 1.0
	v_fma_f64 v[28:29], v[28:29], v[30:31], v[28:29]
	v_div_scale_f64 v[30:31], vcc_lo, 1.0, v[2:3], 1.0
	s_delay_alu instid0(VALU_DEP_1) | instskip(NEXT) | instid1(VALU_DEP_1)
	v_mul_f64_e32 v[32:33], v[30:31], v[28:29]
	v_fma_f64 v[4:5], -v[4:5], v[32:33], v[30:31]
	s_wait_alu 0xfffd
	s_delay_alu instid0(VALU_DEP_1) | instskip(NEXT) | instid1(VALU_DEP_1)
	v_div_fmas_f64 v[4:5], v[4:5], v[28:29], v[32:33]
	v_div_fixup_f64 v[4:5], v[4:5], v[2:3], 1.0
	s_delay_alu instid0(VALU_DEP_1)
	v_mul_f64_e32 v[2:3], v[26:27], v[4:5]
	v_xor_b32_e32 v5, 0x80000000, v5
.LBB241_29:                             ;   in Loop: Header=BB241_25 Depth=2
	s_and_not1_saveexec_b32 s40, s40
	s_cbranch_execz .LBB241_31
; %bb.30:                               ;   in Loop: Header=BB241_25 Depth=2
	s_delay_alu instid0(VALU_DEP_1) | instskip(SKIP_1) | instid1(VALU_DEP_2)
	v_div_scale_f64 v[26:27], null, v[2:3], v[2:3], v[4:5]
	v_div_scale_f64 v[32:33], vcc_lo, v[4:5], v[2:3], v[4:5]
	v_rcp_f64_e32 v[28:29], v[26:27]
	s_delay_alu instid0(TRANS32_DEP_1) | instskip(NEXT) | instid1(VALU_DEP_1)
	v_fma_f64 v[30:31], -v[26:27], v[28:29], 1.0
	v_fma_f64 v[28:29], v[28:29], v[30:31], v[28:29]
	s_delay_alu instid0(VALU_DEP_1) | instskip(NEXT) | instid1(VALU_DEP_1)
	v_fma_f64 v[30:31], -v[26:27], v[28:29], 1.0
	v_fma_f64 v[28:29], v[28:29], v[30:31], v[28:29]
	s_delay_alu instid0(VALU_DEP_1) | instskip(NEXT) | instid1(VALU_DEP_1)
	v_mul_f64_e32 v[30:31], v[32:33], v[28:29]
	v_fma_f64 v[26:27], -v[26:27], v[30:31], v[32:33]
	s_wait_alu 0xfffd
	s_delay_alu instid0(VALU_DEP_1) | instskip(NEXT) | instid1(VALU_DEP_1)
	v_div_fmas_f64 v[26:27], v[26:27], v[28:29], v[30:31]
	v_div_fixup_f64 v[26:27], v[26:27], v[2:3], v[4:5]
	s_delay_alu instid0(VALU_DEP_1) | instskip(NEXT) | instid1(VALU_DEP_1)
	v_fma_f64 v[2:3], v[4:5], v[26:27], v[2:3]
	v_div_scale_f64 v[4:5], null, v[2:3], v[2:3], 1.0
	s_delay_alu instid0(VALU_DEP_1) | instskip(NEXT) | instid1(TRANS32_DEP_1)
	v_rcp_f64_e32 v[28:29], v[4:5]
	v_fma_f64 v[30:31], -v[4:5], v[28:29], 1.0
	s_delay_alu instid0(VALU_DEP_1) | instskip(NEXT) | instid1(VALU_DEP_1)
	v_fma_f64 v[28:29], v[28:29], v[30:31], v[28:29]
	v_fma_f64 v[30:31], -v[4:5], v[28:29], 1.0
	s_delay_alu instid0(VALU_DEP_1) | instskip(SKIP_1) | instid1(VALU_DEP_1)
	v_fma_f64 v[28:29], v[28:29], v[30:31], v[28:29]
	v_div_scale_f64 v[30:31], vcc_lo, 1.0, v[2:3], 1.0
	v_mul_f64_e32 v[32:33], v[30:31], v[28:29]
	s_delay_alu instid0(VALU_DEP_1) | instskip(SKIP_1) | instid1(VALU_DEP_1)
	v_fma_f64 v[4:5], -v[4:5], v[32:33], v[30:31]
	s_wait_alu 0xfffd
	v_div_fmas_f64 v[4:5], v[4:5], v[28:29], v[32:33]
	s_delay_alu instid0(VALU_DEP_1) | instskip(NEXT) | instid1(VALU_DEP_1)
	v_div_fixup_f64 v[2:3], v[4:5], v[2:3], 1.0
	v_mul_f64_e64 v[4:5], v[26:27], -v[2:3]
.LBB241_31:                             ;   in Loop: Header=BB241_25 Depth=2
	s_or_b32 exec_lo, exec_lo, s40
.LBB241_32:                             ;   in Loop: Header=BB241_25 Depth=2
	s_wait_loadcnt_dscnt 0x0
	s_delay_alu instid0(VALU_DEP_1) | instskip(SKIP_1) | instid1(VALU_DEP_2)
	v_mul_f64_e32 v[26:27], v[13:14], v[4:5]
	v_mul_f64_e32 v[4:5], v[0:1], v[4:5]
	v_fma_f64 v[26:27], v[0:1], v[2:3], -v[26:27]
	s_delay_alu instid0(VALU_DEP_2) | instskip(NEXT) | instid1(VALU_DEP_2)
	v_fma_f64 v[13:14], v[13:14], v[2:3], v[4:5]
	v_dual_mov_b32 v0, v26 :: v_dual_mov_b32 v1, v27
	ds_store_2addr_b64 v22, v[26:27], v[13:14] offset1:1
.LBB241_33:                             ;   in Loop: Header=BB241_25 Depth=2
	s_or_b32 exec_lo, exec_lo, s39
	s_delay_alu instid0(SALU_CYCLE_1)
	s_mov_b32 s39, exec_lo
	s_wait_loadcnt_dscnt 0x0
	s_barrier_signal -1
	s_barrier_wait -1
	global_inv scope:SCOPE_SE
	v_cmpx_lt_u64_e64 s[34:35], v[7:8]
	s_cbranch_execz .LBB241_24
; %bb.34:                               ;   in Loop: Header=BB241_25 Depth=2
	flat_load_b128 v[2:5], v[19:20] offset:-8
	ds_load_2addr_b64 v[26:29], v22 offset1:1
	s_wait_loadcnt_dscnt 0x1
	v_xor_b32_e32 v30, 0x80000000, v5
	s_delay_alu instid0(VALU_DEP_1) | instskip(SKIP_1) | instid1(VALU_DEP_1)
	v_cndmask_b32_e64 v5, v5, v30, s2
	s_wait_dscnt 0x0
	v_mul_f64_e32 v[30:31], v[4:5], v[28:29]
	v_mul_f64_e32 v[28:29], v[2:3], v[28:29]
	s_delay_alu instid0(VALU_DEP_2) | instskip(NEXT) | instid1(VALU_DEP_2)
	v_fma_f64 v[2:3], v[2:3], v[26:27], -v[30:31]
	v_fma_f64 v[4:5], v[4:5], v[26:27], v[28:29]
	s_delay_alu instid0(VALU_DEP_2) | instskip(NEXT) | instid1(VALU_DEP_2)
	v_add_f64_e64 v[0:1], v[0:1], -v[2:3]
	v_add_f64_e64 v[13:14], v[13:14], -v[4:5]
	s_branch .LBB241_24
.LBB241_35:                             ;   in Loop: Header=BB241_6 Depth=1
	s_and_saveexec_b32 s18, s0
	s_cbranch_execz .LBB241_4
; %bb.36:                               ;   in Loop: Header=BB241_6 Depth=1
	v_mad_co_u64_u32 v[2:3], null, v7, s28, v[7:8]
	s_delay_alu instid0(VALU_DEP_1) | instskip(NEXT) | instid1(VALU_DEP_1)
	v_mad_co_u64_u32 v[3:4], null, v7, s29, v[3:4]
	v_lshlrev_b64_e32 v[2:3], 4, v[2:3]
	s_delay_alu instid0(VALU_DEP_1) | instskip(SKIP_1) | instid1(VALU_DEP_2)
	v_add_co_u32 v2, vcc_lo, v15, v2
	s_wait_alu 0xfffd
	v_add_co_ci_u32_e64 v3, null, v16, v3, vcc_lo
	s_and_not1_b32 vcc_lo, exec_lo, s21
	flat_load_b128 v[2:5], v[2:3]
	s_wait_alu 0xfffe
	s_cbranch_vccnz .LBB241_3
; %bb.37:                               ;   in Loop: Header=BB241_6 Depth=1
	s_wait_loadcnt_dscnt 0x0
	v_cmp_ngt_f64_e64 s19, |v[2:3]|, |v[4:5]|
	s_and_saveexec_b32 s34, s19
	s_wait_alu 0xfffe
	s_xor_b32 s19, exec_lo, s34
	s_cbranch_execz .LBB241_39
; %bb.38:                               ;   in Loop: Header=BB241_6 Depth=1
	v_div_scale_f64 v[15:16], null, v[4:5], v[4:5], v[2:3]
	v_div_scale_f64 v[26:27], vcc_lo, v[2:3], v[4:5], v[2:3]
	s_delay_alu instid0(VALU_DEP_2) | instskip(NEXT) | instid1(TRANS32_DEP_1)
	v_rcp_f64_e32 v[17:18], v[15:16]
	v_fma_f64 v[19:20], -v[15:16], v[17:18], 1.0
	s_delay_alu instid0(VALU_DEP_1) | instskip(NEXT) | instid1(VALU_DEP_1)
	v_fma_f64 v[17:18], v[17:18], v[19:20], v[17:18]
	v_fma_f64 v[19:20], -v[15:16], v[17:18], 1.0
	s_delay_alu instid0(VALU_DEP_1) | instskip(NEXT) | instid1(VALU_DEP_1)
	v_fma_f64 v[17:18], v[17:18], v[19:20], v[17:18]
	v_mul_f64_e32 v[19:20], v[26:27], v[17:18]
	s_delay_alu instid0(VALU_DEP_1) | instskip(SKIP_1) | instid1(VALU_DEP_1)
	v_fma_f64 v[15:16], -v[15:16], v[19:20], v[26:27]
	s_wait_alu 0xfffd
	v_div_fmas_f64 v[15:16], v[15:16], v[17:18], v[19:20]
	s_delay_alu instid0(VALU_DEP_1) | instskip(NEXT) | instid1(VALU_DEP_1)
	v_div_fixup_f64 v[15:16], v[15:16], v[4:5], v[2:3]
	v_fma_f64 v[2:3], v[2:3], v[15:16], v[4:5]
	s_delay_alu instid0(VALU_DEP_1) | instskip(NEXT) | instid1(VALU_DEP_1)
	v_div_scale_f64 v[4:5], null, v[2:3], v[2:3], 1.0
	v_rcp_f64_e32 v[17:18], v[4:5]
	s_delay_alu instid0(TRANS32_DEP_1) | instskip(NEXT) | instid1(VALU_DEP_1)
	v_fma_f64 v[19:20], -v[4:5], v[17:18], 1.0
	v_fma_f64 v[17:18], v[17:18], v[19:20], v[17:18]
	s_delay_alu instid0(VALU_DEP_1) | instskip(NEXT) | instid1(VALU_DEP_1)
	v_fma_f64 v[19:20], -v[4:5], v[17:18], 1.0
	v_fma_f64 v[17:18], v[17:18], v[19:20], v[17:18]
	v_div_scale_f64 v[19:20], vcc_lo, 1.0, v[2:3], 1.0
	s_delay_alu instid0(VALU_DEP_1) | instskip(NEXT) | instid1(VALU_DEP_1)
	v_mul_f64_e32 v[26:27], v[19:20], v[17:18]
	v_fma_f64 v[4:5], -v[4:5], v[26:27], v[19:20]
	s_wait_alu 0xfffd
	s_delay_alu instid0(VALU_DEP_1) | instskip(NEXT) | instid1(VALU_DEP_1)
	v_div_fmas_f64 v[4:5], v[4:5], v[17:18], v[26:27]
	v_div_fixup_f64 v[4:5], v[4:5], v[2:3], 1.0
	s_delay_alu instid0(VALU_DEP_1)
	v_mul_f64_e32 v[2:3], v[15:16], v[4:5]
	v_xor_b32_e32 v5, 0x80000000, v5
.LBB241_39:                             ;   in Loop: Header=BB241_6 Depth=1
	s_wait_alu 0xfffe
	s_and_not1_saveexec_b32 s19, s19
	s_cbranch_execz .LBB241_2
; %bb.40:                               ;   in Loop: Header=BB241_6 Depth=1
	s_delay_alu instid0(VALU_DEP_1) | instskip(SKIP_1) | instid1(VALU_DEP_2)
	v_div_scale_f64 v[15:16], null, v[2:3], v[2:3], v[4:5]
	v_div_scale_f64 v[26:27], vcc_lo, v[4:5], v[2:3], v[4:5]
	v_rcp_f64_e32 v[17:18], v[15:16]
	s_delay_alu instid0(TRANS32_DEP_1) | instskip(NEXT) | instid1(VALU_DEP_1)
	v_fma_f64 v[19:20], -v[15:16], v[17:18], 1.0
	v_fma_f64 v[17:18], v[17:18], v[19:20], v[17:18]
	s_delay_alu instid0(VALU_DEP_1) | instskip(NEXT) | instid1(VALU_DEP_1)
	v_fma_f64 v[19:20], -v[15:16], v[17:18], 1.0
	v_fma_f64 v[17:18], v[17:18], v[19:20], v[17:18]
	s_delay_alu instid0(VALU_DEP_1) | instskip(NEXT) | instid1(VALU_DEP_1)
	v_mul_f64_e32 v[19:20], v[26:27], v[17:18]
	v_fma_f64 v[15:16], -v[15:16], v[19:20], v[26:27]
	s_wait_alu 0xfffd
	s_delay_alu instid0(VALU_DEP_1) | instskip(NEXT) | instid1(VALU_DEP_1)
	v_div_fmas_f64 v[15:16], v[15:16], v[17:18], v[19:20]
	v_div_fixup_f64 v[15:16], v[15:16], v[2:3], v[4:5]
	s_delay_alu instid0(VALU_DEP_1) | instskip(NEXT) | instid1(VALU_DEP_1)
	v_fma_f64 v[2:3], v[4:5], v[15:16], v[2:3]
	v_div_scale_f64 v[4:5], null, v[2:3], v[2:3], 1.0
	s_delay_alu instid0(VALU_DEP_1) | instskip(NEXT) | instid1(TRANS32_DEP_1)
	v_rcp_f64_e32 v[17:18], v[4:5]
	v_fma_f64 v[19:20], -v[4:5], v[17:18], 1.0
	s_delay_alu instid0(VALU_DEP_1) | instskip(NEXT) | instid1(VALU_DEP_1)
	v_fma_f64 v[17:18], v[17:18], v[19:20], v[17:18]
	v_fma_f64 v[19:20], -v[4:5], v[17:18], 1.0
	s_delay_alu instid0(VALU_DEP_1) | instskip(SKIP_1) | instid1(VALU_DEP_1)
	v_fma_f64 v[17:18], v[17:18], v[19:20], v[17:18]
	v_div_scale_f64 v[19:20], vcc_lo, 1.0, v[2:3], 1.0
	v_mul_f64_e32 v[26:27], v[19:20], v[17:18]
	s_delay_alu instid0(VALU_DEP_1) | instskip(SKIP_1) | instid1(VALU_DEP_1)
	v_fma_f64 v[4:5], -v[4:5], v[26:27], v[19:20]
	s_wait_alu 0xfffd
	v_div_fmas_f64 v[4:5], v[4:5], v[17:18], v[26:27]
	s_delay_alu instid0(VALU_DEP_1) | instskip(NEXT) | instid1(VALU_DEP_1)
	v_div_fixup_f64 v[2:3], v[4:5], v[2:3], 1.0
	v_mul_f64_e64 v[4:5], v[15:16], -v[2:3]
	s_branch .LBB241_2
.LBB241_41:
	s_endpgm
	.section	.rodata,"a",@progbits
	.p2align	6, 0x0
	.amdhsa_kernel _ZL39rocblas_trsm_block_forward_substitutionI19rocblas_complex_numIdES1_PKPKS1_PKPS1_Lb0ELb0ELb0EEv18rocblas_operation_llT0_T1_lllT2_lllib
		.amdhsa_group_segment_fixed_size 0
		.amdhsa_private_segment_fixed_size 0
		.amdhsa_kernarg_size 368
		.amdhsa_user_sgpr_count 2
		.amdhsa_user_sgpr_dispatch_ptr 0
		.amdhsa_user_sgpr_queue_ptr 0
		.amdhsa_user_sgpr_kernarg_segment_ptr 1
		.amdhsa_user_sgpr_dispatch_id 0
		.amdhsa_user_sgpr_private_segment_size 0
		.amdhsa_wavefront_size32 1
		.amdhsa_uses_dynamic_stack 0
		.amdhsa_enable_private_segment 0
		.amdhsa_system_sgpr_workgroup_id_x 1
		.amdhsa_system_sgpr_workgroup_id_y 1
		.amdhsa_system_sgpr_workgroup_id_z 1
		.amdhsa_system_sgpr_workgroup_info 0
		.amdhsa_system_vgpr_workitem_id 1
		.amdhsa_next_free_vgpr 34
		.amdhsa_next_free_sgpr 42
		.amdhsa_reserve_vcc 1
		.amdhsa_float_round_mode_32 0
		.amdhsa_float_round_mode_16_64 0
		.amdhsa_float_denorm_mode_32 3
		.amdhsa_float_denorm_mode_16_64 3
		.amdhsa_fp16_overflow 0
		.amdhsa_workgroup_processor_mode 1
		.amdhsa_memory_ordered 1
		.amdhsa_forward_progress 1
		.amdhsa_inst_pref_size 24
		.amdhsa_round_robin_scheduling 0
		.amdhsa_exception_fp_ieee_invalid_op 0
		.amdhsa_exception_fp_denorm_src 0
		.amdhsa_exception_fp_ieee_div_zero 0
		.amdhsa_exception_fp_ieee_overflow 0
		.amdhsa_exception_fp_ieee_underflow 0
		.amdhsa_exception_fp_ieee_inexact 0
		.amdhsa_exception_int_div_zero 0
	.end_amdhsa_kernel
	.section	.text._ZL39rocblas_trsm_block_forward_substitutionI19rocblas_complex_numIdES1_PKPKS1_PKPS1_Lb0ELb0ELb0EEv18rocblas_operation_llT0_T1_lllT2_lllib,"axG",@progbits,_ZL39rocblas_trsm_block_forward_substitutionI19rocblas_complex_numIdES1_PKPKS1_PKPS1_Lb0ELb0ELb0EEv18rocblas_operation_llT0_T1_lllT2_lllib,comdat
.Lfunc_end241:
	.size	_ZL39rocblas_trsm_block_forward_substitutionI19rocblas_complex_numIdES1_PKPKS1_PKPS1_Lb0ELb0ELb0EEv18rocblas_operation_llT0_T1_lllT2_lllib, .Lfunc_end241-_ZL39rocblas_trsm_block_forward_substitutionI19rocblas_complex_numIdES1_PKPKS1_PKPS1_Lb0ELb0ELb0EEv18rocblas_operation_llT0_T1_lllT2_lllib
                                        ; -- End function
	.set _ZL39rocblas_trsm_block_forward_substitutionI19rocblas_complex_numIdES1_PKPKS1_PKPS1_Lb0ELb0ELb0EEv18rocblas_operation_llT0_T1_lllT2_lllib.num_vgpr, 34
	.set _ZL39rocblas_trsm_block_forward_substitutionI19rocblas_complex_numIdES1_PKPKS1_PKPS1_Lb0ELb0ELb0EEv18rocblas_operation_llT0_T1_lllT2_lllib.num_agpr, 0
	.set _ZL39rocblas_trsm_block_forward_substitutionI19rocblas_complex_numIdES1_PKPKS1_PKPS1_Lb0ELb0ELb0EEv18rocblas_operation_llT0_T1_lllT2_lllib.numbered_sgpr, 42
	.set _ZL39rocblas_trsm_block_forward_substitutionI19rocblas_complex_numIdES1_PKPKS1_PKPS1_Lb0ELb0ELb0EEv18rocblas_operation_llT0_T1_lllT2_lllib.num_named_barrier, 0
	.set _ZL39rocblas_trsm_block_forward_substitutionI19rocblas_complex_numIdES1_PKPKS1_PKPS1_Lb0ELb0ELb0EEv18rocblas_operation_llT0_T1_lllT2_lllib.private_seg_size, 0
	.set _ZL39rocblas_trsm_block_forward_substitutionI19rocblas_complex_numIdES1_PKPKS1_PKPS1_Lb0ELb0ELb0EEv18rocblas_operation_llT0_T1_lllT2_lllib.uses_vcc, 1
	.set _ZL39rocblas_trsm_block_forward_substitutionI19rocblas_complex_numIdES1_PKPKS1_PKPS1_Lb0ELb0ELb0EEv18rocblas_operation_llT0_T1_lllT2_lllib.uses_flat_scratch, 0
	.set _ZL39rocblas_trsm_block_forward_substitutionI19rocblas_complex_numIdES1_PKPKS1_PKPS1_Lb0ELb0ELb0EEv18rocblas_operation_llT0_T1_lllT2_lllib.has_dyn_sized_stack, 0
	.set _ZL39rocblas_trsm_block_forward_substitutionI19rocblas_complex_numIdES1_PKPKS1_PKPS1_Lb0ELb0ELb0EEv18rocblas_operation_llT0_T1_lllT2_lllib.has_recursion, 0
	.set _ZL39rocblas_trsm_block_forward_substitutionI19rocblas_complex_numIdES1_PKPKS1_PKPS1_Lb0ELb0ELb0EEv18rocblas_operation_llT0_T1_lllT2_lllib.has_indirect_call, 0
	.section	.AMDGPU.csdata,"",@progbits
; Kernel info:
; codeLenInByte = 3068
; TotalNumSgprs: 44
; NumVgprs: 34
; ScratchSize: 0
; MemoryBound: 1
; FloatMode: 240
; IeeeMode: 1
; LDSByteSize: 0 bytes/workgroup (compile time only)
; SGPRBlocks: 0
; VGPRBlocks: 4
; NumSGPRsForWavesPerEU: 44
; NumVGPRsForWavesPerEU: 34
; Occupancy: 16
; WaveLimiterHint : 1
; COMPUTE_PGM_RSRC2:SCRATCH_EN: 0
; COMPUTE_PGM_RSRC2:USER_SGPR: 2
; COMPUTE_PGM_RSRC2:TRAP_HANDLER: 0
; COMPUTE_PGM_RSRC2:TGID_X_EN: 1
; COMPUTE_PGM_RSRC2:TGID_Y_EN: 1
; COMPUTE_PGM_RSRC2:TGID_Z_EN: 1
; COMPUTE_PGM_RSRC2:TIDIG_COMP_CNT: 1
	.section	.text._ZL40rocblas_trsm_block_backward_substitutionI19rocblas_complex_numIdES1_PKPKS1_PKPS1_Lb0ELb0ELb0EEv18rocblas_operation_llT0_T1_lllT2_lllib,"axG",@progbits,_ZL40rocblas_trsm_block_backward_substitutionI19rocblas_complex_numIdES1_PKPKS1_PKPS1_Lb0ELb0ELb0EEv18rocblas_operation_llT0_T1_lllT2_lllib,comdat
	.globl	_ZL40rocblas_trsm_block_backward_substitutionI19rocblas_complex_numIdES1_PKPKS1_PKPS1_Lb0ELb0ELb0EEv18rocblas_operation_llT0_T1_lllT2_lllib ; -- Begin function _ZL40rocblas_trsm_block_backward_substitutionI19rocblas_complex_numIdES1_PKPKS1_PKPS1_Lb0ELb0ELb0EEv18rocblas_operation_llT0_T1_lllT2_lllib
	.p2align	8
	.type	_ZL40rocblas_trsm_block_backward_substitutionI19rocblas_complex_numIdES1_PKPKS1_PKPS1_Lb0ELb0ELb0EEv18rocblas_operation_llT0_T1_lllT2_lllib,@function
_ZL40rocblas_trsm_block_backward_substitutionI19rocblas_complex_numIdES1_PKPKS1_PKPS1_Lb0ELb0ELb0EEv18rocblas_operation_llT0_T1_lllT2_lllib: ; @_ZL40rocblas_trsm_block_backward_substitutionI19rocblas_complex_numIdES1_PKPKS1_PKPS1_Lb0ELb0ELb0EEv18rocblas_operation_llT0_T1_lllT2_lllib
; %bb.0:
	s_load_b64 s[20:21], s[0:1], 0x68
	s_lshr_b32 s22, ttmp7, 16
	s_wait_kmcnt 0x0
	s_cmp_ge_u32 s22, s20
	s_cbranch_scc1 .LBB242_42
; %bb.1:
	s_mov_b64 s[28:29], src_shared_base
	s_clause 0x6
	s_load_b64 s[24:25], s[0:1], 0x38
	s_load_b64 s[2:3], s[0:1], 0x58
	s_load_b32 s28, s[0:1], 0x0
	s_load_b128 s[12:15], s[0:1], 0x28
	s_load_b256 s[4:11], s[0:1], 0x8
	s_load_u16 s33, s[0:1], 0x7e
	s_load_b128 s[16:19], s[0:1], 0x48
	s_bitcmp1_b32 s21, 0
	s_add_nc_u64 s[26:27], s[0:1], 0x70
	s_cselect_b32 s0, -1, 0
	v_dual_mov_b32 v8, 0 :: v_dual_and_b32 v7, 0x3ff, v0
	v_bfe_u32 v6, v0, 10, 10
	s_xor_b32 s21, s0, -1
	v_cndmask_b32_e64 v25, 0, 1, s0
	s_mov_b32 s23, 0
	v_lshlrev_b32_e32 v26, 4, v7
	v_lshl_add_u32 v28, v6, 4, 0
	v_lshlrev_b32_e32 v29, 4, v7
	s_wait_kmcnt 0x0
	v_mad_co_u64_u32 v[0:1], null, s24, v7, 0
	s_cmp_eq_u32 s28, 0x71
	v_mad_co_u64_u32 v[2:3], null, s2, v7, 0
	s_cselect_b32 s0, -1, 0
	s_wait_alu 0xfffe
	s_and_b32 s1, ttmp7, 0xffff
	s_lshl_b32 s2, s33, 4
	s_wait_alu 0xfffe
	v_mad_co_u64_u32 v[4:5], null, s1, s33, v[6:7]
	v_mov_b32_e32 v5, v8
	v_mad_co_u64_u32 v[9:10], null, s25, v7, v[1:2]
	v_cmp_le_i64_e64 s42, s[4:5], v[7:8]
	v_cmp_gt_i64_e64 s1, s[4:5], v[7:8]
	s_add_co_i32 s28, s2, 0
	v_mad_co_u64_u32 v[10:11], null, s3, v7, v[3:4]
	v_cmp_gt_i64_e32 vcc_lo, s[6:7], v[4:5]
	v_mov_b32_e32 v1, v9
	v_cmp_gt_i64_e64 s43, s[4:5], 1
	v_cmp_gt_i64_e64 s45, s[4:5], 0
	v_lshlrev_b64_e32 v[13:14], 4, v[4:5]
	v_add_nc_u32_e32 v27, s28, v26
	v_mov_b32_e32 v3, v10
	v_lshlrev_b64_e32 v[9:10], 4, v[0:1]
	v_cmp_eq_u32_e64 s2, 0, v7
	s_add_nc_u64 s[6:7], s[4:5], -1
	s_and_b32 s44, vcc_lo, s1
	v_lshlrev_b64_e32 v[11:12], 4, v[2:3]
	s_wait_alu 0xfffe
	s_lshl_b64 s[30:31], s[6:7], 4
	s_lshl_b64 s[14:15], s[14:15], 4
	s_xor_b32 s46, s42, -1
	s_lshl_b64 s[18:19], s[18:19], 4
	s_branch .LBB242_6
.LBB242_2:                              ;   in Loop: Header=BB242_6 Depth=1
	s_wait_alu 0xfffe
	s_or_b32 exec_lo, exec_lo, s34
.LBB242_3:                              ;   in Loop: Header=BB242_6 Depth=1
	s_wait_loadcnt_dscnt 0x0
	s_delay_alu instid0(VALU_DEP_1) | instskip(NEXT) | instid1(VALU_DEP_3)
	v_mul_f64_e32 v[19:20], v[17:18], v[4:5]
	v_mul_f64_e32 v[17:18], v[17:18], v[2:3]
	s_delay_alu instid0(VALU_DEP_2) | instskip(NEXT) | instid1(VALU_DEP_2)
	v_fma_f64 v[2:3], v[0:1], v[2:3], -v[19:20]
	v_fma_f64 v[17:18], v[0:1], v[4:5], v[17:18]
	s_delay_alu instid0(VALU_DEP_2)
	v_dual_mov_b32 v0, v2 :: v_dual_mov_b32 v1, v3
.LBB242_4:                              ;   in Loop: Header=BB242_6 Depth=1
	s_wait_alu 0xfffe
	s_or_b32 exec_lo, exec_lo, s38
	s_delay_alu instid0(VALU_DEP_1)
	v_dual_mov_b32 v2, v17 :: v_dual_mov_b32 v3, v18
	flat_store_b128 v[15:16], v[0:3]
.LBB242_5:                              ;   in Loop: Header=BB242_6 Depth=1
	s_wait_alu 0xfffe
	s_or_b32 exec_lo, exec_lo, s3
	s_add_co_i32 s22, s22, 0x10000
	s_delay_alu instid0(SALU_CYCLE_1)
	s_cmp_lt_u32 s22, s20
	s_cbranch_scc0 .LBB242_42
.LBB242_6:                              ; =>This Loop Header: Depth=1
                                        ;     Child Loop BB242_12 Depth 2
                                        ;     Child Loop BB242_26 Depth 2
	s_lshl_b64 s[34:35], s[22:23], 3
	v_cmp_ne_u32_e32 vcc_lo, 1, v25
	s_wait_alu 0xfffe
	s_add_nc_u64 s[36:37], s[12:13], s[34:35]
	s_add_nc_u64 s[34:35], s[16:17], s[34:35]
	global_load_b64 v[0:1], v8, s[36:37]
	s_wait_loadcnt 0x1
	global_load_b64 v[4:5], v8, s[34:35]
	s_and_b32 vcc_lo, exec_lo, vcc_lo
	s_mov_b64 s[34:35], 1
	s_mov_b64 s[36:37], s[24:25]
	s_wait_loadcnt 0x1
	v_add_co_u32 v19, s3, v0, s14
	s_wait_alu 0xf1ff
	v_add_co_ci_u32_e64 v20, null, s15, v1, s3
	s_wait_alu 0xfffe
	s_cbranch_vccz .LBB242_8
; %bb.7:                                ;   in Loop: Header=BB242_6 Depth=1
	s_and_saveexec_b32 s3, s44
	s_cbranch_execz .LBB242_5
	s_branch .LBB242_23
.LBB242_8:                              ;   in Loop: Header=BB242_6 Depth=1
	s_and_not1_b32 vcc_lo, exec_lo, s45
	s_wait_alu 0xfffe
	s_cbranch_vccnz .LBB242_22
; %bb.9:                                ;   in Loop: Header=BB242_6 Depth=1
	v_add_co_u32 v22, vcc_lo, v19, v9
	s_wait_alu 0xfffd
	v_add_co_ci_u32_e64 v23, null, v20, v10, vcc_lo
	v_mov_b32_e32 v17, v6
	s_delay_alu instid0(VALU_DEP_3) | instskip(SKIP_1) | instid1(VALU_DEP_3)
	v_add_co_u32 v15, vcc_lo, v22, v29
	s_wait_alu 0xfffd
	v_add_co_ci_u32_e64 v16, null, 0, v23, vcc_lo
	s_mov_b32 s34, s33
	s_branch .LBB242_12
.LBB242_10:                             ;   in Loop: Header=BB242_12 Depth=2
	s_wait_alu 0xfffe
	s_or_b32 exec_lo, exec_lo, s35
	s_load_b32 s35, s[26:27], 0xc
	s_wait_kmcnt 0x0
	s_and_b32 s35, s35, 0xffff
	s_wait_alu 0xfffe
	v_mul_u32_u24_e32 v0, s35, v7
	s_delay_alu instid0(VALU_DEP_1)
	v_lshl_add_u32 v0, v0, 4, v27
	ds_store_2addr_b64 v0, v[18:19], v[20:21] offset1:1
.LBB242_11:                             ;   in Loop: Header=BB242_12 Depth=2
	s_wait_alu 0xfffe
	s_or_b32 exec_lo, exec_lo, s3
	s_ashr_i32 s35, s34, 31
	v_add_nc_u32_e32 v17, s33, v17
	s_wait_alu 0xfffe
	v_cmp_le_i64_e64 s3, s[4:5], s[34:35]
	s_add_co_i32 s34, s34, s33
	s_and_b32 vcc_lo, exec_lo, s3
	s_wait_alu 0xfffe
	s_cbranch_vccnz .LBB242_22
.LBB242_12:                             ;   Parent Loop BB242_6 Depth=1
                                        ; =>  This Inner Loop Header: Depth=2
	s_mov_b32 s36, s42
	s_and_saveexec_b32 s35, s1
	s_cbranch_execz .LBB242_16
; %bb.13:                               ;   in Loop: Header=BB242_12 Depth=2
	v_ashrrev_i32_e32 v18, 31, v17
	v_cmp_lt_i32_e64 s3, v7, v17
	s_mov_b32 s36, -1
	v_cmp_gt_i64_e32 vcc_lo, s[4:5], v[17:18]
	s_and_b32 s37, s3, vcc_lo
	s_wait_alu 0xfffe
	s_and_saveexec_b32 s3, s37
	s_cbranch_execz .LBB242_15
; %bb.14:                               ;   in Loop: Header=BB242_12 Depth=2
	v_lshlrev_b64_e32 v[0:1], 4, v[17:18]
	s_load_b32 s36, s[26:27], 0xc
	s_delay_alu instid0(VALU_DEP_1) | instskip(SKIP_1) | instid1(VALU_DEP_2)
	v_add_co_u32 v0, vcc_lo, v22, v0
	s_wait_alu 0xfffd
	v_add_co_ci_u32_e64 v1, null, v23, v1, vcc_lo
	flat_load_b128 v[0:3], v[0:1]
	s_wait_kmcnt 0x0
	s_and_b32 s36, s36, 0xffff
	s_wait_alu 0xfffe
	v_mul_lo_u32 v18, v17, s36
	s_xor_b32 s36, exec_lo, -1
	s_delay_alu instid0(VALU_DEP_1)
	v_lshl_add_u32 v18, v18, 4, v27
	s_wait_loadcnt_dscnt 0x0
	ds_store_2addr_b64 v18, v[0:1], v[2:3] offset1:1
.LBB242_15:                             ;   in Loop: Header=BB242_12 Depth=2
	s_wait_alu 0xfffe
	s_or_b32 exec_lo, exec_lo, s3
	s_delay_alu instid0(SALU_CYCLE_1)
	s_and_not1_b32 s3, s42, exec_lo
	s_and_b32 s36, s36, exec_lo
	s_wait_alu 0xfffe
	s_or_b32 s36, s3, s36
.LBB242_16:                             ;   in Loop: Header=BB242_12 Depth=2
	s_wait_alu 0xfffe
	s_or_b32 exec_lo, exec_lo, s35
	s_and_saveexec_b32 s3, s36
	s_cbranch_execz .LBB242_11
; %bb.17:                               ;   in Loop: Header=BB242_12 Depth=2
	v_cmp_eq_u32_e32 vcc_lo, v7, v17
	s_and_b32 s35, s46, vcc_lo
	s_wait_alu 0xfffe
	s_and_b32 exec_lo, exec_lo, s35
	s_cbranch_execz .LBB242_11
; %bb.18:                               ;   in Loop: Header=BB242_12 Depth=2
	flat_load_b128 v[0:3], v[15:16]
                                        ; implicit-def: $vgpr18_vgpr19
	s_wait_loadcnt_dscnt 0x0
	v_cmp_ngt_f64_e64 s35, |v[0:1]|, |v[2:3]|
	s_and_saveexec_b32 s36, s35
	s_wait_alu 0xfffe
	s_xor_b32 s35, exec_lo, s36
                                        ; implicit-def: $vgpr20_vgpr21
	s_cbranch_execz .LBB242_20
; %bb.19:                               ;   in Loop: Header=BB242_12 Depth=2
	v_div_scale_f64 v[18:19], null, v[2:3], v[2:3], v[0:1]
	v_div_scale_f64 v[32:33], vcc_lo, v[0:1], v[2:3], v[0:1]
	s_delay_alu instid0(VALU_DEP_2) | instskip(NEXT) | instid1(TRANS32_DEP_1)
	v_rcp_f64_e32 v[20:21], v[18:19]
	v_fma_f64 v[30:31], -v[18:19], v[20:21], 1.0
	s_delay_alu instid0(VALU_DEP_1) | instskip(NEXT) | instid1(VALU_DEP_1)
	v_fma_f64 v[20:21], v[20:21], v[30:31], v[20:21]
	v_fma_f64 v[30:31], -v[18:19], v[20:21], 1.0
	s_delay_alu instid0(VALU_DEP_1) | instskip(NEXT) | instid1(VALU_DEP_1)
	v_fma_f64 v[20:21], v[20:21], v[30:31], v[20:21]
	v_mul_f64_e32 v[30:31], v[32:33], v[20:21]
	s_delay_alu instid0(VALU_DEP_1) | instskip(SKIP_1) | instid1(VALU_DEP_1)
	v_fma_f64 v[18:19], -v[18:19], v[30:31], v[32:33]
	s_wait_alu 0xfffd
	v_div_fmas_f64 v[18:19], v[18:19], v[20:21], v[30:31]
	s_delay_alu instid0(VALU_DEP_1) | instskip(NEXT) | instid1(VALU_DEP_1)
	v_div_fixup_f64 v[18:19], v[18:19], v[2:3], v[0:1]
	v_fma_f64 v[0:1], v[0:1], v[18:19], v[2:3]
	s_delay_alu instid0(VALU_DEP_1) | instskip(NEXT) | instid1(VALU_DEP_1)
	v_div_scale_f64 v[2:3], null, v[0:1], v[0:1], 1.0
	v_rcp_f64_e32 v[20:21], v[2:3]
	s_delay_alu instid0(TRANS32_DEP_1) | instskip(NEXT) | instid1(VALU_DEP_1)
	v_fma_f64 v[30:31], -v[2:3], v[20:21], 1.0
	v_fma_f64 v[20:21], v[20:21], v[30:31], v[20:21]
	s_delay_alu instid0(VALU_DEP_1) | instskip(NEXT) | instid1(VALU_DEP_1)
	v_fma_f64 v[30:31], -v[2:3], v[20:21], 1.0
	v_fma_f64 v[20:21], v[20:21], v[30:31], v[20:21]
	v_div_scale_f64 v[30:31], vcc_lo, 1.0, v[0:1], 1.0
	s_delay_alu instid0(VALU_DEP_1) | instskip(NEXT) | instid1(VALU_DEP_1)
	v_mul_f64_e32 v[32:33], v[30:31], v[20:21]
	v_fma_f64 v[2:3], -v[2:3], v[32:33], v[30:31]
	s_wait_alu 0xfffd
	s_delay_alu instid0(VALU_DEP_1) | instskip(NEXT) | instid1(VALU_DEP_1)
	v_div_fmas_f64 v[2:3], v[2:3], v[20:21], v[32:33]
	v_div_fixup_f64 v[20:21], v[2:3], v[0:1], 1.0
                                        ; implicit-def: $vgpr0_vgpr1
	s_delay_alu instid0(VALU_DEP_1)
	v_mul_f64_e32 v[18:19], v[18:19], v[20:21]
	v_xor_b32_e32 v21, 0x80000000, v21
.LBB242_20:                             ;   in Loop: Header=BB242_12 Depth=2
	s_wait_alu 0xfffe
	s_and_not1_saveexec_b32 s35, s35
	s_cbranch_execz .LBB242_10
; %bb.21:                               ;   in Loop: Header=BB242_12 Depth=2
	v_div_scale_f64 v[18:19], null, v[0:1], v[0:1], v[2:3]
	v_div_scale_f64 v[32:33], vcc_lo, v[2:3], v[0:1], v[2:3]
	s_delay_alu instid0(VALU_DEP_2) | instskip(NEXT) | instid1(TRANS32_DEP_1)
	v_rcp_f64_e32 v[20:21], v[18:19]
	v_fma_f64 v[30:31], -v[18:19], v[20:21], 1.0
	s_delay_alu instid0(VALU_DEP_1) | instskip(NEXT) | instid1(VALU_DEP_1)
	v_fma_f64 v[20:21], v[20:21], v[30:31], v[20:21]
	v_fma_f64 v[30:31], -v[18:19], v[20:21], 1.0
	s_delay_alu instid0(VALU_DEP_1) | instskip(NEXT) | instid1(VALU_DEP_1)
	v_fma_f64 v[20:21], v[20:21], v[30:31], v[20:21]
	v_mul_f64_e32 v[30:31], v[32:33], v[20:21]
	s_delay_alu instid0(VALU_DEP_1) | instskip(SKIP_1) | instid1(VALU_DEP_1)
	v_fma_f64 v[18:19], -v[18:19], v[30:31], v[32:33]
	s_wait_alu 0xfffd
	v_div_fmas_f64 v[18:19], v[18:19], v[20:21], v[30:31]
	s_delay_alu instid0(VALU_DEP_1) | instskip(NEXT) | instid1(VALU_DEP_1)
	v_div_fixup_f64 v[20:21], v[18:19], v[0:1], v[2:3]
	v_fma_f64 v[0:1], v[2:3], v[20:21], v[0:1]
	s_delay_alu instid0(VALU_DEP_1) | instskip(NEXT) | instid1(VALU_DEP_1)
	v_div_scale_f64 v[2:3], null, v[0:1], v[0:1], 1.0
	v_rcp_f64_e32 v[18:19], v[2:3]
	s_delay_alu instid0(TRANS32_DEP_1) | instskip(NEXT) | instid1(VALU_DEP_1)
	v_fma_f64 v[30:31], -v[2:3], v[18:19], 1.0
	v_fma_f64 v[18:19], v[18:19], v[30:31], v[18:19]
	s_delay_alu instid0(VALU_DEP_1) | instskip(NEXT) | instid1(VALU_DEP_1)
	v_fma_f64 v[30:31], -v[2:3], v[18:19], 1.0
	v_fma_f64 v[18:19], v[18:19], v[30:31], v[18:19]
	v_div_scale_f64 v[30:31], vcc_lo, 1.0, v[0:1], 1.0
	s_delay_alu instid0(VALU_DEP_1) | instskip(NEXT) | instid1(VALU_DEP_1)
	v_mul_f64_e32 v[32:33], v[30:31], v[18:19]
	v_fma_f64 v[2:3], -v[2:3], v[32:33], v[30:31]
	s_wait_alu 0xfffd
	s_delay_alu instid0(VALU_DEP_1) | instskip(NEXT) | instid1(VALU_DEP_1)
	v_div_fmas_f64 v[2:3], v[2:3], v[18:19], v[32:33]
	v_div_fixup_f64 v[18:19], v[2:3], v[0:1], 1.0
	s_delay_alu instid0(VALU_DEP_1)
	v_mul_f64_e64 v[20:21], v[20:21], -v[18:19]
	s_branch .LBB242_10
.LBB242_22:                             ;   in Loop: Header=BB242_6 Depth=1
	s_load_b32 s3, s[26:27], 0xc
	v_dual_mov_b32 v19, s28 :: v_dual_mov_b32 v20, s29
	s_mov_b32 s35, s23
	s_mov_b64 s[36:37], 1
	s_wait_kmcnt 0x0
	s_and_b32 s34, s3, 0xffff
	s_and_saveexec_b32 s3, s44
	s_cbranch_execz .LBB242_5
.LBB242_23:                             ;   in Loop: Header=BB242_6 Depth=1
	s_wait_loadcnt 0x0
	v_add_co_u32 v0, vcc_lo, v4, s18
	s_wait_alu 0xfffd
	v_add_co_ci_u32_e64 v1, null, s19, v5, vcc_lo
	s_delay_alu instid0(VALU_DEP_2) | instskip(SKIP_1) | instid1(VALU_DEP_2)
	v_add_co_u32 v0, vcc_lo, v0, v11
	s_wait_alu 0xfffd
	v_add_co_ci_u32_e64 v1, null, v1, v12, vcc_lo
	s_delay_alu instid0(VALU_DEP_2) | instskip(SKIP_1) | instid1(VALU_DEP_2)
	v_add_co_u32 v15, vcc_lo, v0, v13
	s_wait_alu 0xfffd
	v_add_co_ci_u32_e64 v16, null, v1, v14, vcc_lo
	s_and_not1_b32 vcc_lo, exec_lo, s43
	flat_load_b128 v[2:5], v[15:16]
	s_wait_loadcnt_dscnt 0x0
	v_mul_f64_e32 v[0:1], s[10:11], v[4:5]
	v_mul_f64_e32 v[4:5], s[8:9], v[4:5]
	s_delay_alu instid0(VALU_DEP_2) | instskip(NEXT) | instid1(VALU_DEP_2)
	v_fma_f64 v[0:1], s[8:9], v[2:3], -v[0:1]
	v_fma_f64 v[17:18], s[10:11], v[2:3], v[4:5]
	s_wait_alu 0xfffe
	s_cbranch_vccnz .LBB242_36
; %bb.24:                               ;   in Loop: Header=BB242_6 Depth=1
	s_mul_u64 s[40:41], s[30:31], s[34:35]
	s_add_nc_u64 s[38:39], s[34:35], s[36:37]
	s_wait_alu 0xfffe
	v_add_co_u32 v4, vcc_lo, v19, s40
	s_wait_alu 0xfffd
	v_add_co_ci_u32_e64 v5, null, s41, v20, vcc_lo
	v_mad_co_u64_u32 v[2:3], null, s38, v7, 0
	s_lshl_b32 s38, s34, 4
	v_mad_co_u64_u32 v[4:5], null, v26, s36, v[4:5]
	s_mov_b64 s[40:41], s[6:7]
	v_mad_co_u64_u32 v[21:22], null, s39, v7, v[3:4]
	v_mad_co_u64_u32 v[22:23], null, v26, s37, v[5:6]
	s_mov_b32 s39, s23
	s_wait_alu 0xfffe
	s_sub_nc_u64 s[38:39], 0, s[38:39]
	v_mov_b32_e32 v3, v21
	v_add_co_u32 v21, vcc_lo, v4, 8
	s_wait_alu 0xfffd
	v_add_co_ci_u32_e64 v22, null, 0, v22, vcc_lo
	s_delay_alu instid0(VALU_DEP_3) | instskip(NEXT) | instid1(VALU_DEP_1)
	v_lshlrev_b64_e32 v[2:3], 4, v[2:3]
	v_add_co_u32 v23, vcc_lo, v19, v2
	s_wait_alu 0xfffd
	s_delay_alu instid0(VALU_DEP_2)
	v_add_co_ci_u32_e64 v24, null, v20, v3, vcc_lo
	s_branch .LBB242_26
.LBB242_25:                             ;   in Loop: Header=BB242_26 Depth=2
	s_or_b32 exec_lo, exec_lo, s47
	s_add_nc_u64 s[48:49], s[40:41], 1
	s_wait_alu 0xfffe
	v_add_co_u32 v21, vcc_lo, v21, s38
	v_cmp_lt_u64_e64 s47, s[48:49], 3
	s_wait_alu 0xfffd
	v_add_co_ci_u32_e64 v22, null, s39, v22, vcc_lo
	s_add_nc_u64 s[40:41], s[40:41], -1
	s_and_b32 vcc_lo, exec_lo, s47
	s_wait_alu 0xfffe
	s_cbranch_vccnz .LBB242_36
.LBB242_26:                             ;   Parent Loop BB242_6 Depth=1
                                        ; =>  This Inner Loop Header: Depth=2
	s_mov_b32 s47, exec_lo
	s_barrier_signal -1
	s_barrier_wait -1
	global_inv scope:SCOPE_SE
	v_cmpx_eq_u64_e64 s[40:41], v[7:8]
	s_cbranch_execz .LBB242_34
; %bb.27:                               ;   in Loop: Header=BB242_26 Depth=2
	flat_load_b128 v[2:5], v[23:24]
	s_and_not1_b32 vcc_lo, exec_lo, s21
	s_wait_alu 0xfffe
	s_cbranch_vccnz .LBB242_33
; %bb.28:                               ;   in Loop: Header=BB242_26 Depth=2
	s_wait_loadcnt_dscnt 0x0
	v_cmp_ngt_f64_e64 s48, |v[2:3]|, |v[4:5]|
	s_and_saveexec_b32 s49, s48
	s_wait_alu 0xfffe
	s_xor_b32 s48, exec_lo, s49
	s_cbranch_execz .LBB242_30
; %bb.29:                               ;   in Loop: Header=BB242_26 Depth=2
	v_div_scale_f64 v[30:31], null, v[4:5], v[4:5], v[2:3]
	v_div_scale_f64 v[36:37], vcc_lo, v[2:3], v[4:5], v[2:3]
	s_delay_alu instid0(VALU_DEP_2) | instskip(NEXT) | instid1(TRANS32_DEP_1)
	v_rcp_f64_e32 v[32:33], v[30:31]
	v_fma_f64 v[34:35], -v[30:31], v[32:33], 1.0
	s_delay_alu instid0(VALU_DEP_1) | instskip(NEXT) | instid1(VALU_DEP_1)
	v_fma_f64 v[32:33], v[32:33], v[34:35], v[32:33]
	v_fma_f64 v[34:35], -v[30:31], v[32:33], 1.0
	s_delay_alu instid0(VALU_DEP_1) | instskip(NEXT) | instid1(VALU_DEP_1)
	v_fma_f64 v[32:33], v[32:33], v[34:35], v[32:33]
	v_mul_f64_e32 v[34:35], v[36:37], v[32:33]
	s_delay_alu instid0(VALU_DEP_1) | instskip(SKIP_1) | instid1(VALU_DEP_1)
	v_fma_f64 v[30:31], -v[30:31], v[34:35], v[36:37]
	s_wait_alu 0xfffd
	v_div_fmas_f64 v[30:31], v[30:31], v[32:33], v[34:35]
	s_delay_alu instid0(VALU_DEP_1) | instskip(NEXT) | instid1(VALU_DEP_1)
	v_div_fixup_f64 v[30:31], v[30:31], v[4:5], v[2:3]
	v_fma_f64 v[2:3], v[2:3], v[30:31], v[4:5]
	s_delay_alu instid0(VALU_DEP_1) | instskip(NEXT) | instid1(VALU_DEP_1)
	v_div_scale_f64 v[4:5], null, v[2:3], v[2:3], 1.0
	v_rcp_f64_e32 v[32:33], v[4:5]
	s_delay_alu instid0(TRANS32_DEP_1) | instskip(NEXT) | instid1(VALU_DEP_1)
	v_fma_f64 v[34:35], -v[4:5], v[32:33], 1.0
	v_fma_f64 v[32:33], v[32:33], v[34:35], v[32:33]
	s_delay_alu instid0(VALU_DEP_1) | instskip(NEXT) | instid1(VALU_DEP_1)
	v_fma_f64 v[34:35], -v[4:5], v[32:33], 1.0
	v_fma_f64 v[32:33], v[32:33], v[34:35], v[32:33]
	v_div_scale_f64 v[34:35], vcc_lo, 1.0, v[2:3], 1.0
	s_delay_alu instid0(VALU_DEP_1) | instskip(NEXT) | instid1(VALU_DEP_1)
	v_mul_f64_e32 v[36:37], v[34:35], v[32:33]
	v_fma_f64 v[4:5], -v[4:5], v[36:37], v[34:35]
	s_wait_alu 0xfffd
	s_delay_alu instid0(VALU_DEP_1) | instskip(NEXT) | instid1(VALU_DEP_1)
	v_div_fmas_f64 v[4:5], v[4:5], v[32:33], v[36:37]
	v_div_fixup_f64 v[4:5], v[4:5], v[2:3], 1.0
	s_delay_alu instid0(VALU_DEP_1)
	v_mul_f64_e32 v[2:3], v[30:31], v[4:5]
	v_xor_b32_e32 v5, 0x80000000, v5
.LBB242_30:                             ;   in Loop: Header=BB242_26 Depth=2
	s_wait_alu 0xfffe
	s_and_not1_saveexec_b32 s48, s48
	s_cbranch_execz .LBB242_32
; %bb.31:                               ;   in Loop: Header=BB242_26 Depth=2
	s_delay_alu instid0(VALU_DEP_1) | instskip(SKIP_1) | instid1(VALU_DEP_2)
	v_div_scale_f64 v[30:31], null, v[2:3], v[2:3], v[4:5]
	v_div_scale_f64 v[36:37], vcc_lo, v[4:5], v[2:3], v[4:5]
	v_rcp_f64_e32 v[32:33], v[30:31]
	s_delay_alu instid0(TRANS32_DEP_1) | instskip(NEXT) | instid1(VALU_DEP_1)
	v_fma_f64 v[34:35], -v[30:31], v[32:33], 1.0
	v_fma_f64 v[32:33], v[32:33], v[34:35], v[32:33]
	s_delay_alu instid0(VALU_DEP_1) | instskip(NEXT) | instid1(VALU_DEP_1)
	v_fma_f64 v[34:35], -v[30:31], v[32:33], 1.0
	v_fma_f64 v[32:33], v[32:33], v[34:35], v[32:33]
	s_delay_alu instid0(VALU_DEP_1) | instskip(NEXT) | instid1(VALU_DEP_1)
	v_mul_f64_e32 v[34:35], v[36:37], v[32:33]
	v_fma_f64 v[30:31], -v[30:31], v[34:35], v[36:37]
	s_wait_alu 0xfffd
	s_delay_alu instid0(VALU_DEP_1) | instskip(NEXT) | instid1(VALU_DEP_1)
	v_div_fmas_f64 v[30:31], v[30:31], v[32:33], v[34:35]
	v_div_fixup_f64 v[30:31], v[30:31], v[2:3], v[4:5]
	s_delay_alu instid0(VALU_DEP_1) | instskip(NEXT) | instid1(VALU_DEP_1)
	v_fma_f64 v[2:3], v[4:5], v[30:31], v[2:3]
	v_div_scale_f64 v[4:5], null, v[2:3], v[2:3], 1.0
	s_delay_alu instid0(VALU_DEP_1) | instskip(NEXT) | instid1(TRANS32_DEP_1)
	v_rcp_f64_e32 v[32:33], v[4:5]
	v_fma_f64 v[34:35], -v[4:5], v[32:33], 1.0
	s_delay_alu instid0(VALU_DEP_1) | instskip(NEXT) | instid1(VALU_DEP_1)
	v_fma_f64 v[32:33], v[32:33], v[34:35], v[32:33]
	v_fma_f64 v[34:35], -v[4:5], v[32:33], 1.0
	s_delay_alu instid0(VALU_DEP_1) | instskip(SKIP_1) | instid1(VALU_DEP_1)
	v_fma_f64 v[32:33], v[32:33], v[34:35], v[32:33]
	v_div_scale_f64 v[34:35], vcc_lo, 1.0, v[2:3], 1.0
	v_mul_f64_e32 v[36:37], v[34:35], v[32:33]
	s_delay_alu instid0(VALU_DEP_1) | instskip(SKIP_1) | instid1(VALU_DEP_1)
	v_fma_f64 v[4:5], -v[4:5], v[36:37], v[34:35]
	s_wait_alu 0xfffd
	v_div_fmas_f64 v[4:5], v[4:5], v[32:33], v[36:37]
	s_delay_alu instid0(VALU_DEP_1) | instskip(NEXT) | instid1(VALU_DEP_1)
	v_div_fixup_f64 v[2:3], v[4:5], v[2:3], 1.0
	v_mul_f64_e64 v[4:5], v[30:31], -v[2:3]
.LBB242_32:                             ;   in Loop: Header=BB242_26 Depth=2
	s_wait_alu 0xfffe
	s_or_b32 exec_lo, exec_lo, s48
.LBB242_33:                             ;   in Loop: Header=BB242_26 Depth=2
	s_wait_loadcnt_dscnt 0x0
	s_delay_alu instid0(VALU_DEP_1) | instskip(SKIP_1) | instid1(VALU_DEP_2)
	v_mul_f64_e32 v[30:31], v[17:18], v[4:5]
	v_mul_f64_e32 v[4:5], v[0:1], v[4:5]
	v_fma_f64 v[30:31], v[0:1], v[2:3], -v[30:31]
	s_delay_alu instid0(VALU_DEP_2) | instskip(NEXT) | instid1(VALU_DEP_2)
	v_fma_f64 v[17:18], v[17:18], v[2:3], v[4:5]
	v_dual_mov_b32 v0, v30 :: v_dual_mov_b32 v1, v31
	ds_store_2addr_b64 v28, v[30:31], v[17:18] offset1:1
.LBB242_34:                             ;   in Loop: Header=BB242_26 Depth=2
	s_or_b32 exec_lo, exec_lo, s47
	s_delay_alu instid0(SALU_CYCLE_1)
	s_mov_b32 s47, exec_lo
	s_wait_loadcnt_dscnt 0x0
	s_barrier_signal -1
	s_barrier_wait -1
	global_inv scope:SCOPE_SE
	v_cmpx_gt_i64_e64 s[40:41], v[7:8]
	s_cbranch_execz .LBB242_25
; %bb.35:                               ;   in Loop: Header=BB242_26 Depth=2
	flat_load_b128 v[2:5], v[21:22] offset:-8
	ds_load_2addr_b64 v[30:33], v28 offset1:1
	s_wait_loadcnt_dscnt 0x1
	v_xor_b32_e32 v34, 0x80000000, v5
	s_delay_alu instid0(VALU_DEP_1) | instskip(SKIP_1) | instid1(VALU_DEP_1)
	v_cndmask_b32_e64 v5, v5, v34, s0
	s_wait_dscnt 0x0
	v_mul_f64_e32 v[34:35], v[4:5], v[32:33]
	v_mul_f64_e32 v[32:33], v[2:3], v[32:33]
	s_delay_alu instid0(VALU_DEP_2) | instskip(NEXT) | instid1(VALU_DEP_2)
	v_fma_f64 v[2:3], v[2:3], v[30:31], -v[34:35]
	v_fma_f64 v[4:5], v[4:5], v[30:31], v[32:33]
	s_delay_alu instid0(VALU_DEP_2) | instskip(NEXT) | instid1(VALU_DEP_2)
	v_add_f64_e64 v[0:1], v[0:1], -v[2:3]
	v_add_f64_e64 v[17:18], v[17:18], -v[4:5]
	s_branch .LBB242_25
.LBB242_36:                             ;   in Loop: Header=BB242_6 Depth=1
	s_and_saveexec_b32 s38, s2
	s_cbranch_execz .LBB242_4
; %bb.37:                               ;   in Loop: Header=BB242_6 Depth=1
	s_add_nc_u64 s[34:35], s[34:35], s[36:37]
	s_wait_alu 0xfffe
	v_mad_co_u64_u32 v[2:3], null, s34, v7, 0
	s_delay_alu instid0(VALU_DEP_1) | instskip(NEXT) | instid1(VALU_DEP_1)
	v_mad_co_u64_u32 v[3:4], null, s35, v7, v[3:4]
	v_lshlrev_b64_e32 v[2:3], 4, v[2:3]
	s_delay_alu instid0(VALU_DEP_1) | instskip(SKIP_1) | instid1(VALU_DEP_2)
	v_add_co_u32 v2, vcc_lo, v19, v2
	s_wait_alu 0xfffd
	v_add_co_ci_u32_e64 v3, null, v20, v3, vcc_lo
	s_and_not1_b32 vcc_lo, exec_lo, s21
	flat_load_b128 v[2:5], v[2:3]
	s_wait_alu 0xfffe
	s_cbranch_vccnz .LBB242_3
; %bb.38:                               ;   in Loop: Header=BB242_6 Depth=1
	s_wait_loadcnt_dscnt 0x0
	v_cmp_ngt_f64_e64 s34, |v[2:3]|, |v[4:5]|
	s_and_saveexec_b32 s35, s34
	s_wait_alu 0xfffe
	s_xor_b32 s34, exec_lo, s35
	s_cbranch_execz .LBB242_40
; %bb.39:                               ;   in Loop: Header=BB242_6 Depth=1
	v_div_scale_f64 v[19:20], null, v[4:5], v[4:5], v[2:3]
	v_div_scale_f64 v[30:31], vcc_lo, v[2:3], v[4:5], v[2:3]
	s_delay_alu instid0(VALU_DEP_2) | instskip(NEXT) | instid1(TRANS32_DEP_1)
	v_rcp_f64_e32 v[21:22], v[19:20]
	v_fma_f64 v[23:24], -v[19:20], v[21:22], 1.0
	s_delay_alu instid0(VALU_DEP_1) | instskip(NEXT) | instid1(VALU_DEP_1)
	v_fma_f64 v[21:22], v[21:22], v[23:24], v[21:22]
	v_fma_f64 v[23:24], -v[19:20], v[21:22], 1.0
	s_delay_alu instid0(VALU_DEP_1) | instskip(NEXT) | instid1(VALU_DEP_1)
	v_fma_f64 v[21:22], v[21:22], v[23:24], v[21:22]
	v_mul_f64_e32 v[23:24], v[30:31], v[21:22]
	s_delay_alu instid0(VALU_DEP_1) | instskip(SKIP_1) | instid1(VALU_DEP_1)
	v_fma_f64 v[19:20], -v[19:20], v[23:24], v[30:31]
	s_wait_alu 0xfffd
	v_div_fmas_f64 v[19:20], v[19:20], v[21:22], v[23:24]
	s_delay_alu instid0(VALU_DEP_1) | instskip(NEXT) | instid1(VALU_DEP_1)
	v_div_fixup_f64 v[19:20], v[19:20], v[4:5], v[2:3]
	v_fma_f64 v[2:3], v[2:3], v[19:20], v[4:5]
	s_delay_alu instid0(VALU_DEP_1) | instskip(NEXT) | instid1(VALU_DEP_1)
	v_div_scale_f64 v[4:5], null, v[2:3], v[2:3], 1.0
	v_rcp_f64_e32 v[21:22], v[4:5]
	s_delay_alu instid0(TRANS32_DEP_1) | instskip(NEXT) | instid1(VALU_DEP_1)
	v_fma_f64 v[23:24], -v[4:5], v[21:22], 1.0
	v_fma_f64 v[21:22], v[21:22], v[23:24], v[21:22]
	s_delay_alu instid0(VALU_DEP_1) | instskip(NEXT) | instid1(VALU_DEP_1)
	v_fma_f64 v[23:24], -v[4:5], v[21:22], 1.0
	v_fma_f64 v[21:22], v[21:22], v[23:24], v[21:22]
	v_div_scale_f64 v[23:24], vcc_lo, 1.0, v[2:3], 1.0
	s_delay_alu instid0(VALU_DEP_1) | instskip(NEXT) | instid1(VALU_DEP_1)
	v_mul_f64_e32 v[30:31], v[23:24], v[21:22]
	v_fma_f64 v[4:5], -v[4:5], v[30:31], v[23:24]
	s_wait_alu 0xfffd
	s_delay_alu instid0(VALU_DEP_1) | instskip(NEXT) | instid1(VALU_DEP_1)
	v_div_fmas_f64 v[4:5], v[4:5], v[21:22], v[30:31]
	v_div_fixup_f64 v[4:5], v[4:5], v[2:3], 1.0
	s_delay_alu instid0(VALU_DEP_1)
	v_mul_f64_e32 v[2:3], v[19:20], v[4:5]
	v_xor_b32_e32 v5, 0x80000000, v5
.LBB242_40:                             ;   in Loop: Header=BB242_6 Depth=1
	s_wait_alu 0xfffe
	s_and_not1_saveexec_b32 s34, s34
	s_cbranch_execz .LBB242_2
; %bb.41:                               ;   in Loop: Header=BB242_6 Depth=1
	s_delay_alu instid0(VALU_DEP_1) | instskip(SKIP_1) | instid1(VALU_DEP_2)
	v_div_scale_f64 v[19:20], null, v[2:3], v[2:3], v[4:5]
	v_div_scale_f64 v[30:31], vcc_lo, v[4:5], v[2:3], v[4:5]
	v_rcp_f64_e32 v[21:22], v[19:20]
	s_delay_alu instid0(TRANS32_DEP_1) | instskip(NEXT) | instid1(VALU_DEP_1)
	v_fma_f64 v[23:24], -v[19:20], v[21:22], 1.0
	v_fma_f64 v[21:22], v[21:22], v[23:24], v[21:22]
	s_delay_alu instid0(VALU_DEP_1) | instskip(NEXT) | instid1(VALU_DEP_1)
	v_fma_f64 v[23:24], -v[19:20], v[21:22], 1.0
	v_fma_f64 v[21:22], v[21:22], v[23:24], v[21:22]
	s_delay_alu instid0(VALU_DEP_1) | instskip(NEXT) | instid1(VALU_DEP_1)
	v_mul_f64_e32 v[23:24], v[30:31], v[21:22]
	v_fma_f64 v[19:20], -v[19:20], v[23:24], v[30:31]
	s_wait_alu 0xfffd
	s_delay_alu instid0(VALU_DEP_1) | instskip(NEXT) | instid1(VALU_DEP_1)
	v_div_fmas_f64 v[19:20], v[19:20], v[21:22], v[23:24]
	v_div_fixup_f64 v[19:20], v[19:20], v[2:3], v[4:5]
	s_delay_alu instid0(VALU_DEP_1) | instskip(NEXT) | instid1(VALU_DEP_1)
	v_fma_f64 v[2:3], v[4:5], v[19:20], v[2:3]
	v_div_scale_f64 v[4:5], null, v[2:3], v[2:3], 1.0
	s_delay_alu instid0(VALU_DEP_1) | instskip(NEXT) | instid1(TRANS32_DEP_1)
	v_rcp_f64_e32 v[21:22], v[4:5]
	v_fma_f64 v[23:24], -v[4:5], v[21:22], 1.0
	s_delay_alu instid0(VALU_DEP_1) | instskip(NEXT) | instid1(VALU_DEP_1)
	v_fma_f64 v[21:22], v[21:22], v[23:24], v[21:22]
	v_fma_f64 v[23:24], -v[4:5], v[21:22], 1.0
	s_delay_alu instid0(VALU_DEP_1) | instskip(SKIP_1) | instid1(VALU_DEP_1)
	v_fma_f64 v[21:22], v[21:22], v[23:24], v[21:22]
	v_div_scale_f64 v[23:24], vcc_lo, 1.0, v[2:3], 1.0
	v_mul_f64_e32 v[30:31], v[23:24], v[21:22]
	s_delay_alu instid0(VALU_DEP_1) | instskip(SKIP_1) | instid1(VALU_DEP_1)
	v_fma_f64 v[4:5], -v[4:5], v[30:31], v[23:24]
	s_wait_alu 0xfffd
	v_div_fmas_f64 v[4:5], v[4:5], v[21:22], v[30:31]
	s_delay_alu instid0(VALU_DEP_1) | instskip(NEXT) | instid1(VALU_DEP_1)
	v_div_fixup_f64 v[2:3], v[4:5], v[2:3], 1.0
	v_mul_f64_e64 v[4:5], v[19:20], -v[2:3]
	s_branch .LBB242_2
.LBB242_42:
	s_endpgm
	.section	.rodata,"a",@progbits
	.p2align	6, 0x0
	.amdhsa_kernel _ZL40rocblas_trsm_block_backward_substitutionI19rocblas_complex_numIdES1_PKPKS1_PKPS1_Lb0ELb0ELb0EEv18rocblas_operation_llT0_T1_lllT2_lllib
		.amdhsa_group_segment_fixed_size 0
		.amdhsa_private_segment_fixed_size 0
		.amdhsa_kernarg_size 368
		.amdhsa_user_sgpr_count 2
		.amdhsa_user_sgpr_dispatch_ptr 0
		.amdhsa_user_sgpr_queue_ptr 0
		.amdhsa_user_sgpr_kernarg_segment_ptr 1
		.amdhsa_user_sgpr_dispatch_id 0
		.amdhsa_user_sgpr_private_segment_size 0
		.amdhsa_wavefront_size32 1
		.amdhsa_uses_dynamic_stack 0
		.amdhsa_enable_private_segment 0
		.amdhsa_system_sgpr_workgroup_id_x 1
		.amdhsa_system_sgpr_workgroup_id_y 1
		.amdhsa_system_sgpr_workgroup_id_z 1
		.amdhsa_system_sgpr_workgroup_info 0
		.amdhsa_system_vgpr_workitem_id 1
		.amdhsa_next_free_vgpr 38
		.amdhsa_next_free_sgpr 50
		.amdhsa_reserve_vcc 1
		.amdhsa_float_round_mode_32 0
		.amdhsa_float_round_mode_16_64 0
		.amdhsa_float_denorm_mode_32 3
		.amdhsa_float_denorm_mode_16_64 3
		.amdhsa_fp16_overflow 0
		.amdhsa_workgroup_processor_mode 1
		.amdhsa_memory_ordered 1
		.amdhsa_forward_progress 1
		.amdhsa_inst_pref_size 25
		.amdhsa_round_robin_scheduling 0
		.amdhsa_exception_fp_ieee_invalid_op 0
		.amdhsa_exception_fp_denorm_src 0
		.amdhsa_exception_fp_ieee_div_zero 0
		.amdhsa_exception_fp_ieee_overflow 0
		.amdhsa_exception_fp_ieee_underflow 0
		.amdhsa_exception_fp_ieee_inexact 0
		.amdhsa_exception_int_div_zero 0
	.end_amdhsa_kernel
	.section	.text._ZL40rocblas_trsm_block_backward_substitutionI19rocblas_complex_numIdES1_PKPKS1_PKPS1_Lb0ELb0ELb0EEv18rocblas_operation_llT0_T1_lllT2_lllib,"axG",@progbits,_ZL40rocblas_trsm_block_backward_substitutionI19rocblas_complex_numIdES1_PKPKS1_PKPS1_Lb0ELb0ELb0EEv18rocblas_operation_llT0_T1_lllT2_lllib,comdat
.Lfunc_end242:
	.size	_ZL40rocblas_trsm_block_backward_substitutionI19rocblas_complex_numIdES1_PKPKS1_PKPS1_Lb0ELb0ELb0EEv18rocblas_operation_llT0_T1_lllT2_lllib, .Lfunc_end242-_ZL40rocblas_trsm_block_backward_substitutionI19rocblas_complex_numIdES1_PKPKS1_PKPS1_Lb0ELb0ELb0EEv18rocblas_operation_llT0_T1_lllT2_lllib
                                        ; -- End function
	.set _ZL40rocblas_trsm_block_backward_substitutionI19rocblas_complex_numIdES1_PKPKS1_PKPS1_Lb0ELb0ELb0EEv18rocblas_operation_llT0_T1_lllT2_lllib.num_vgpr, 38
	.set _ZL40rocblas_trsm_block_backward_substitutionI19rocblas_complex_numIdES1_PKPKS1_PKPS1_Lb0ELb0ELb0EEv18rocblas_operation_llT0_T1_lllT2_lllib.num_agpr, 0
	.set _ZL40rocblas_trsm_block_backward_substitutionI19rocblas_complex_numIdES1_PKPKS1_PKPS1_Lb0ELb0ELb0EEv18rocblas_operation_llT0_T1_lllT2_lllib.numbered_sgpr, 50
	.set _ZL40rocblas_trsm_block_backward_substitutionI19rocblas_complex_numIdES1_PKPKS1_PKPS1_Lb0ELb0ELb0EEv18rocblas_operation_llT0_T1_lllT2_lllib.num_named_barrier, 0
	.set _ZL40rocblas_trsm_block_backward_substitutionI19rocblas_complex_numIdES1_PKPKS1_PKPS1_Lb0ELb0ELb0EEv18rocblas_operation_llT0_T1_lllT2_lllib.private_seg_size, 0
	.set _ZL40rocblas_trsm_block_backward_substitutionI19rocblas_complex_numIdES1_PKPKS1_PKPS1_Lb0ELb0ELb0EEv18rocblas_operation_llT0_T1_lllT2_lllib.uses_vcc, 1
	.set _ZL40rocblas_trsm_block_backward_substitutionI19rocblas_complex_numIdES1_PKPKS1_PKPS1_Lb0ELb0ELb0EEv18rocblas_operation_llT0_T1_lllT2_lllib.uses_flat_scratch, 0
	.set _ZL40rocblas_trsm_block_backward_substitutionI19rocblas_complex_numIdES1_PKPKS1_PKPS1_Lb0ELb0ELb0EEv18rocblas_operation_llT0_T1_lllT2_lllib.has_dyn_sized_stack, 0
	.set _ZL40rocblas_trsm_block_backward_substitutionI19rocblas_complex_numIdES1_PKPKS1_PKPS1_Lb0ELb0ELb0EEv18rocblas_operation_llT0_T1_lllT2_lllib.has_recursion, 0
	.set _ZL40rocblas_trsm_block_backward_substitutionI19rocblas_complex_numIdES1_PKPKS1_PKPS1_Lb0ELb0ELb0EEv18rocblas_operation_llT0_T1_lllT2_lllib.has_indirect_call, 0
	.section	.AMDGPU.csdata,"",@progbits
; Kernel info:
; codeLenInByte = 3192
; TotalNumSgprs: 52
; NumVgprs: 38
; ScratchSize: 0
; MemoryBound: 1
; FloatMode: 240
; IeeeMode: 1
; LDSByteSize: 0 bytes/workgroup (compile time only)
; SGPRBlocks: 0
; VGPRBlocks: 4
; NumSGPRsForWavesPerEU: 52
; NumVGPRsForWavesPerEU: 38
; Occupancy: 16
; WaveLimiterHint : 1
; COMPUTE_PGM_RSRC2:SCRATCH_EN: 0
; COMPUTE_PGM_RSRC2:USER_SGPR: 2
; COMPUTE_PGM_RSRC2:TRAP_HANDLER: 0
; COMPUTE_PGM_RSRC2:TGID_X_EN: 1
; COMPUTE_PGM_RSRC2:TGID_Y_EN: 1
; COMPUTE_PGM_RSRC2:TGID_Z_EN: 1
; COMPUTE_PGM_RSRC2:TIDIG_COMP_CNT: 1
	.section	.text._ZL39rocblas_trsm_block_forward_substitutionI19rocblas_complex_numIdES1_PKPKS1_PKPS1_Lb0ELb0ELb1EEv18rocblas_operation_llT0_T1_lllT2_lllib,"axG",@progbits,_ZL39rocblas_trsm_block_forward_substitutionI19rocblas_complex_numIdES1_PKPKS1_PKPS1_Lb0ELb0ELb1EEv18rocblas_operation_llT0_T1_lllT2_lllib,comdat
	.globl	_ZL39rocblas_trsm_block_forward_substitutionI19rocblas_complex_numIdES1_PKPKS1_PKPS1_Lb0ELb0ELb1EEv18rocblas_operation_llT0_T1_lllT2_lllib ; -- Begin function _ZL39rocblas_trsm_block_forward_substitutionI19rocblas_complex_numIdES1_PKPKS1_PKPS1_Lb0ELb0ELb1EEv18rocblas_operation_llT0_T1_lllT2_lllib
	.p2align	8
	.type	_ZL39rocblas_trsm_block_forward_substitutionI19rocblas_complex_numIdES1_PKPKS1_PKPS1_Lb0ELb0ELb1EEv18rocblas_operation_llT0_T1_lllT2_lllib,@function
_ZL39rocblas_trsm_block_forward_substitutionI19rocblas_complex_numIdES1_PKPKS1_PKPS1_Lb0ELb0ELb1EEv18rocblas_operation_llT0_T1_lllT2_lllib: ; @_ZL39rocblas_trsm_block_forward_substitutionI19rocblas_complex_numIdES1_PKPKS1_PKPS1_Lb0ELb0ELb1EEv18rocblas_operation_llT0_T1_lllT2_lllib
; %bb.0:
	s_load_b64 s[20:21], s[0:1], 0x68
	s_lshr_b32 s22, ttmp7, 16
	s_wait_kmcnt 0x0
	s_cmp_ge_u32 s22, s20
	s_cbranch_scc1 .LBB243_19
; %bb.1:
	s_clause 0x2
	s_load_b32 s2, s[0:1], 0x0
	s_load_u16 s3, s[0:1], 0x7e
	s_load_b64 s[30:31], s[0:1], 0x58
	s_bitcmp1_b32 s21, 0
	v_bfe_u32 v4, v0, 10, 10
	s_cselect_b32 s21, -1, 0
	v_mov_b32_e32 v6, 0
	s_add_nc_u64 s[24:25], s[0:1], 0x70
	s_mov_b64 s[26:27], src_shared_base
	v_lshl_add_u32 v13, v4, 4, 0
	s_mov_b32 s23, 0
	s_wait_kmcnt 0x0
	s_cmp_eq_u32 s2, 0x71
	s_cselect_b32 s2, -1, 0
	s_and_b32 s4, ttmp7, 0xffff
	s_delay_alu instid0(SALU_CYCLE_1)
	v_mad_co_u64_u32 v[1:2], null, s4, s3, v[4:5]
	s_clause 0x3
	s_load_b256 s[4:11], s[0:1], 0x8
	s_load_b128 s[12:15], s[0:1], 0x48
	s_load_b128 s[16:19], s[0:1], 0x28
	s_load_b64 s[28:29], s[0:1], 0x38
	v_and_b32_e32 v5, 0x3ff, v0
	s_lshl_b32 s1, s3, 4
	s_delay_alu instid0(SALU_CYCLE_1) | instskip(SKIP_1) | instid1(VALU_DEP_2)
	s_add_co_i32 s26, s1, 0
	v_mad_co_u64_u32 v[7:8], null, s30, v1, 0
	v_lshlrev_b32_e32 v16, 4, v5
	v_dual_mov_b32 v2, v6 :: v_dual_lshlrev_b32 v3, 4, v5
	s_delay_alu instid0(VALU_DEP_1) | instskip(SKIP_3) | instid1(VALU_DEP_3)
	v_dual_mov_b32 v0, v8 :: v_dual_add_nc_u32 v15, s26, v3
	v_or_b32_e32 v14, 8, v3
	s_wait_kmcnt 0x0
	v_cmp_gt_i64_e64 s0, s[4:5], v[5:6]
	v_mad_co_u64_u32 v[8:9], null, s31, v1, v[0:1]
	v_cmp_gt_i64_e32 vcc_lo, s[6:7], v[1:2]
	v_cmp_gt_i64_e64 s1, s[4:5], 0
	v_cmp_gt_i64_e64 s36, s[4:5], 1
	s_add_nc_u64 s[6:7], s[4:5], -1
	s_lshl_b64 s[18:19], s[18:19], 4
	s_lshl_b64 s[14:15], s[14:15], 4
	v_lshlrev_b64_e32 v[7:8], 4, v[7:8]
	s_and_b32 s33, vcc_lo, s0
	s_branch .LBB243_4
.LBB243_2:                              ;   in Loop: Header=BB243_4 Depth=1
	flat_store_b128 v[9:10], v[0:3]
.LBB243_3:                              ;   in Loop: Header=BB243_4 Depth=1
	s_or_b32 exec_lo, exec_lo, s37
	s_add_co_i32 s22, s22, 0x10000
	s_delay_alu instid0(SALU_CYCLE_1)
	s_cmp_lt_u32 s22, s20
	s_cbranch_scc0 .LBB243_19
.LBB243_4:                              ; =>This Loop Header: Depth=1
                                        ;     Child Loop BB243_9 Depth 2
                                        ;     Child Loop BB243_15 Depth 2
	s_lshl_b64 s[30:31], s[22:23], 3
	s_wait_alu 0xfffe
	s_add_nc_u64 s[34:35], s[16:17], s[30:31]
	s_add_nc_u64 s[30:31], s[12:13], s[30:31]
	global_load_b64 v[2:3], v6, s[34:35]
	s_wait_loadcnt 0x1
	global_load_b64 v[0:1], v6, s[30:31]
	s_wait_loadcnt 0x1
	v_add_co_u32 v11, vcc_lo, v2, s18
	s_wait_alu 0xfffd
	v_add_co_ci_u32_e64 v12, null, s19, v3, vcc_lo
	s_and_not1_b32 vcc_lo, exec_lo, s21
	s_wait_alu 0xfffe
	s_cbranch_vccz .LBB243_6
; %bb.5:                                ;   in Loop: Header=BB243_4 Depth=1
	s_and_saveexec_b32 s37, s33
	s_cbranch_execz .LBB243_3
	s_branch .LBB243_12
.LBB243_6:                              ;   in Loop: Header=BB243_4 Depth=1
	s_and_not1_b32 vcc_lo, exec_lo, s1
	s_wait_alu 0xfffe
	s_cbranch_vccnz .LBB243_11
; %bb.7:                                ;   in Loop: Header=BB243_4 Depth=1
	v_add_co_u32 v2, vcc_lo, v11, v16
	s_wait_alu 0xfffd
	v_add_co_ci_u32_e64 v3, null, 0, v12, vcc_lo
	s_mov_b32 s30, 0
	s_branch .LBB243_9
.LBB243_8:                              ;   in Loop: Header=BB243_9 Depth=2
	s_wait_alu 0xfffe
	s_or_b32 exec_lo, exec_lo, s31
	s_add_co_i32 s30, s30, s3
	s_wait_alu 0xfffe
	s_ashr_i32 s31, s30, 31
	s_wait_alu 0xfffe
	v_cmp_le_i64_e64 s31, s[4:5], s[30:31]
	s_and_b32 vcc_lo, exec_lo, s31
	s_wait_alu 0xfffe
	s_cbranch_vccnz .LBB243_11
.LBB243_9:                              ;   Parent Loop BB243_4 Depth=1
                                        ; =>  This Inner Loop Header: Depth=2
	s_wait_alu 0xfffe
	v_add_nc_u32_e32 v9, s30, v4
	s_delay_alu instid0(VALU_DEP_1)
	v_cmp_gt_i32_e32 vcc_lo, v5, v9
	s_and_b32 s34, s0, vcc_lo
	s_wait_alu 0xfffe
	s_and_saveexec_b32 s31, s34
	s_cbranch_execz .LBB243_8
; %bb.10:                               ;   in Loop: Header=BB243_9 Depth=2
	v_ashrrev_i32_e32 v12, 31, v9
	v_mul_lo_u32 v17, s29, v9
	v_mad_co_u64_u32 v[10:11], null, s28, v9, 0
	s_load_b32 s34, s[24:25], 0xc
	v_mul_lo_u32 v12, s28, v12
	s_delay_alu instid0(VALU_DEP_1) | instskip(NEXT) | instid1(VALU_DEP_1)
	v_add3_u32 v11, v11, v12, v17
	v_lshlrev_b64_e32 v[10:11], 4, v[10:11]
	s_wait_kmcnt 0x0
	s_and_b32 s34, s34, 0xffff
	s_delay_alu instid0(VALU_DEP_1) | instskip(SKIP_1) | instid1(VALU_DEP_2)
	v_add_co_u32 v10, vcc_lo, v2, v10
	s_wait_alu 0xfffd
	v_add_co_ci_u32_e64 v11, null, v3, v11, vcc_lo
	s_wait_alu 0xfffe
	v_mul_lo_u32 v9, v9, s34
	flat_load_b128 v[17:20], v[10:11]
	v_lshl_add_u32 v9, v9, 4, v15
	s_wait_loadcnt_dscnt 0x0
	ds_store_2addr_b64 v9, v[17:18], v[19:20] offset1:1
	s_branch .LBB243_8
.LBB243_11:                             ;   in Loop: Header=BB243_4 Depth=1
	s_load_b32 s28, s[24:25], 0xc
	v_dual_mov_b32 v11, s26 :: v_dual_mov_b32 v12, s27
	s_mov_b32 s29, s23
	s_wait_kmcnt 0x0
	s_and_b32 s28, s28, 0xffff
	s_and_saveexec_b32 s37, s33
	s_cbranch_execz .LBB243_3
.LBB243_12:                             ;   in Loop: Header=BB243_4 Depth=1
	s_wait_loadcnt 0x0
	v_add_co_u32 v0, vcc_lo, v0, s14
	s_wait_alu 0xfffd
	v_add_co_ci_u32_e64 v1, null, s15, v1, vcc_lo
	s_delay_alu instid0(VALU_DEP_2) | instskip(SKIP_1) | instid1(VALU_DEP_2)
	v_add_co_u32 v0, vcc_lo, v0, v7
	s_wait_alu 0xfffd
	v_add_co_ci_u32_e64 v1, null, v1, v8, vcc_lo
	s_delay_alu instid0(VALU_DEP_2) | instskip(SKIP_1) | instid1(VALU_DEP_2)
	v_add_co_u32 v9, vcc_lo, v0, v16
	s_wait_alu 0xfffd
	v_add_co_ci_u32_e64 v10, null, 0, v1, vcc_lo
	s_and_not1_b32 vcc_lo, exec_lo, s36
	flat_load_b128 v[17:20], v[9:10]
	s_wait_loadcnt_dscnt 0x0
	v_mul_f64_e32 v[0:1], s[10:11], v[19:20]
	v_mul_f64_e32 v[2:3], s[8:9], v[19:20]
	s_delay_alu instid0(VALU_DEP_2) | instskip(NEXT) | instid1(VALU_DEP_2)
	v_fma_f64 v[0:1], s[8:9], v[17:18], -v[0:1]
	v_fma_f64 v[2:3], s[10:11], v[17:18], v[2:3]
	s_wait_alu 0xfffe
	s_cbranch_vccnz .LBB243_2
; %bb.13:                               ;   in Loop: Header=BB243_4 Depth=1
	v_add_co_u32 v11, vcc_lo, v11, v14
	s_wait_alu 0xfffd
	v_add_co_ci_u32_e64 v12, null, 0, v12, vcc_lo
	s_lshl_b64 s[30:31], s[28:29], 4
	s_mov_b64 s[34:35], 0
	s_branch .LBB243_15
.LBB243_14:                             ;   in Loop: Header=BB243_15 Depth=2
	s_or_b32 exec_lo, exec_lo, s38
	v_add_co_u32 v11, vcc_lo, v11, s30
	s_wait_alu 0xfffd
	v_add_co_ci_u32_e64 v12, null, s31, v12, vcc_lo
	s_add_nc_u64 s[34:35], s[34:35], 1
	s_wait_alu 0xfffe
	s_cmp_eq_u64 s[6:7], s[34:35]
	s_cbranch_scc1 .LBB243_2
.LBB243_15:                             ;   Parent Loop BB243_4 Depth=1
                                        ; =>  This Inner Loop Header: Depth=2
	s_mov_b32 s38, exec_lo
	s_barrier_signal -1
	s_barrier_wait -1
	global_inv scope:SCOPE_SE
	s_wait_alu 0xfffe
	v_cmpx_eq_u64_e64 s[34:35], v[5:6]
; %bb.16:                               ;   in Loop: Header=BB243_15 Depth=2
	ds_store_2addr_b64 v13, v[0:1], v[2:3] offset1:1
; %bb.17:                               ;   in Loop: Header=BB243_15 Depth=2
	s_or_b32 exec_lo, exec_lo, s38
	s_delay_alu instid0(SALU_CYCLE_1)
	s_mov_b32 s38, exec_lo
	s_wait_loadcnt_dscnt 0x0
	s_barrier_signal -1
	s_barrier_wait -1
	global_inv scope:SCOPE_SE
	v_cmpx_lt_u64_e64 s[34:35], v[5:6]
	s_cbranch_execz .LBB243_14
; %bb.18:                               ;   in Loop: Header=BB243_15 Depth=2
	flat_load_b128 v[17:20], v[11:12] offset:-8
	ds_load_2addr_b64 v[21:24], v13 offset1:1
	s_wait_loadcnt_dscnt 0x1
	v_xor_b32_e32 v25, 0x80000000, v20
	s_delay_alu instid0(VALU_DEP_1) | instskip(SKIP_1) | instid1(VALU_DEP_1)
	v_cndmask_b32_e64 v20, v20, v25, s2
	s_wait_dscnt 0x0
	v_mul_f64_e32 v[25:26], v[19:20], v[23:24]
	v_mul_f64_e32 v[23:24], v[17:18], v[23:24]
	s_delay_alu instid0(VALU_DEP_2) | instskip(NEXT) | instid1(VALU_DEP_2)
	v_fma_f64 v[17:18], v[17:18], v[21:22], -v[25:26]
	v_fma_f64 v[19:20], v[19:20], v[21:22], v[23:24]
	s_delay_alu instid0(VALU_DEP_2) | instskip(NEXT) | instid1(VALU_DEP_2)
	v_add_f64_e64 v[0:1], v[0:1], -v[17:18]
	v_add_f64_e64 v[2:3], v[2:3], -v[19:20]
	s_branch .LBB243_14
.LBB243_19:
	s_endpgm
	.section	.rodata,"a",@progbits
	.p2align	6, 0x0
	.amdhsa_kernel _ZL39rocblas_trsm_block_forward_substitutionI19rocblas_complex_numIdES1_PKPKS1_PKPS1_Lb0ELb0ELb1EEv18rocblas_operation_llT0_T1_lllT2_lllib
		.amdhsa_group_segment_fixed_size 0
		.amdhsa_private_segment_fixed_size 0
		.amdhsa_kernarg_size 368
		.amdhsa_user_sgpr_count 2
		.amdhsa_user_sgpr_dispatch_ptr 0
		.amdhsa_user_sgpr_queue_ptr 0
		.amdhsa_user_sgpr_kernarg_segment_ptr 1
		.amdhsa_user_sgpr_dispatch_id 0
		.amdhsa_user_sgpr_private_segment_size 0
		.amdhsa_wavefront_size32 1
		.amdhsa_uses_dynamic_stack 0
		.amdhsa_enable_private_segment 0
		.amdhsa_system_sgpr_workgroup_id_x 1
		.amdhsa_system_sgpr_workgroup_id_y 1
		.amdhsa_system_sgpr_workgroup_id_z 1
		.amdhsa_system_sgpr_workgroup_info 0
		.amdhsa_system_vgpr_workitem_id 1
		.amdhsa_next_free_vgpr 27
		.amdhsa_next_free_sgpr 39
		.amdhsa_reserve_vcc 1
		.amdhsa_float_round_mode_32 0
		.amdhsa_float_round_mode_16_64 0
		.amdhsa_float_denorm_mode_32 3
		.amdhsa_float_denorm_mode_16_64 3
		.amdhsa_fp16_overflow 0
		.amdhsa_workgroup_processor_mode 1
		.amdhsa_memory_ordered 1
		.amdhsa_forward_progress 1
		.amdhsa_inst_pref_size 9
		.amdhsa_round_robin_scheduling 0
		.amdhsa_exception_fp_ieee_invalid_op 0
		.amdhsa_exception_fp_denorm_src 0
		.amdhsa_exception_fp_ieee_div_zero 0
		.amdhsa_exception_fp_ieee_overflow 0
		.amdhsa_exception_fp_ieee_underflow 0
		.amdhsa_exception_fp_ieee_inexact 0
		.amdhsa_exception_int_div_zero 0
	.end_amdhsa_kernel
	.section	.text._ZL39rocblas_trsm_block_forward_substitutionI19rocblas_complex_numIdES1_PKPKS1_PKPS1_Lb0ELb0ELb1EEv18rocblas_operation_llT0_T1_lllT2_lllib,"axG",@progbits,_ZL39rocblas_trsm_block_forward_substitutionI19rocblas_complex_numIdES1_PKPKS1_PKPS1_Lb0ELb0ELb1EEv18rocblas_operation_llT0_T1_lllT2_lllib,comdat
.Lfunc_end243:
	.size	_ZL39rocblas_trsm_block_forward_substitutionI19rocblas_complex_numIdES1_PKPKS1_PKPS1_Lb0ELb0ELb1EEv18rocblas_operation_llT0_T1_lllT2_lllib, .Lfunc_end243-_ZL39rocblas_trsm_block_forward_substitutionI19rocblas_complex_numIdES1_PKPKS1_PKPS1_Lb0ELb0ELb1EEv18rocblas_operation_llT0_T1_lllT2_lllib
                                        ; -- End function
	.set _ZL39rocblas_trsm_block_forward_substitutionI19rocblas_complex_numIdES1_PKPKS1_PKPS1_Lb0ELb0ELb1EEv18rocblas_operation_llT0_T1_lllT2_lllib.num_vgpr, 27
	.set _ZL39rocblas_trsm_block_forward_substitutionI19rocblas_complex_numIdES1_PKPKS1_PKPS1_Lb0ELb0ELb1EEv18rocblas_operation_llT0_T1_lllT2_lllib.num_agpr, 0
	.set _ZL39rocblas_trsm_block_forward_substitutionI19rocblas_complex_numIdES1_PKPKS1_PKPS1_Lb0ELb0ELb1EEv18rocblas_operation_llT0_T1_lllT2_lllib.numbered_sgpr, 39
	.set _ZL39rocblas_trsm_block_forward_substitutionI19rocblas_complex_numIdES1_PKPKS1_PKPS1_Lb0ELb0ELb1EEv18rocblas_operation_llT0_T1_lllT2_lllib.num_named_barrier, 0
	.set _ZL39rocblas_trsm_block_forward_substitutionI19rocblas_complex_numIdES1_PKPKS1_PKPS1_Lb0ELb0ELb1EEv18rocblas_operation_llT0_T1_lllT2_lllib.private_seg_size, 0
	.set _ZL39rocblas_trsm_block_forward_substitutionI19rocblas_complex_numIdES1_PKPKS1_PKPS1_Lb0ELb0ELb1EEv18rocblas_operation_llT0_T1_lllT2_lllib.uses_vcc, 1
	.set _ZL39rocblas_trsm_block_forward_substitutionI19rocblas_complex_numIdES1_PKPKS1_PKPS1_Lb0ELb0ELb1EEv18rocblas_operation_llT0_T1_lllT2_lllib.uses_flat_scratch, 0
	.set _ZL39rocblas_trsm_block_forward_substitutionI19rocblas_complex_numIdES1_PKPKS1_PKPS1_Lb0ELb0ELb1EEv18rocblas_operation_llT0_T1_lllT2_lllib.has_dyn_sized_stack, 0
	.set _ZL39rocblas_trsm_block_forward_substitutionI19rocblas_complex_numIdES1_PKPKS1_PKPS1_Lb0ELb0ELb1EEv18rocblas_operation_llT0_T1_lllT2_lllib.has_recursion, 0
	.set _ZL39rocblas_trsm_block_forward_substitutionI19rocblas_complex_numIdES1_PKPKS1_PKPS1_Lb0ELb0ELb1EEv18rocblas_operation_llT0_T1_lllT2_lllib.has_indirect_call, 0
	.section	.AMDGPU.csdata,"",@progbits
; Kernel info:
; codeLenInByte = 1104
; TotalNumSgprs: 41
; NumVgprs: 27
; ScratchSize: 0
; MemoryBound: 0
; FloatMode: 240
; IeeeMode: 1
; LDSByteSize: 0 bytes/workgroup (compile time only)
; SGPRBlocks: 0
; VGPRBlocks: 3
; NumSGPRsForWavesPerEU: 41
; NumVGPRsForWavesPerEU: 27
; Occupancy: 16
; WaveLimiterHint : 1
; COMPUTE_PGM_RSRC2:SCRATCH_EN: 0
; COMPUTE_PGM_RSRC2:USER_SGPR: 2
; COMPUTE_PGM_RSRC2:TRAP_HANDLER: 0
; COMPUTE_PGM_RSRC2:TGID_X_EN: 1
; COMPUTE_PGM_RSRC2:TGID_Y_EN: 1
; COMPUTE_PGM_RSRC2:TGID_Z_EN: 1
; COMPUTE_PGM_RSRC2:TIDIG_COMP_CNT: 1
	.section	.text._ZL40rocblas_trsm_block_backward_substitutionI19rocblas_complex_numIdES1_PKPKS1_PKPS1_Lb0ELb0ELb1EEv18rocblas_operation_llT0_T1_lllT2_lllib,"axG",@progbits,_ZL40rocblas_trsm_block_backward_substitutionI19rocblas_complex_numIdES1_PKPKS1_PKPS1_Lb0ELb0ELb1EEv18rocblas_operation_llT0_T1_lllT2_lllib,comdat
	.globl	_ZL40rocblas_trsm_block_backward_substitutionI19rocblas_complex_numIdES1_PKPKS1_PKPS1_Lb0ELb0ELb1EEv18rocblas_operation_llT0_T1_lllT2_lllib ; -- Begin function _ZL40rocblas_trsm_block_backward_substitutionI19rocblas_complex_numIdES1_PKPKS1_PKPS1_Lb0ELb0ELb1EEv18rocblas_operation_llT0_T1_lllT2_lllib
	.p2align	8
	.type	_ZL40rocblas_trsm_block_backward_substitutionI19rocblas_complex_numIdES1_PKPKS1_PKPS1_Lb0ELb0ELb1EEv18rocblas_operation_llT0_T1_lllT2_lllib,@function
_ZL40rocblas_trsm_block_backward_substitutionI19rocblas_complex_numIdES1_PKPKS1_PKPS1_Lb0ELb0ELb1EEv18rocblas_operation_llT0_T1_lllT2_lllib: ; @_ZL40rocblas_trsm_block_backward_substitutionI19rocblas_complex_numIdES1_PKPKS1_PKPS1_Lb0ELb0ELb1EEv18rocblas_operation_llT0_T1_lllT2_lllib
; %bb.0:
	s_load_b64 s[20:21], s[0:1], 0x68
	s_lshr_b32 s22, ttmp7, 16
	s_wait_kmcnt 0x0
	s_cmp_ge_u32 s22, s20
	s_cbranch_scc1 .LBB244_19
; %bb.1:
	s_mov_b64 s[28:29], src_shared_base
	s_clause 0x5
	s_load_b64 s[24:25], s[0:1], 0x38
	s_load_b64 s[2:3], s[0:1], 0x58
	s_load_b32 s28, s[0:1], 0x0
	s_load_b128 s[12:15], s[0:1], 0x28
	s_load_b256 s[4:11], s[0:1], 0x8
	s_load_b128 s[16:19], s[0:1], 0x48
	s_bitcmp1_b32 s21, 0
	s_load_u16 s21, s[0:1], 0x7e
	v_dual_mov_b32 v6, 0 :: v_dual_and_b32 v5, 0x3ff, v0
	v_bfe_u32 v4, v0, 10, 10
	s_cselect_b32 s33, -1, 0
	s_add_nc_u64 s[26:27], s[0:1], 0x70
	s_delay_alu instid0(VALU_DEP_2)
	v_lshlrev_b32_e32 v17, 4, v5
	s_mov_b32 s23, 0
	v_lshl_add_u32 v18, v4, 4, 0
	s_wait_kmcnt 0x0
	v_mad_co_u64_u32 v[0:1], null, s24, v5, 0
	v_mad_co_u64_u32 v[2:3], null, s2, v5, 0
	s_cmp_eq_u32 s28, 0x71
	v_cmp_gt_i64_e64 s36, s[4:5], 0
	s_cselect_b32 s0, -1, 0
	s_and_b32 s1, ttmp7, 0xffff
	s_lshl_b32 s2, s21, 4
	v_mad_co_u64_u32 v[11:12], null, s1, s21, v[4:5]
	v_mad_co_u64_u32 v[7:8], null, s25, v5, v[1:2]
	;; [unrolled: 1-line block ×3, first 2 shown]
	v_mov_b32_e32 v12, v6
	v_cmp_gt_i64_e64 s1, s[4:5], v[5:6]
	s_wait_alu 0xfffe
	s_add_co_i32 s28, s2, 0
	v_cmp_gt_i64_e64 s38, s[4:5], 1
	v_mov_b32_e32 v1, v7
	v_cmp_gt_i64_e32 vcc_lo, s[6:7], v[11:12]
	v_mov_b32_e32 v3, v8
	v_lshlrev_b64_e32 v[11:12], 4, v[11:12]
	v_add_nc_u32_e32 v19, s28, v17
	v_lshlrev_b64_e32 v[7:8], 4, v[0:1]
	s_add_nc_u64 s[30:31], s[4:5], -1
	v_lshlrev_b64_e32 v[9:10], 4, v[2:3]
	s_and_b32 s37, vcc_lo, s1
	s_lshl_b64 s[6:7], s[30:31], 4
	s_lshl_b64 s[14:15], s[14:15], 4
	;; [unrolled: 1-line block ×3, first 2 shown]
	s_branch .LBB244_4
.LBB244_2:                              ;   in Loop: Header=BB244_4 Depth=1
	flat_store_b128 v[13:14], v[0:3]
.LBB244_3:                              ;   in Loop: Header=BB244_4 Depth=1
	s_or_b32 exec_lo, exec_lo, s39
	s_add_co_i32 s22, s22, 0x10000
	s_delay_alu instid0(SALU_CYCLE_1)
	s_cmp_lt_u32 s22, s20
	s_cbranch_scc0 .LBB244_19
.LBB244_4:                              ; =>This Loop Header: Depth=1
                                        ;     Child Loop BB244_9 Depth 2
                                        ;     Child Loop BB244_15 Depth 2
	s_lshl_b64 s[2:3], s[22:23], 3
	s_wait_alu 0xfffe
	s_add_nc_u64 s[34:35], s[12:13], s[2:3]
	s_add_nc_u64 s[2:3], s[16:17], s[2:3]
	global_load_b64 v[2:3], v6, s[34:35]
	s_wait_loadcnt 0x1
	global_load_b64 v[0:1], v6, s[2:3]
	s_mov_b64 s[2:3], 1
	s_mov_b64 s[34:35], s[24:25]
	s_wait_loadcnt 0x1
	v_add_co_u32 v15, vcc_lo, v2, s14
	s_wait_alu 0xfffd
	v_add_co_ci_u32_e64 v16, null, s15, v3, vcc_lo
	s_and_not1_b32 vcc_lo, exec_lo, s33
	s_wait_alu 0xfffe
	s_cbranch_vccz .LBB244_6
; %bb.5:                                ;   in Loop: Header=BB244_4 Depth=1
	s_and_saveexec_b32 s39, s37
	s_cbranch_execz .LBB244_3
	s_branch .LBB244_12
.LBB244_6:                              ;   in Loop: Header=BB244_4 Depth=1
	s_and_not1_b32 vcc_lo, exec_lo, s36
	s_wait_alu 0xfffe
	s_cbranch_vccnz .LBB244_11
; %bb.7:                                ;   in Loop: Header=BB244_4 Depth=1
	v_add_co_u32 v13, vcc_lo, v15, v7
	s_wait_alu 0xfffd
	v_add_co_ci_u32_e64 v14, null, v16, v8, vcc_lo
	s_mov_b32 s34, 0
	s_branch .LBB244_9
.LBB244_8:                              ;   in Loop: Header=BB244_9 Depth=2
	s_wait_alu 0xfffe
	s_or_b32 exec_lo, exec_lo, s2
	s_add_co_i32 s34, s34, s21
	s_wait_alu 0xfffe
	s_ashr_i32 s35, s34, 31
	s_wait_alu 0xfffe
	v_cmp_le_i64_e64 s2, s[4:5], s[34:35]
	s_and_b32 vcc_lo, exec_lo, s2
	s_wait_alu 0xfffe
	s_cbranch_vccnz .LBB244_11
.LBB244_9:                              ;   Parent Loop BB244_4 Depth=1
                                        ; =>  This Inner Loop Header: Depth=2
	s_wait_alu 0xfffe
	v_add_nc_u32_e32 v2, s34, v4
	s_delay_alu instid0(VALU_DEP_1) | instskip(SKIP_1) | instid1(VALU_DEP_2)
	v_ashrrev_i32_e32 v3, 31, v2
	v_cmp_lt_i32_e64 s2, v5, v2
	v_cmp_gt_i64_e32 vcc_lo, s[4:5], v[2:3]
	s_and_b32 s2, s2, vcc_lo
	s_wait_alu 0xfffe
	s_and_b32 s3, s1, s2
	s_wait_alu 0xfffe
	s_and_saveexec_b32 s2, s3
	s_cbranch_execz .LBB244_8
; %bb.10:                               ;   in Loop: Header=BB244_9 Depth=2
	v_lshlrev_b64_e32 v[15:16], 4, v[2:3]
	s_load_b32 s3, s[26:27], 0xc
	s_delay_alu instid0(VALU_DEP_1) | instskip(SKIP_1) | instid1(VALU_DEP_2)
	v_add_co_u32 v15, vcc_lo, v13, v15
	s_wait_alu 0xfffd
	v_add_co_ci_u32_e64 v16, null, v14, v16, vcc_lo
	flat_load_b128 v[20:23], v[15:16]
	s_wait_kmcnt 0x0
	s_and_b32 s3, s3, 0xffff
	s_wait_alu 0xfffe
	v_mul_lo_u32 v2, v2, s3
	s_delay_alu instid0(VALU_DEP_1)
	v_lshl_add_u32 v2, v2, 4, v19
	s_wait_loadcnt_dscnt 0x0
	ds_store_2addr_b64 v2, v[20:21], v[22:23] offset1:1
	s_branch .LBB244_8
.LBB244_11:                             ;   in Loop: Header=BB244_4 Depth=1
	s_load_b32 s2, s[26:27], 0xc
	v_dual_mov_b32 v15, s28 :: v_dual_mov_b32 v16, s29
	s_mov_b32 s3, s23
	s_mov_b64 s[34:35], 1
	s_wait_kmcnt 0x0
	s_and_b32 s2, s2, 0xffff
	s_and_saveexec_b32 s39, s37
	s_cbranch_execz .LBB244_3
.LBB244_12:                             ;   in Loop: Header=BB244_4 Depth=1
	s_wait_loadcnt 0x0
	v_add_co_u32 v0, vcc_lo, v0, s18
	s_wait_alu 0xfffd
	v_add_co_ci_u32_e64 v1, null, s19, v1, vcc_lo
	s_delay_alu instid0(VALU_DEP_2) | instskip(SKIP_1) | instid1(VALU_DEP_2)
	v_add_co_u32 v0, vcc_lo, v0, v9
	s_wait_alu 0xfffd
	v_add_co_ci_u32_e64 v1, null, v1, v10, vcc_lo
	s_delay_alu instid0(VALU_DEP_2) | instskip(SKIP_1) | instid1(VALU_DEP_2)
	v_add_co_u32 v13, vcc_lo, v0, v11
	s_wait_alu 0xfffd
	v_add_co_ci_u32_e64 v14, null, v1, v12, vcc_lo
	s_and_not1_b32 vcc_lo, exec_lo, s38
	flat_load_b128 v[20:23], v[13:14]
	s_wait_loadcnt_dscnt 0x0
	v_mul_f64_e32 v[0:1], s[10:11], v[22:23]
	v_mul_f64_e32 v[2:3], s[8:9], v[22:23]
	s_delay_alu instid0(VALU_DEP_2) | instskip(NEXT) | instid1(VALU_DEP_2)
	v_fma_f64 v[0:1], s[8:9], v[20:21], -v[0:1]
	v_fma_f64 v[2:3], s[10:11], v[20:21], v[2:3]
	s_wait_alu 0xfffe
	s_cbranch_vccnz .LBB244_2
; %bb.13:                               ;   in Loop: Header=BB244_4 Depth=1
	s_mul_u64 s[40:41], s[6:7], s[2:3]
	s_lshl_b32 s2, s2, 4
	s_wait_alu 0xfffe
	v_add_co_u32 v15, vcc_lo, v15, s40
	s_wait_alu 0xfffd
	v_add_co_ci_u32_e64 v16, null, s41, v16, vcc_lo
	s_mov_b32 s3, s23
	s_wait_alu 0xfffe
	s_sub_nc_u64 s[2:3], 0, s[2:3]
	v_mad_co_u64_u32 v[15:16], null, v17, s34, v[15:16]
	s_delay_alu instid0(VALU_DEP_1) | instskip(NEXT) | instid1(VALU_DEP_2)
	v_mad_co_u64_u32 v[20:21], null, v17, s35, v[16:17]
	v_add_co_u32 v15, vcc_lo, v15, 8
	s_mov_b64 s[34:35], s[30:31]
	s_wait_alu 0xfffd
	v_add_co_ci_u32_e64 v16, null, 0, v20, vcc_lo
	s_branch .LBB244_15
.LBB244_14:                             ;   in Loop: Header=BB244_15 Depth=2
	s_wait_alu 0xfffe
	s_or_b32 exec_lo, exec_lo, s40
	s_add_nc_u64 s[40:41], s[34:35], 1
	v_add_co_u32 v15, vcc_lo, v15, s2
	s_wait_alu 0xfffe
	v_cmp_lt_u64_e64 s40, s[40:41], 3
	s_wait_alu 0xfffd
	v_add_co_ci_u32_e64 v16, null, s3, v16, vcc_lo
	s_add_nc_u64 s[34:35], s[34:35], -1
	s_and_b32 vcc_lo, exec_lo, s40
	s_wait_alu 0xfffe
	s_cbranch_vccnz .LBB244_2
.LBB244_15:                             ;   Parent Loop BB244_4 Depth=1
                                        ; =>  This Inner Loop Header: Depth=2
	s_mov_b32 s40, exec_lo
	s_barrier_signal -1
	s_barrier_wait -1
	global_inv scope:SCOPE_SE
	s_wait_alu 0xfffe
	v_cmpx_eq_u64_e64 s[34:35], v[5:6]
; %bb.16:                               ;   in Loop: Header=BB244_15 Depth=2
	ds_store_2addr_b64 v18, v[0:1], v[2:3] offset1:1
; %bb.17:                               ;   in Loop: Header=BB244_15 Depth=2
	s_or_b32 exec_lo, exec_lo, s40
	s_delay_alu instid0(SALU_CYCLE_1)
	s_mov_b32 s40, exec_lo
	s_wait_loadcnt_dscnt 0x0
	s_barrier_signal -1
	s_barrier_wait -1
	global_inv scope:SCOPE_SE
	v_cmpx_gt_i64_e64 s[34:35], v[5:6]
	s_cbranch_execz .LBB244_14
; %bb.18:                               ;   in Loop: Header=BB244_15 Depth=2
	flat_load_b128 v[20:23], v[15:16] offset:-8
	ds_load_2addr_b64 v[24:27], v18 offset1:1
	s_wait_loadcnt_dscnt 0x1
	v_xor_b32_e32 v28, 0x80000000, v23
	s_delay_alu instid0(VALU_DEP_1) | instskip(SKIP_1) | instid1(VALU_DEP_1)
	v_cndmask_b32_e64 v23, v23, v28, s0
	s_wait_dscnt 0x0
	v_mul_f64_e32 v[28:29], v[22:23], v[26:27]
	v_mul_f64_e32 v[26:27], v[20:21], v[26:27]
	s_delay_alu instid0(VALU_DEP_2) | instskip(NEXT) | instid1(VALU_DEP_2)
	v_fma_f64 v[20:21], v[20:21], v[24:25], -v[28:29]
	v_fma_f64 v[22:23], v[22:23], v[24:25], v[26:27]
	s_delay_alu instid0(VALU_DEP_2) | instskip(NEXT) | instid1(VALU_DEP_2)
	v_add_f64_e64 v[0:1], v[0:1], -v[20:21]
	v_add_f64_e64 v[2:3], v[2:3], -v[22:23]
	s_branch .LBB244_14
.LBB244_19:
	s_endpgm
	.section	.rodata,"a",@progbits
	.p2align	6, 0x0
	.amdhsa_kernel _ZL40rocblas_trsm_block_backward_substitutionI19rocblas_complex_numIdES1_PKPKS1_PKPS1_Lb0ELb0ELb1EEv18rocblas_operation_llT0_T1_lllT2_lllib
		.amdhsa_group_segment_fixed_size 0
		.amdhsa_private_segment_fixed_size 0
		.amdhsa_kernarg_size 368
		.amdhsa_user_sgpr_count 2
		.amdhsa_user_sgpr_dispatch_ptr 0
		.amdhsa_user_sgpr_queue_ptr 0
		.amdhsa_user_sgpr_kernarg_segment_ptr 1
		.amdhsa_user_sgpr_dispatch_id 0
		.amdhsa_user_sgpr_private_segment_size 0
		.amdhsa_wavefront_size32 1
		.amdhsa_uses_dynamic_stack 0
		.amdhsa_enable_private_segment 0
		.amdhsa_system_sgpr_workgroup_id_x 1
		.amdhsa_system_sgpr_workgroup_id_y 1
		.amdhsa_system_sgpr_workgroup_id_z 1
		.amdhsa_system_sgpr_workgroup_info 0
		.amdhsa_system_vgpr_workitem_id 1
		.amdhsa_next_free_vgpr 30
		.amdhsa_next_free_sgpr 42
		.amdhsa_reserve_vcc 1
		.amdhsa_float_round_mode_32 0
		.amdhsa_float_round_mode_16_64 0
		.amdhsa_float_denorm_mode_32 3
		.amdhsa_float_denorm_mode_16_64 3
		.amdhsa_fp16_overflow 0
		.amdhsa_workgroup_processor_mode 1
		.amdhsa_memory_ordered 1
		.amdhsa_forward_progress 1
		.amdhsa_inst_pref_size 10
		.amdhsa_round_robin_scheduling 0
		.amdhsa_exception_fp_ieee_invalid_op 0
		.amdhsa_exception_fp_denorm_src 0
		.amdhsa_exception_fp_ieee_div_zero 0
		.amdhsa_exception_fp_ieee_overflow 0
		.amdhsa_exception_fp_ieee_underflow 0
		.amdhsa_exception_fp_ieee_inexact 0
		.amdhsa_exception_int_div_zero 0
	.end_amdhsa_kernel
	.section	.text._ZL40rocblas_trsm_block_backward_substitutionI19rocblas_complex_numIdES1_PKPKS1_PKPS1_Lb0ELb0ELb1EEv18rocblas_operation_llT0_T1_lllT2_lllib,"axG",@progbits,_ZL40rocblas_trsm_block_backward_substitutionI19rocblas_complex_numIdES1_PKPKS1_PKPS1_Lb0ELb0ELb1EEv18rocblas_operation_llT0_T1_lllT2_lllib,comdat
.Lfunc_end244:
	.size	_ZL40rocblas_trsm_block_backward_substitutionI19rocblas_complex_numIdES1_PKPKS1_PKPS1_Lb0ELb0ELb1EEv18rocblas_operation_llT0_T1_lllT2_lllib, .Lfunc_end244-_ZL40rocblas_trsm_block_backward_substitutionI19rocblas_complex_numIdES1_PKPKS1_PKPS1_Lb0ELb0ELb1EEv18rocblas_operation_llT0_T1_lllT2_lllib
                                        ; -- End function
	.set _ZL40rocblas_trsm_block_backward_substitutionI19rocblas_complex_numIdES1_PKPKS1_PKPS1_Lb0ELb0ELb1EEv18rocblas_operation_llT0_T1_lllT2_lllib.num_vgpr, 30
	.set _ZL40rocblas_trsm_block_backward_substitutionI19rocblas_complex_numIdES1_PKPKS1_PKPS1_Lb0ELb0ELb1EEv18rocblas_operation_llT0_T1_lllT2_lllib.num_agpr, 0
	.set _ZL40rocblas_trsm_block_backward_substitutionI19rocblas_complex_numIdES1_PKPKS1_PKPS1_Lb0ELb0ELb1EEv18rocblas_operation_llT0_T1_lllT2_lllib.numbered_sgpr, 42
	.set _ZL40rocblas_trsm_block_backward_substitutionI19rocblas_complex_numIdES1_PKPKS1_PKPS1_Lb0ELb0ELb1EEv18rocblas_operation_llT0_T1_lllT2_lllib.num_named_barrier, 0
	.set _ZL40rocblas_trsm_block_backward_substitutionI19rocblas_complex_numIdES1_PKPKS1_PKPS1_Lb0ELb0ELb1EEv18rocblas_operation_llT0_T1_lllT2_lllib.private_seg_size, 0
	.set _ZL40rocblas_trsm_block_backward_substitutionI19rocblas_complex_numIdES1_PKPKS1_PKPS1_Lb0ELb0ELb1EEv18rocblas_operation_llT0_T1_lllT2_lllib.uses_vcc, 1
	.set _ZL40rocblas_trsm_block_backward_substitutionI19rocblas_complex_numIdES1_PKPKS1_PKPS1_Lb0ELb0ELb1EEv18rocblas_operation_llT0_T1_lllT2_lllib.uses_flat_scratch, 0
	.set _ZL40rocblas_trsm_block_backward_substitutionI19rocblas_complex_numIdES1_PKPKS1_PKPS1_Lb0ELb0ELb1EEv18rocblas_operation_llT0_T1_lllT2_lllib.has_dyn_sized_stack, 0
	.set _ZL40rocblas_trsm_block_backward_substitutionI19rocblas_complex_numIdES1_PKPKS1_PKPS1_Lb0ELb0ELb1EEv18rocblas_operation_llT0_T1_lllT2_lllib.has_recursion, 0
	.set _ZL40rocblas_trsm_block_backward_substitutionI19rocblas_complex_numIdES1_PKPKS1_PKPS1_Lb0ELb0ELb1EEv18rocblas_operation_llT0_T1_lllT2_lllib.has_indirect_call, 0
	.section	.AMDGPU.csdata,"",@progbits
; Kernel info:
; codeLenInByte = 1192
; TotalNumSgprs: 44
; NumVgprs: 30
; ScratchSize: 0
; MemoryBound: 0
; FloatMode: 240
; IeeeMode: 1
; LDSByteSize: 0 bytes/workgroup (compile time only)
; SGPRBlocks: 0
; VGPRBlocks: 3
; NumSGPRsForWavesPerEU: 44
; NumVGPRsForWavesPerEU: 30
; Occupancy: 16
; WaveLimiterHint : 1
; COMPUTE_PGM_RSRC2:SCRATCH_EN: 0
; COMPUTE_PGM_RSRC2:USER_SGPR: 2
; COMPUTE_PGM_RSRC2:TRAP_HANDLER: 0
; COMPUTE_PGM_RSRC2:TGID_X_EN: 1
; COMPUTE_PGM_RSRC2:TGID_Y_EN: 1
; COMPUTE_PGM_RSRC2:TGID_Z_EN: 1
; COMPUTE_PGM_RSRC2:TIDIG_COMP_CNT: 1
	.section	.text._ZL39rocblas_trsm_block_forward_substitutionI19rocblas_complex_numIdES1_PKPKS1_PKPS1_Lb0ELb1ELb0EEv18rocblas_operation_llT0_T1_lllT2_lllib,"axG",@progbits,_ZL39rocblas_trsm_block_forward_substitutionI19rocblas_complex_numIdES1_PKPKS1_PKPS1_Lb0ELb1ELb0EEv18rocblas_operation_llT0_T1_lllT2_lllib,comdat
	.globl	_ZL39rocblas_trsm_block_forward_substitutionI19rocblas_complex_numIdES1_PKPKS1_PKPS1_Lb0ELb1ELb0EEv18rocblas_operation_llT0_T1_lllT2_lllib ; -- Begin function _ZL39rocblas_trsm_block_forward_substitutionI19rocblas_complex_numIdES1_PKPKS1_PKPS1_Lb0ELb1ELb0EEv18rocblas_operation_llT0_T1_lllT2_lllib
	.p2align	8
	.type	_ZL39rocblas_trsm_block_forward_substitutionI19rocblas_complex_numIdES1_PKPKS1_PKPS1_Lb0ELb1ELb0EEv18rocblas_operation_llT0_T1_lllT2_lllib,@function
_ZL39rocblas_trsm_block_forward_substitutionI19rocblas_complex_numIdES1_PKPKS1_PKPS1_Lb0ELb1ELb0EEv18rocblas_operation_llT0_T1_lllT2_lllib: ; @_ZL39rocblas_trsm_block_forward_substitutionI19rocblas_complex_numIdES1_PKPKS1_PKPS1_Lb0ELb1ELb0EEv18rocblas_operation_llT0_T1_lllT2_lllib
; %bb.0:
	s_load_b64 s[20:21], s[0:1], 0x68
	s_lshr_b32 s22, ttmp7, 16
	s_wait_kmcnt 0x0
	s_cmp_ge_u32 s22, s20
	s_cbranch_scc1 .LBB245_41
; %bb.1:
	s_mov_b64 s[28:29], src_shared_base
	s_clause 0x5
	s_load_b64 s[2:3], s[0:1], 0x58
	s_load_b32 s28, s[0:1], 0x0
	s_load_b256 s[4:11], s[0:1], 0x8
	s_load_b128 s[12:15], s[0:1], 0x28
	s_load_b64 s[24:25], s[0:1], 0x38
	s_load_b128 s[16:19], s[0:1], 0x48
	s_bitcmp1_b32 s21, 0
	s_load_u16 s21, s[0:1], 0x7e
	s_add_nc_u64 s[26:27], s[0:1], 0x70
	s_cselect_b32 s0, -1, 0
	v_bfe_u32 v6, v0, 10, 10
	v_dual_mov_b32 v8, 0 :: v_dual_and_b32 v7, 0x3ff, v0
	s_xor_b32 s33, s0, -1
	v_cndmask_b32_e64 v23, 0, 1, s0
	s_delay_alu instid0(VALU_DEP_3)
	v_lshl_add_u32 v24, v6, 4, 0
	s_mov_b32 s23, 0
	v_lshlrev_b32_e32 v9, 4, v7
	v_lshlrev_b32_e32 v27, 4, v7
	s_wait_kmcnt 0x0
	v_mad_co_u64_u32 v[0:1], null, s2, v7, 0
	s_cmp_eq_u32 s28, 0x71
	v_cmp_le_i64_e32 vcc_lo, s[4:5], v[7:8]
	s_cselect_b32 s0, -1, 0
	s_wait_alu 0xfffe
	s_and_b32 s1, ttmp7, 0xffff
	v_cmp_gt_i64_e64 s2, s[4:5], v[7:8]
	s_wait_alu 0xfffe
	v_mad_co_u64_u32 v[2:3], null, s1, s21, v[6:7]
	s_lshl_b32 s1, s21, 4
	s_add_nc_u64 s[30:31], s[4:5], -1
	s_wait_alu 0xfffe
	s_add_co_i32 s28, s1, 0
	s_delay_alu instid0(SALU_CYCLE_1) | instskip(SKIP_2) | instid1(VALU_DEP_3)
	v_dual_mov_b32 v3, v8 :: v_dual_add_nc_u32 v26, s28, v9
	v_or_b32_e32 v25, 8, v9
	v_mad_co_u64_u32 v[4:5], null, s3, v7, v[1:2]
	v_cmp_gt_i64_e64 s3, s[6:7], v[2:3]
	v_cmp_gt_i64_e64 s34, s[4:5], 1
	;; [unrolled: 1-line block ×3, first 2 shown]
	v_cmp_eq_u64_e64 s1, s[30:31], v[7:8]
	v_lshlrev_b64_e32 v[11:12], 4, v[2:3]
	s_lshl_b64 s[6:7], s[14:15], 4
	v_mov_b32_e32 v1, v4
	s_and_b32 s36, s3, s2
	s_lshl_b64 s[14:15], s[18:19], 4
	s_xor_b32 s37, vcc_lo, -1
	s_delay_alu instid0(VALU_DEP_1)
	v_lshlrev_b64_e32 v[9:10], 4, v[0:1]
	s_branch .LBB245_6
.LBB245_2:                              ;   in Loop: Header=BB245_6 Depth=1
	s_wait_alu 0xfffe
	s_or_b32 exec_lo, exec_lo, s3
.LBB245_3:                              ;   in Loop: Header=BB245_6 Depth=1
	s_wait_loadcnt_dscnt 0x0
	s_delay_alu instid0(VALU_DEP_1) | instskip(NEXT) | instid1(VALU_DEP_3)
	v_mul_f64_e32 v[17:18], v[15:16], v[4:5]
	v_mul_f64_e32 v[15:16], v[15:16], v[2:3]
	s_delay_alu instid0(VALU_DEP_2) | instskip(NEXT) | instid1(VALU_DEP_2)
	v_fma_f64 v[2:3], v[0:1], v[2:3], -v[17:18]
	v_fma_f64 v[15:16], v[0:1], v[4:5], v[15:16]
	s_delay_alu instid0(VALU_DEP_2)
	v_dual_mov_b32 v0, v2 :: v_dual_mov_b32 v1, v3
.LBB245_4:                              ;   in Loop: Header=BB245_6 Depth=1
	s_wait_alu 0xfffe
	s_or_b32 exec_lo, exec_lo, s2
	s_delay_alu instid0(VALU_DEP_1)
	v_dual_mov_b32 v2, v15 :: v_dual_mov_b32 v3, v16
	flat_store_b128 v[13:14], v[0:3]
.LBB245_5:                              ;   in Loop: Header=BB245_6 Depth=1
	s_or_b32 exec_lo, exec_lo, s38
	s_add_co_i32 s22, s22, 0x10000
	s_delay_alu instid0(SALU_CYCLE_1)
	s_cmp_lt_u32 s22, s20
	s_cbranch_scc0 .LBB245_41
.LBB245_6:                              ; =>This Loop Header: Depth=1
                                        ;     Child Loop BB245_13 Depth 2
                                        ;     Child Loop BB245_25 Depth 2
	s_lshl_b64 s[2:3], s[22:23], 3
	v_cmp_ne_u32_e32 vcc_lo, 1, v23
	s_wait_alu 0xfffe
	s_add_nc_u64 s[18:19], s[12:13], s[2:3]
	s_add_nc_u64 s[2:3], s[16:17], s[2:3]
	global_load_b64 v[0:1], v8, s[18:19]
	s_wait_loadcnt 0x1
	global_load_b64 v[4:5], v8, s[2:3]
	s_wait_loadcnt 0x1
	v_add_co_u32 v17, s2, v0, s6
	s_wait_alu 0xf1fe
	v_add_co_ci_u32_e64 v18, null, s7, v1, s2
	s_cbranch_vccz .LBB245_8
; %bb.7:                                ;   in Loop: Header=BB245_6 Depth=1
	s_and_saveexec_b32 s38, s36
	s_cbranch_execz .LBB245_5
	s_branch .LBB245_22
.LBB245_8:                              ;   in Loop: Header=BB245_6 Depth=1
	s_and_not1_b32 vcc_lo, exec_lo, s35
	s_wait_alu 0xfffe
	s_cbranch_vccnz .LBB245_21
; %bb.9:                                ;   in Loop: Header=BB245_6 Depth=1
	v_mad_co_u64_u32 v[0:1], null, s24, v7, 0
	v_add_co_u32 v19, vcc_lo, v17, v27
	s_wait_alu 0xfffd
	v_add_co_ci_u32_e64 v20, null, 0, v18, vcc_lo
	v_mov_b32_e32 v21, v6
	s_mov_b32 s2, s21
	s_delay_alu instid0(VALU_DEP_4) | instskip(NEXT) | instid1(VALU_DEP_1)
	v_mad_co_u64_u32 v[1:2], null, s25, v7, v[1:2]
	v_lshlrev_b64_e32 v[0:1], 4, v[0:1]
	s_delay_alu instid0(VALU_DEP_1) | instskip(SKIP_1) | instid1(VALU_DEP_2)
	v_add_co_u32 v13, vcc_lo, v19, v0
	s_wait_alu 0xfffd
	v_add_co_ci_u32_e64 v14, null, v20, v1, vcc_lo
	s_branch .LBB245_13
.LBB245_10:                             ;   in Loop: Header=BB245_13 Depth=2
	s_wait_alu 0xfffe
	s_or_b32 exec_lo, exec_lo, s19
	s_load_b32 s19, s[26:27], 0xc
	s_wait_kmcnt 0x0
	s_and_b32 s19, s19, 0xffff
	s_wait_alu 0xfffe
	v_mul_u32_u24_e32 v0, s19, v7
	s_delay_alu instid0(VALU_DEP_1)
	v_lshl_add_u32 v0, v0, 4, v26
	ds_store_2addr_b64 v0, v[15:16], v[17:18] offset1:1
.LBB245_11:                             ;   in Loop: Header=BB245_13 Depth=2
	s_wait_alu 0xfffe
	s_or_b32 exec_lo, exec_lo, s18
.LBB245_12:                             ;   in Loop: Header=BB245_13 Depth=2
	s_wait_alu 0xfffe
	s_or_b32 exec_lo, exec_lo, s3
	s_ashr_i32 s3, s2, 31
	v_add_nc_u32_e32 v21, s21, v21
	s_wait_alu 0xfffe
	v_cmp_le_i64_e64 s3, s[4:5], s[2:3]
	s_add_co_i32 s2, s2, s21
	s_and_b32 vcc_lo, exec_lo, s3
	s_wait_alu 0xfffe
	s_cbranch_vccnz .LBB245_21
.LBB245_13:                             ;   Parent Loop BB245_6 Depth=1
                                        ; =>  This Inner Loop Header: Depth=2
	v_cmp_gt_i32_e32 vcc_lo, v7, v21
	s_and_b32 s3, s37, vcc_lo
	s_wait_alu 0xfffe
	s_and_saveexec_b32 s18, s3
	s_wait_alu 0xfffe
	s_xor_b32 s3, exec_lo, s18
	s_cbranch_execz .LBB245_15
; %bb.14:                               ;   in Loop: Header=BB245_13 Depth=2
	v_ashrrev_i32_e32 v2, 31, v21
	v_mul_lo_u32 v3, s25, v21
	v_mad_co_u64_u32 v[0:1], null, s24, v21, 0
	s_load_b32 s18, s[26:27], 0xc
	v_mul_lo_u32 v2, s24, v2
	s_delay_alu instid0(VALU_DEP_1) | instskip(NEXT) | instid1(VALU_DEP_1)
	v_add3_u32 v1, v1, v2, v3
	v_lshlrev_b64_e32 v[0:1], 4, v[0:1]
	s_wait_kmcnt 0x0
	s_and_b32 s18, s18, 0xffff
	s_delay_alu instid0(VALU_DEP_1) | instskip(SKIP_1) | instid1(VALU_DEP_2)
	v_add_co_u32 v0, vcc_lo, v19, v0
	s_wait_alu 0xfffd
	v_add_co_ci_u32_e64 v1, null, v20, v1, vcc_lo
	s_wait_alu 0xfffe
	v_mul_lo_u32 v15, v21, s18
	flat_load_b128 v[0:3], v[0:1]
	v_lshl_add_u32 v15, v15, 4, v26
	s_wait_loadcnt_dscnt 0x0
	ds_store_2addr_b64 v15, v[0:1], v[2:3] offset1:1
.LBB245_15:                             ;   in Loop: Header=BB245_13 Depth=2
	s_wait_alu 0xfffe
	s_and_not1_saveexec_b32 s3, s3
	s_cbranch_execz .LBB245_12
; %bb.16:                               ;   in Loop: Header=BB245_13 Depth=2
	v_cmp_eq_u32_e32 vcc_lo, v7, v21
	s_and_b32 s19, s37, vcc_lo
	s_wait_alu 0xfffe
	s_and_saveexec_b32 s18, s19
	s_cbranch_execz .LBB245_11
; %bb.17:                               ;   in Loop: Header=BB245_13 Depth=2
	flat_load_b128 v[0:3], v[13:14]
                                        ; implicit-def: $vgpr15_vgpr16
	s_wait_loadcnt_dscnt 0x0
	v_cmp_ngt_f64_e64 s19, |v[0:1]|, |v[2:3]|
	s_and_saveexec_b32 s38, s19
	s_delay_alu instid0(SALU_CYCLE_1)
	s_xor_b32 s19, exec_lo, s38
                                        ; implicit-def: $vgpr17_vgpr18
	s_cbranch_execz .LBB245_19
; %bb.18:                               ;   in Loop: Header=BB245_13 Depth=2
	v_div_scale_f64 v[15:16], null, v[2:3], v[2:3], v[0:1]
	v_div_scale_f64 v[30:31], vcc_lo, v[0:1], v[2:3], v[0:1]
	s_delay_alu instid0(VALU_DEP_2) | instskip(NEXT) | instid1(TRANS32_DEP_1)
	v_rcp_f64_e32 v[17:18], v[15:16]
	v_fma_f64 v[28:29], -v[15:16], v[17:18], 1.0
	s_delay_alu instid0(VALU_DEP_1) | instskip(NEXT) | instid1(VALU_DEP_1)
	v_fma_f64 v[17:18], v[17:18], v[28:29], v[17:18]
	v_fma_f64 v[28:29], -v[15:16], v[17:18], 1.0
	s_delay_alu instid0(VALU_DEP_1) | instskip(NEXT) | instid1(VALU_DEP_1)
	v_fma_f64 v[17:18], v[17:18], v[28:29], v[17:18]
	v_mul_f64_e32 v[28:29], v[30:31], v[17:18]
	s_delay_alu instid0(VALU_DEP_1) | instskip(SKIP_1) | instid1(VALU_DEP_1)
	v_fma_f64 v[15:16], -v[15:16], v[28:29], v[30:31]
	s_wait_alu 0xfffd
	v_div_fmas_f64 v[15:16], v[15:16], v[17:18], v[28:29]
	s_delay_alu instid0(VALU_DEP_1) | instskip(NEXT) | instid1(VALU_DEP_1)
	v_div_fixup_f64 v[15:16], v[15:16], v[2:3], v[0:1]
	v_fma_f64 v[0:1], v[0:1], v[15:16], v[2:3]
	s_delay_alu instid0(VALU_DEP_1) | instskip(NEXT) | instid1(VALU_DEP_1)
	v_div_scale_f64 v[2:3], null, v[0:1], v[0:1], 1.0
	v_rcp_f64_e32 v[17:18], v[2:3]
	s_delay_alu instid0(TRANS32_DEP_1) | instskip(NEXT) | instid1(VALU_DEP_1)
	v_fma_f64 v[28:29], -v[2:3], v[17:18], 1.0
	v_fma_f64 v[17:18], v[17:18], v[28:29], v[17:18]
	s_delay_alu instid0(VALU_DEP_1) | instskip(NEXT) | instid1(VALU_DEP_1)
	v_fma_f64 v[28:29], -v[2:3], v[17:18], 1.0
	v_fma_f64 v[17:18], v[17:18], v[28:29], v[17:18]
	v_div_scale_f64 v[28:29], vcc_lo, 1.0, v[0:1], 1.0
	s_delay_alu instid0(VALU_DEP_1) | instskip(NEXT) | instid1(VALU_DEP_1)
	v_mul_f64_e32 v[30:31], v[28:29], v[17:18]
	v_fma_f64 v[2:3], -v[2:3], v[30:31], v[28:29]
	s_wait_alu 0xfffd
	s_delay_alu instid0(VALU_DEP_1) | instskip(NEXT) | instid1(VALU_DEP_1)
	v_div_fmas_f64 v[2:3], v[2:3], v[17:18], v[30:31]
	v_div_fixup_f64 v[17:18], v[2:3], v[0:1], 1.0
                                        ; implicit-def: $vgpr0_vgpr1
	s_delay_alu instid0(VALU_DEP_1)
	v_mul_f64_e32 v[15:16], v[15:16], v[17:18]
	v_xor_b32_e32 v18, 0x80000000, v18
.LBB245_19:                             ;   in Loop: Header=BB245_13 Depth=2
	s_wait_alu 0xfffe
	s_and_not1_saveexec_b32 s19, s19
	s_cbranch_execz .LBB245_10
; %bb.20:                               ;   in Loop: Header=BB245_13 Depth=2
	v_div_scale_f64 v[15:16], null, v[0:1], v[0:1], v[2:3]
	v_div_scale_f64 v[30:31], vcc_lo, v[2:3], v[0:1], v[2:3]
	s_delay_alu instid0(VALU_DEP_2) | instskip(NEXT) | instid1(TRANS32_DEP_1)
	v_rcp_f64_e32 v[17:18], v[15:16]
	v_fma_f64 v[28:29], -v[15:16], v[17:18], 1.0
	s_delay_alu instid0(VALU_DEP_1) | instskip(NEXT) | instid1(VALU_DEP_1)
	v_fma_f64 v[17:18], v[17:18], v[28:29], v[17:18]
	v_fma_f64 v[28:29], -v[15:16], v[17:18], 1.0
	s_delay_alu instid0(VALU_DEP_1) | instskip(NEXT) | instid1(VALU_DEP_1)
	v_fma_f64 v[17:18], v[17:18], v[28:29], v[17:18]
	v_mul_f64_e32 v[28:29], v[30:31], v[17:18]
	s_delay_alu instid0(VALU_DEP_1) | instskip(SKIP_1) | instid1(VALU_DEP_1)
	v_fma_f64 v[15:16], -v[15:16], v[28:29], v[30:31]
	s_wait_alu 0xfffd
	v_div_fmas_f64 v[15:16], v[15:16], v[17:18], v[28:29]
	s_delay_alu instid0(VALU_DEP_1) | instskip(NEXT) | instid1(VALU_DEP_1)
	v_div_fixup_f64 v[17:18], v[15:16], v[0:1], v[2:3]
	v_fma_f64 v[0:1], v[2:3], v[17:18], v[0:1]
	s_delay_alu instid0(VALU_DEP_1) | instskip(NEXT) | instid1(VALU_DEP_1)
	v_div_scale_f64 v[2:3], null, v[0:1], v[0:1], 1.0
	v_rcp_f64_e32 v[15:16], v[2:3]
	s_delay_alu instid0(TRANS32_DEP_1) | instskip(NEXT) | instid1(VALU_DEP_1)
	v_fma_f64 v[28:29], -v[2:3], v[15:16], 1.0
	v_fma_f64 v[15:16], v[15:16], v[28:29], v[15:16]
	s_delay_alu instid0(VALU_DEP_1) | instskip(NEXT) | instid1(VALU_DEP_1)
	v_fma_f64 v[28:29], -v[2:3], v[15:16], 1.0
	v_fma_f64 v[15:16], v[15:16], v[28:29], v[15:16]
	v_div_scale_f64 v[28:29], vcc_lo, 1.0, v[0:1], 1.0
	s_delay_alu instid0(VALU_DEP_1) | instskip(NEXT) | instid1(VALU_DEP_1)
	v_mul_f64_e32 v[30:31], v[28:29], v[15:16]
	v_fma_f64 v[2:3], -v[2:3], v[30:31], v[28:29]
	s_wait_alu 0xfffd
	s_delay_alu instid0(VALU_DEP_1) | instskip(NEXT) | instid1(VALU_DEP_1)
	v_div_fmas_f64 v[2:3], v[2:3], v[15:16], v[30:31]
	v_div_fixup_f64 v[15:16], v[2:3], v[0:1], 1.0
	s_delay_alu instid0(VALU_DEP_1)
	v_mul_f64_e64 v[17:18], v[17:18], -v[15:16]
	s_branch .LBB245_10
.LBB245_21:                             ;   in Loop: Header=BB245_6 Depth=1
	s_load_b32 s2, s[26:27], 0xc
	v_dual_mov_b32 v17, s28 :: v_dual_mov_b32 v18, s29
	s_mov_b32 s25, s23
	s_wait_kmcnt 0x0
	s_and_b32 s24, s2, 0xffff
	s_and_saveexec_b32 s38, s36
	s_cbranch_execz .LBB245_5
.LBB245_22:                             ;   in Loop: Header=BB245_6 Depth=1
	s_wait_loadcnt 0x0
	v_add_co_u32 v0, vcc_lo, v4, s14
	s_wait_alu 0xfffd
	v_add_co_ci_u32_e64 v1, null, s15, v5, vcc_lo
	s_delay_alu instid0(VALU_DEP_2) | instskip(SKIP_1) | instid1(VALU_DEP_2)
	v_add_co_u32 v0, vcc_lo, v0, v9
	s_wait_alu 0xfffd
	v_add_co_ci_u32_e64 v1, null, v1, v10, vcc_lo
	s_delay_alu instid0(VALU_DEP_2) | instskip(SKIP_1) | instid1(VALU_DEP_2)
	v_add_co_u32 v13, vcc_lo, v0, v11
	s_wait_alu 0xfffd
	v_add_co_ci_u32_e64 v14, null, v1, v12, vcc_lo
	s_and_not1_b32 vcc_lo, exec_lo, s34
	flat_load_b128 v[2:5], v[13:14]
	s_wait_loadcnt_dscnt 0x0
	v_mul_f64_e32 v[0:1], s[10:11], v[4:5]
	v_mul_f64_e32 v[4:5], s[8:9], v[4:5]
	s_delay_alu instid0(VALU_DEP_2) | instskip(NEXT) | instid1(VALU_DEP_2)
	v_fma_f64 v[0:1], s[8:9], v[2:3], -v[0:1]
	v_fma_f64 v[15:16], s[10:11], v[2:3], v[4:5]
	s_wait_alu 0xfffe
	s_cbranch_vccnz .LBB245_35
; %bb.23:                               ;   in Loop: Header=BB245_6 Depth=1
	v_mad_co_u64_u32 v[2:3], null, v7, s24, v[7:8]
	s_lshl_b64 s[2:3], s[24:25], 4
	s_mov_b64 s[18:19], 0
	v_mad_co_u64_u32 v[3:4], null, v7, s25, v[3:4]
	s_delay_alu instid0(VALU_DEP_1) | instskip(NEXT) | instid1(VALU_DEP_1)
	v_lshlrev_b64_e32 v[2:3], 4, v[2:3]
	v_add_co_u32 v19, vcc_lo, v17, v2
	s_wait_alu 0xfffd
	s_delay_alu instid0(VALU_DEP_2)
	v_add_co_ci_u32_e64 v20, null, v18, v3, vcc_lo
	v_add_co_u32 v21, vcc_lo, v17, v25
	s_wait_alu 0xfffd
	v_add_co_ci_u32_e64 v22, null, 0, v18, vcc_lo
	s_branch .LBB245_25
.LBB245_24:                             ;   in Loop: Header=BB245_25 Depth=2
	s_or_b32 exec_lo, exec_lo, s39
	v_add_co_u32 v21, vcc_lo, v21, s2
	s_wait_alu 0xfffd
	v_add_co_ci_u32_e64 v22, null, s3, v22, vcc_lo
	s_add_nc_u64 s[18:19], s[18:19], 1
	s_wait_alu 0xfffe
	s_cmp_eq_u64 s[30:31], s[18:19]
	s_cbranch_scc1 .LBB245_35
.LBB245_25:                             ;   Parent Loop BB245_6 Depth=1
                                        ; =>  This Inner Loop Header: Depth=2
	s_mov_b32 s39, exec_lo
	s_barrier_signal -1
	s_barrier_wait -1
	global_inv scope:SCOPE_SE
	s_wait_alu 0xfffe
	v_cmpx_eq_u64_e64 s[18:19], v[7:8]
	s_cbranch_execz .LBB245_33
; %bb.26:                               ;   in Loop: Header=BB245_25 Depth=2
	flat_load_b128 v[2:5], v[19:20]
	s_and_not1_b32 vcc_lo, exec_lo, s33
	s_wait_alu 0xfffe
	s_cbranch_vccnz .LBB245_32
; %bb.27:                               ;   in Loop: Header=BB245_25 Depth=2
	s_wait_loadcnt_dscnt 0x0
	v_cmp_ngt_f64_e64 s40, |v[2:3]|, |v[4:5]|
	s_and_saveexec_b32 s41, s40
	s_delay_alu instid0(SALU_CYCLE_1)
	s_xor_b32 s40, exec_lo, s41
	s_cbranch_execz .LBB245_29
; %bb.28:                               ;   in Loop: Header=BB245_25 Depth=2
	v_div_scale_f64 v[28:29], null, v[4:5], v[4:5], v[2:3]
	v_div_scale_f64 v[34:35], vcc_lo, v[2:3], v[4:5], v[2:3]
	s_delay_alu instid0(VALU_DEP_2) | instskip(NEXT) | instid1(TRANS32_DEP_1)
	v_rcp_f64_e32 v[30:31], v[28:29]
	v_fma_f64 v[32:33], -v[28:29], v[30:31], 1.0
	s_delay_alu instid0(VALU_DEP_1) | instskip(NEXT) | instid1(VALU_DEP_1)
	v_fma_f64 v[30:31], v[30:31], v[32:33], v[30:31]
	v_fma_f64 v[32:33], -v[28:29], v[30:31], 1.0
	s_delay_alu instid0(VALU_DEP_1) | instskip(NEXT) | instid1(VALU_DEP_1)
	v_fma_f64 v[30:31], v[30:31], v[32:33], v[30:31]
	v_mul_f64_e32 v[32:33], v[34:35], v[30:31]
	s_delay_alu instid0(VALU_DEP_1) | instskip(SKIP_1) | instid1(VALU_DEP_1)
	v_fma_f64 v[28:29], -v[28:29], v[32:33], v[34:35]
	s_wait_alu 0xfffd
	v_div_fmas_f64 v[28:29], v[28:29], v[30:31], v[32:33]
	s_delay_alu instid0(VALU_DEP_1) | instskip(NEXT) | instid1(VALU_DEP_1)
	v_div_fixup_f64 v[28:29], v[28:29], v[4:5], v[2:3]
	v_fma_f64 v[2:3], v[2:3], v[28:29], v[4:5]
	s_delay_alu instid0(VALU_DEP_1) | instskip(NEXT) | instid1(VALU_DEP_1)
	v_div_scale_f64 v[4:5], null, v[2:3], v[2:3], 1.0
	v_rcp_f64_e32 v[30:31], v[4:5]
	s_delay_alu instid0(TRANS32_DEP_1) | instskip(NEXT) | instid1(VALU_DEP_1)
	v_fma_f64 v[32:33], -v[4:5], v[30:31], 1.0
	v_fma_f64 v[30:31], v[30:31], v[32:33], v[30:31]
	s_delay_alu instid0(VALU_DEP_1) | instskip(NEXT) | instid1(VALU_DEP_1)
	v_fma_f64 v[32:33], -v[4:5], v[30:31], 1.0
	v_fma_f64 v[30:31], v[30:31], v[32:33], v[30:31]
	v_div_scale_f64 v[32:33], vcc_lo, 1.0, v[2:3], 1.0
	s_delay_alu instid0(VALU_DEP_1) | instskip(NEXT) | instid1(VALU_DEP_1)
	v_mul_f64_e32 v[34:35], v[32:33], v[30:31]
	v_fma_f64 v[4:5], -v[4:5], v[34:35], v[32:33]
	s_wait_alu 0xfffd
	s_delay_alu instid0(VALU_DEP_1) | instskip(NEXT) | instid1(VALU_DEP_1)
	v_div_fmas_f64 v[4:5], v[4:5], v[30:31], v[34:35]
	v_div_fixup_f64 v[4:5], v[4:5], v[2:3], 1.0
	s_delay_alu instid0(VALU_DEP_1)
	v_mul_f64_e32 v[2:3], v[28:29], v[4:5]
	v_xor_b32_e32 v5, 0x80000000, v5
.LBB245_29:                             ;   in Loop: Header=BB245_25 Depth=2
	s_and_not1_saveexec_b32 s40, s40
	s_cbranch_execz .LBB245_31
; %bb.30:                               ;   in Loop: Header=BB245_25 Depth=2
	s_delay_alu instid0(VALU_DEP_1) | instskip(SKIP_1) | instid1(VALU_DEP_2)
	v_div_scale_f64 v[28:29], null, v[2:3], v[2:3], v[4:5]
	v_div_scale_f64 v[34:35], vcc_lo, v[4:5], v[2:3], v[4:5]
	v_rcp_f64_e32 v[30:31], v[28:29]
	s_delay_alu instid0(TRANS32_DEP_1) | instskip(NEXT) | instid1(VALU_DEP_1)
	v_fma_f64 v[32:33], -v[28:29], v[30:31], 1.0
	v_fma_f64 v[30:31], v[30:31], v[32:33], v[30:31]
	s_delay_alu instid0(VALU_DEP_1) | instskip(NEXT) | instid1(VALU_DEP_1)
	v_fma_f64 v[32:33], -v[28:29], v[30:31], 1.0
	v_fma_f64 v[30:31], v[30:31], v[32:33], v[30:31]
	s_delay_alu instid0(VALU_DEP_1) | instskip(NEXT) | instid1(VALU_DEP_1)
	v_mul_f64_e32 v[32:33], v[34:35], v[30:31]
	v_fma_f64 v[28:29], -v[28:29], v[32:33], v[34:35]
	s_wait_alu 0xfffd
	s_delay_alu instid0(VALU_DEP_1) | instskip(NEXT) | instid1(VALU_DEP_1)
	v_div_fmas_f64 v[28:29], v[28:29], v[30:31], v[32:33]
	v_div_fixup_f64 v[28:29], v[28:29], v[2:3], v[4:5]
	s_delay_alu instid0(VALU_DEP_1) | instskip(NEXT) | instid1(VALU_DEP_1)
	v_fma_f64 v[2:3], v[4:5], v[28:29], v[2:3]
	v_div_scale_f64 v[4:5], null, v[2:3], v[2:3], 1.0
	s_delay_alu instid0(VALU_DEP_1) | instskip(NEXT) | instid1(TRANS32_DEP_1)
	v_rcp_f64_e32 v[30:31], v[4:5]
	v_fma_f64 v[32:33], -v[4:5], v[30:31], 1.0
	s_delay_alu instid0(VALU_DEP_1) | instskip(NEXT) | instid1(VALU_DEP_1)
	v_fma_f64 v[30:31], v[30:31], v[32:33], v[30:31]
	v_fma_f64 v[32:33], -v[4:5], v[30:31], 1.0
	s_delay_alu instid0(VALU_DEP_1) | instskip(SKIP_1) | instid1(VALU_DEP_1)
	v_fma_f64 v[30:31], v[30:31], v[32:33], v[30:31]
	v_div_scale_f64 v[32:33], vcc_lo, 1.0, v[2:3], 1.0
	v_mul_f64_e32 v[34:35], v[32:33], v[30:31]
	s_delay_alu instid0(VALU_DEP_1) | instskip(SKIP_1) | instid1(VALU_DEP_1)
	v_fma_f64 v[4:5], -v[4:5], v[34:35], v[32:33]
	s_wait_alu 0xfffd
	v_div_fmas_f64 v[4:5], v[4:5], v[30:31], v[34:35]
	s_delay_alu instid0(VALU_DEP_1) | instskip(NEXT) | instid1(VALU_DEP_1)
	v_div_fixup_f64 v[2:3], v[4:5], v[2:3], 1.0
	v_mul_f64_e64 v[4:5], v[28:29], -v[2:3]
.LBB245_31:                             ;   in Loop: Header=BB245_25 Depth=2
	s_or_b32 exec_lo, exec_lo, s40
.LBB245_32:                             ;   in Loop: Header=BB245_25 Depth=2
	s_wait_loadcnt_dscnt 0x0
	s_delay_alu instid0(VALU_DEP_1) | instskip(SKIP_1) | instid1(VALU_DEP_2)
	v_mul_f64_e32 v[28:29], v[15:16], v[4:5]
	v_mul_f64_e32 v[4:5], v[0:1], v[4:5]
	v_fma_f64 v[28:29], v[0:1], v[2:3], -v[28:29]
	s_delay_alu instid0(VALU_DEP_2) | instskip(NEXT) | instid1(VALU_DEP_2)
	v_fma_f64 v[15:16], v[15:16], v[2:3], v[4:5]
	v_dual_mov_b32 v0, v28 :: v_dual_mov_b32 v1, v29
	ds_store_2addr_b64 v24, v[28:29], v[15:16] offset1:1
.LBB245_33:                             ;   in Loop: Header=BB245_25 Depth=2
	s_or_b32 exec_lo, exec_lo, s39
	s_delay_alu instid0(SALU_CYCLE_1)
	s_mov_b32 s39, exec_lo
	s_wait_loadcnt_dscnt 0x0
	s_barrier_signal -1
	s_barrier_wait -1
	global_inv scope:SCOPE_SE
	v_cmpx_lt_u64_e64 s[18:19], v[7:8]
	s_cbranch_execz .LBB245_24
; %bb.34:                               ;   in Loop: Header=BB245_25 Depth=2
	flat_load_b128 v[2:5], v[21:22] offset:-8
	ds_load_2addr_b64 v[28:31], v24 offset1:1
	s_wait_loadcnt_dscnt 0x1
	v_xor_b32_e32 v32, 0x80000000, v5
	s_delay_alu instid0(VALU_DEP_1) | instskip(SKIP_1) | instid1(VALU_DEP_1)
	v_cndmask_b32_e64 v5, v5, v32, s0
	s_wait_dscnt 0x0
	v_mul_f64_e32 v[32:33], v[4:5], v[30:31]
	v_mul_f64_e32 v[30:31], v[2:3], v[30:31]
	s_delay_alu instid0(VALU_DEP_2) | instskip(NEXT) | instid1(VALU_DEP_2)
	v_fma_f64 v[2:3], v[2:3], v[28:29], -v[32:33]
	v_fma_f64 v[4:5], v[4:5], v[28:29], v[30:31]
	s_delay_alu instid0(VALU_DEP_2) | instskip(NEXT) | instid1(VALU_DEP_2)
	v_add_f64_e64 v[0:1], v[0:1], -v[2:3]
	v_add_f64_e64 v[15:16], v[15:16], -v[4:5]
	s_branch .LBB245_24
.LBB245_35:                             ;   in Loop: Header=BB245_6 Depth=1
	s_and_saveexec_b32 s2, s1
	s_cbranch_execz .LBB245_4
; %bb.36:                               ;   in Loop: Header=BB245_6 Depth=1
	v_mad_co_u64_u32 v[2:3], null, v7, s24, v[7:8]
	s_delay_alu instid0(VALU_DEP_1) | instskip(NEXT) | instid1(VALU_DEP_1)
	v_mad_co_u64_u32 v[3:4], null, v7, s25, v[3:4]
	v_lshlrev_b64_e32 v[2:3], 4, v[2:3]
	s_delay_alu instid0(VALU_DEP_1) | instskip(SKIP_1) | instid1(VALU_DEP_2)
	v_add_co_u32 v2, vcc_lo, v17, v2
	s_wait_alu 0xfffd
	v_add_co_ci_u32_e64 v3, null, v18, v3, vcc_lo
	s_and_not1_b32 vcc_lo, exec_lo, s33
	flat_load_b128 v[2:5], v[2:3]
	s_wait_alu 0xfffe
	s_cbranch_vccnz .LBB245_3
; %bb.37:                               ;   in Loop: Header=BB245_6 Depth=1
	s_wait_loadcnt_dscnt 0x0
	v_cmp_ngt_f64_e64 s3, |v[2:3]|, |v[4:5]|
	s_and_saveexec_b32 s18, s3
	s_wait_alu 0xfffe
	s_xor_b32 s3, exec_lo, s18
	s_cbranch_execz .LBB245_39
; %bb.38:                               ;   in Loop: Header=BB245_6 Depth=1
	v_div_scale_f64 v[17:18], null, v[4:5], v[4:5], v[2:3]
	v_div_scale_f64 v[28:29], vcc_lo, v[2:3], v[4:5], v[2:3]
	s_delay_alu instid0(VALU_DEP_2) | instskip(NEXT) | instid1(TRANS32_DEP_1)
	v_rcp_f64_e32 v[19:20], v[17:18]
	v_fma_f64 v[21:22], -v[17:18], v[19:20], 1.0
	s_delay_alu instid0(VALU_DEP_1) | instskip(NEXT) | instid1(VALU_DEP_1)
	v_fma_f64 v[19:20], v[19:20], v[21:22], v[19:20]
	v_fma_f64 v[21:22], -v[17:18], v[19:20], 1.0
	s_delay_alu instid0(VALU_DEP_1) | instskip(NEXT) | instid1(VALU_DEP_1)
	v_fma_f64 v[19:20], v[19:20], v[21:22], v[19:20]
	v_mul_f64_e32 v[21:22], v[28:29], v[19:20]
	s_delay_alu instid0(VALU_DEP_1) | instskip(SKIP_1) | instid1(VALU_DEP_1)
	v_fma_f64 v[17:18], -v[17:18], v[21:22], v[28:29]
	s_wait_alu 0xfffd
	v_div_fmas_f64 v[17:18], v[17:18], v[19:20], v[21:22]
	s_delay_alu instid0(VALU_DEP_1) | instskip(NEXT) | instid1(VALU_DEP_1)
	v_div_fixup_f64 v[17:18], v[17:18], v[4:5], v[2:3]
	v_fma_f64 v[2:3], v[2:3], v[17:18], v[4:5]
	s_delay_alu instid0(VALU_DEP_1) | instskip(NEXT) | instid1(VALU_DEP_1)
	v_div_scale_f64 v[4:5], null, v[2:3], v[2:3], 1.0
	v_rcp_f64_e32 v[19:20], v[4:5]
	s_delay_alu instid0(TRANS32_DEP_1) | instskip(NEXT) | instid1(VALU_DEP_1)
	v_fma_f64 v[21:22], -v[4:5], v[19:20], 1.0
	v_fma_f64 v[19:20], v[19:20], v[21:22], v[19:20]
	s_delay_alu instid0(VALU_DEP_1) | instskip(NEXT) | instid1(VALU_DEP_1)
	v_fma_f64 v[21:22], -v[4:5], v[19:20], 1.0
	v_fma_f64 v[19:20], v[19:20], v[21:22], v[19:20]
	v_div_scale_f64 v[21:22], vcc_lo, 1.0, v[2:3], 1.0
	s_delay_alu instid0(VALU_DEP_1) | instskip(NEXT) | instid1(VALU_DEP_1)
	v_mul_f64_e32 v[28:29], v[21:22], v[19:20]
	v_fma_f64 v[4:5], -v[4:5], v[28:29], v[21:22]
	s_wait_alu 0xfffd
	s_delay_alu instid0(VALU_DEP_1) | instskip(NEXT) | instid1(VALU_DEP_1)
	v_div_fmas_f64 v[4:5], v[4:5], v[19:20], v[28:29]
	v_div_fixup_f64 v[4:5], v[4:5], v[2:3], 1.0
	s_delay_alu instid0(VALU_DEP_1)
	v_mul_f64_e32 v[2:3], v[17:18], v[4:5]
	v_xor_b32_e32 v5, 0x80000000, v5
.LBB245_39:                             ;   in Loop: Header=BB245_6 Depth=1
	s_wait_alu 0xfffe
	s_and_not1_saveexec_b32 s3, s3
	s_cbranch_execz .LBB245_2
; %bb.40:                               ;   in Loop: Header=BB245_6 Depth=1
	s_delay_alu instid0(VALU_DEP_1) | instskip(SKIP_1) | instid1(VALU_DEP_2)
	v_div_scale_f64 v[17:18], null, v[2:3], v[2:3], v[4:5]
	v_div_scale_f64 v[28:29], vcc_lo, v[4:5], v[2:3], v[4:5]
	v_rcp_f64_e32 v[19:20], v[17:18]
	s_delay_alu instid0(TRANS32_DEP_1) | instskip(NEXT) | instid1(VALU_DEP_1)
	v_fma_f64 v[21:22], -v[17:18], v[19:20], 1.0
	v_fma_f64 v[19:20], v[19:20], v[21:22], v[19:20]
	s_delay_alu instid0(VALU_DEP_1) | instskip(NEXT) | instid1(VALU_DEP_1)
	v_fma_f64 v[21:22], -v[17:18], v[19:20], 1.0
	v_fma_f64 v[19:20], v[19:20], v[21:22], v[19:20]
	s_delay_alu instid0(VALU_DEP_1) | instskip(NEXT) | instid1(VALU_DEP_1)
	v_mul_f64_e32 v[21:22], v[28:29], v[19:20]
	v_fma_f64 v[17:18], -v[17:18], v[21:22], v[28:29]
	s_wait_alu 0xfffd
	s_delay_alu instid0(VALU_DEP_1) | instskip(NEXT) | instid1(VALU_DEP_1)
	v_div_fmas_f64 v[17:18], v[17:18], v[19:20], v[21:22]
	v_div_fixup_f64 v[17:18], v[17:18], v[2:3], v[4:5]
	s_delay_alu instid0(VALU_DEP_1) | instskip(NEXT) | instid1(VALU_DEP_1)
	v_fma_f64 v[2:3], v[4:5], v[17:18], v[2:3]
	v_div_scale_f64 v[4:5], null, v[2:3], v[2:3], 1.0
	s_delay_alu instid0(VALU_DEP_1) | instskip(NEXT) | instid1(TRANS32_DEP_1)
	v_rcp_f64_e32 v[19:20], v[4:5]
	v_fma_f64 v[21:22], -v[4:5], v[19:20], 1.0
	s_delay_alu instid0(VALU_DEP_1) | instskip(NEXT) | instid1(VALU_DEP_1)
	v_fma_f64 v[19:20], v[19:20], v[21:22], v[19:20]
	v_fma_f64 v[21:22], -v[4:5], v[19:20], 1.0
	s_delay_alu instid0(VALU_DEP_1) | instskip(SKIP_1) | instid1(VALU_DEP_1)
	v_fma_f64 v[19:20], v[19:20], v[21:22], v[19:20]
	v_div_scale_f64 v[21:22], vcc_lo, 1.0, v[2:3], 1.0
	v_mul_f64_e32 v[28:29], v[21:22], v[19:20]
	s_delay_alu instid0(VALU_DEP_1) | instskip(SKIP_1) | instid1(VALU_DEP_1)
	v_fma_f64 v[4:5], -v[4:5], v[28:29], v[21:22]
	s_wait_alu 0xfffd
	v_div_fmas_f64 v[4:5], v[4:5], v[19:20], v[28:29]
	s_delay_alu instid0(VALU_DEP_1) | instskip(NEXT) | instid1(VALU_DEP_1)
	v_div_fixup_f64 v[2:3], v[4:5], v[2:3], 1.0
	v_mul_f64_e64 v[4:5], v[17:18], -v[2:3]
	s_branch .LBB245_2
.LBB245_41:
	s_endpgm
	.section	.rodata,"a",@progbits
	.p2align	6, 0x0
	.amdhsa_kernel _ZL39rocblas_trsm_block_forward_substitutionI19rocblas_complex_numIdES1_PKPKS1_PKPS1_Lb0ELb1ELb0EEv18rocblas_operation_llT0_T1_lllT2_lllib
		.amdhsa_group_segment_fixed_size 0
		.amdhsa_private_segment_fixed_size 0
		.amdhsa_kernarg_size 368
		.amdhsa_user_sgpr_count 2
		.amdhsa_user_sgpr_dispatch_ptr 0
		.amdhsa_user_sgpr_queue_ptr 0
		.amdhsa_user_sgpr_kernarg_segment_ptr 1
		.amdhsa_user_sgpr_dispatch_id 0
		.amdhsa_user_sgpr_private_segment_size 0
		.amdhsa_wavefront_size32 1
		.amdhsa_uses_dynamic_stack 0
		.amdhsa_enable_private_segment 0
		.amdhsa_system_sgpr_workgroup_id_x 1
		.amdhsa_system_sgpr_workgroup_id_y 1
		.amdhsa_system_sgpr_workgroup_id_z 1
		.amdhsa_system_sgpr_workgroup_info 0
		.amdhsa_system_vgpr_workitem_id 1
		.amdhsa_next_free_vgpr 36
		.amdhsa_next_free_sgpr 42
		.amdhsa_reserve_vcc 1
		.amdhsa_float_round_mode_32 0
		.amdhsa_float_round_mode_16_64 0
		.amdhsa_float_denorm_mode_32 3
		.amdhsa_float_denorm_mode_16_64 3
		.amdhsa_fp16_overflow 0
		.amdhsa_workgroup_processor_mode 1
		.amdhsa_memory_ordered 1
		.amdhsa_forward_progress 1
		.amdhsa_inst_pref_size 25
		.amdhsa_round_robin_scheduling 0
		.amdhsa_exception_fp_ieee_invalid_op 0
		.amdhsa_exception_fp_denorm_src 0
		.amdhsa_exception_fp_ieee_div_zero 0
		.amdhsa_exception_fp_ieee_overflow 0
		.amdhsa_exception_fp_ieee_underflow 0
		.amdhsa_exception_fp_ieee_inexact 0
		.amdhsa_exception_int_div_zero 0
	.end_amdhsa_kernel
	.section	.text._ZL39rocblas_trsm_block_forward_substitutionI19rocblas_complex_numIdES1_PKPKS1_PKPS1_Lb0ELb1ELb0EEv18rocblas_operation_llT0_T1_lllT2_lllib,"axG",@progbits,_ZL39rocblas_trsm_block_forward_substitutionI19rocblas_complex_numIdES1_PKPKS1_PKPS1_Lb0ELb1ELb0EEv18rocblas_operation_llT0_T1_lllT2_lllib,comdat
.Lfunc_end245:
	.size	_ZL39rocblas_trsm_block_forward_substitutionI19rocblas_complex_numIdES1_PKPKS1_PKPS1_Lb0ELb1ELb0EEv18rocblas_operation_llT0_T1_lllT2_lllib, .Lfunc_end245-_ZL39rocblas_trsm_block_forward_substitutionI19rocblas_complex_numIdES1_PKPKS1_PKPS1_Lb0ELb1ELb0EEv18rocblas_operation_llT0_T1_lllT2_lllib
                                        ; -- End function
	.set _ZL39rocblas_trsm_block_forward_substitutionI19rocblas_complex_numIdES1_PKPKS1_PKPS1_Lb0ELb1ELb0EEv18rocblas_operation_llT0_T1_lllT2_lllib.num_vgpr, 36
	.set _ZL39rocblas_trsm_block_forward_substitutionI19rocblas_complex_numIdES1_PKPKS1_PKPS1_Lb0ELb1ELb0EEv18rocblas_operation_llT0_T1_lllT2_lllib.num_agpr, 0
	.set _ZL39rocblas_trsm_block_forward_substitutionI19rocblas_complex_numIdES1_PKPKS1_PKPS1_Lb0ELb1ELb0EEv18rocblas_operation_llT0_T1_lllT2_lllib.numbered_sgpr, 42
	.set _ZL39rocblas_trsm_block_forward_substitutionI19rocblas_complex_numIdES1_PKPKS1_PKPS1_Lb0ELb1ELb0EEv18rocblas_operation_llT0_T1_lllT2_lllib.num_named_barrier, 0
	.set _ZL39rocblas_trsm_block_forward_substitutionI19rocblas_complex_numIdES1_PKPKS1_PKPS1_Lb0ELb1ELb0EEv18rocblas_operation_llT0_T1_lllT2_lllib.private_seg_size, 0
	.set _ZL39rocblas_trsm_block_forward_substitutionI19rocblas_complex_numIdES1_PKPKS1_PKPS1_Lb0ELb1ELb0EEv18rocblas_operation_llT0_T1_lllT2_lllib.uses_vcc, 1
	.set _ZL39rocblas_trsm_block_forward_substitutionI19rocblas_complex_numIdES1_PKPKS1_PKPS1_Lb0ELb1ELb0EEv18rocblas_operation_llT0_T1_lllT2_lllib.uses_flat_scratch, 0
	.set _ZL39rocblas_trsm_block_forward_substitutionI19rocblas_complex_numIdES1_PKPKS1_PKPS1_Lb0ELb1ELb0EEv18rocblas_operation_llT0_T1_lllT2_lllib.has_dyn_sized_stack, 0
	.set _ZL39rocblas_trsm_block_forward_substitutionI19rocblas_complex_numIdES1_PKPKS1_PKPS1_Lb0ELb1ELb0EEv18rocblas_operation_llT0_T1_lllT2_lllib.has_recursion, 0
	.set _ZL39rocblas_trsm_block_forward_substitutionI19rocblas_complex_numIdES1_PKPKS1_PKPS1_Lb0ELb1ELb0EEv18rocblas_operation_llT0_T1_lllT2_lllib.has_indirect_call, 0
	.section	.AMDGPU.csdata,"",@progbits
; Kernel info:
; codeLenInByte = 3076
; TotalNumSgprs: 44
; NumVgprs: 36
; ScratchSize: 0
; MemoryBound: 1
; FloatMode: 240
; IeeeMode: 1
; LDSByteSize: 0 bytes/workgroup (compile time only)
; SGPRBlocks: 0
; VGPRBlocks: 4
; NumSGPRsForWavesPerEU: 44
; NumVGPRsForWavesPerEU: 36
; Occupancy: 16
; WaveLimiterHint : 1
; COMPUTE_PGM_RSRC2:SCRATCH_EN: 0
; COMPUTE_PGM_RSRC2:USER_SGPR: 2
; COMPUTE_PGM_RSRC2:TRAP_HANDLER: 0
; COMPUTE_PGM_RSRC2:TGID_X_EN: 1
; COMPUTE_PGM_RSRC2:TGID_Y_EN: 1
; COMPUTE_PGM_RSRC2:TGID_Z_EN: 1
; COMPUTE_PGM_RSRC2:TIDIG_COMP_CNT: 1
	.section	.text._ZL40rocblas_trsm_block_backward_substitutionI19rocblas_complex_numIdES1_PKPKS1_PKPS1_Lb0ELb1ELb0EEv18rocblas_operation_llT0_T1_lllT2_lllib,"axG",@progbits,_ZL40rocblas_trsm_block_backward_substitutionI19rocblas_complex_numIdES1_PKPKS1_PKPS1_Lb0ELb1ELb0EEv18rocblas_operation_llT0_T1_lllT2_lllib,comdat
	.globl	_ZL40rocblas_trsm_block_backward_substitutionI19rocblas_complex_numIdES1_PKPKS1_PKPS1_Lb0ELb1ELb0EEv18rocblas_operation_llT0_T1_lllT2_lllib ; -- Begin function _ZL40rocblas_trsm_block_backward_substitutionI19rocblas_complex_numIdES1_PKPKS1_PKPS1_Lb0ELb1ELb0EEv18rocblas_operation_llT0_T1_lllT2_lllib
	.p2align	8
	.type	_ZL40rocblas_trsm_block_backward_substitutionI19rocblas_complex_numIdES1_PKPKS1_PKPS1_Lb0ELb1ELb0EEv18rocblas_operation_llT0_T1_lllT2_lllib,@function
_ZL40rocblas_trsm_block_backward_substitutionI19rocblas_complex_numIdES1_PKPKS1_PKPS1_Lb0ELb1ELb0EEv18rocblas_operation_llT0_T1_lllT2_lllib: ; @_ZL40rocblas_trsm_block_backward_substitutionI19rocblas_complex_numIdES1_PKPKS1_PKPS1_Lb0ELb1ELb0EEv18rocblas_operation_llT0_T1_lllT2_lllib
; %bb.0:
	s_load_b64 s[20:21], s[0:1], 0x68
	s_lshr_b32 s22, ttmp7, 16
	s_wait_kmcnt 0x0
	s_cmp_ge_u32 s22, s20
	s_cbranch_scc1 .LBB246_42
; %bb.1:
	s_clause 0x5
	s_load_b32 s2, s[0:1], 0x0
	s_load_u16 s33, s[0:1], 0x7e
	s_load_b64 s[24:25], s[0:1], 0x38
	s_load_b128 s[12:15], s[0:1], 0x28
	s_load_b64 s[30:31], s[0:1], 0x58
	s_load_b256 s[4:11], s[0:1], 0x8
	s_bitcmp1_b32 s21, 0
	v_bfe_u32 v6, v0, 10, 10
	s_cselect_b32 s3, -1, 0
	s_load_b128 s[16:19], s[0:1], 0x48
	s_xor_b32 s21, s3, -1
	v_cndmask_b32_e64 v23, 0, 1, s3
	s_mov_b64 s[28:29], src_shared_base
	s_add_nc_u64 s[26:27], s[0:1], 0x70
	v_lshl_add_u32 v25, v6, 4, 0
	s_mov_b32 s23, 0
	v_mov_b32_e32 v8, 0
	s_wait_kmcnt 0x0
	s_cmp_eq_u32 s2, 0x71
	s_cselect_b32 s2, -1, 0
	s_and_b32 s3, ttmp7, 0xffff
	s_lshl_b64 s[14:15], s[14:15], 4
	s_wait_alu 0xfffe
	v_mad_co_u64_u32 v[1:2], null, s3, s33, v[6:7]
	v_and_b32_e32 v7, 0x3ff, v0
	s_lshl_b32 s3, s33, 4
	v_mov_b32_e32 v2, v8
	s_wait_alu 0xfffe
	s_add_co_i32 s28, s3, 0
	v_cmp_gt_i64_e64 s43, s[4:5], 1
	v_mad_co_u64_u32 v[3:4], null, s24, v7, 0
	v_mad_co_u64_u32 v[11:12], null, s30, v1, 0
	v_lshlrev_b32_e32 v24, 4, v7
	v_lshlrev_b32_e32 v27, 4, v7
	v_cmp_le_i64_e64 s42, s[4:5], v[7:8]
	v_cmp_gt_i64_e64 s1, s[4:5], v[7:8]
	v_mov_b32_e32 v0, v4
	v_cmp_gt_i64_e32 vcc_lo, s[6:7], v[1:2]
	v_mov_b32_e32 v4, v12
	v_cmp_gt_i64_e64 s45, s[4:5], 0
	v_cmp_eq_u32_e64 s0, 0, v7
	v_mad_co_u64_u32 v[9:10], null, s25, v7, v[0:1]
	s_delay_alu instid0(VALU_DEP_4)
	v_mad_co_u64_u32 v[12:13], null, s31, v1, v[4:5]
	v_add_nc_u32_e32 v26, s28, v24
	s_add_nc_u64 s[6:7], s[4:5], -1
	s_and_b32 s44, vcc_lo, s1
	s_wait_alu 0xfffe
	s_lshl_b64 s[30:31], s[6:7], 4
	s_delay_alu instid0(VALU_DEP_3) | instskip(SKIP_3) | instid1(VALU_DEP_2)
	v_mov_b32_e32 v4, v9
	s_xor_b32 s46, s42, -1
	v_lshlrev_b64_e32 v[11:12], 4, v[11:12]
	s_lshl_b64 s[18:19], s[18:19], 4
	v_lshlrev_b64_e32 v[9:10], 4, v[3:4]
	s_branch .LBB246_6
.LBB246_2:                              ;   in Loop: Header=BB246_6 Depth=1
	s_wait_alu 0xfffe
	s_or_b32 exec_lo, exec_lo, s34
.LBB246_3:                              ;   in Loop: Header=BB246_6 Depth=1
	s_wait_loadcnt_dscnt 0x0
	s_delay_alu instid0(VALU_DEP_1) | instskip(NEXT) | instid1(VALU_DEP_3)
	v_mul_f64_e32 v[17:18], v[15:16], v[4:5]
	v_mul_f64_e32 v[15:16], v[15:16], v[2:3]
	s_delay_alu instid0(VALU_DEP_2) | instskip(NEXT) | instid1(VALU_DEP_2)
	v_fma_f64 v[2:3], v[0:1], v[2:3], -v[17:18]
	v_fma_f64 v[15:16], v[0:1], v[4:5], v[15:16]
	s_delay_alu instid0(VALU_DEP_2)
	v_dual_mov_b32 v0, v2 :: v_dual_mov_b32 v1, v3
.LBB246_4:                              ;   in Loop: Header=BB246_6 Depth=1
	s_wait_alu 0xfffe
	s_or_b32 exec_lo, exec_lo, s38
	s_delay_alu instid0(VALU_DEP_1)
	v_dual_mov_b32 v2, v15 :: v_dual_mov_b32 v3, v16
	flat_store_b128 v[13:14], v[0:3]
.LBB246_5:                              ;   in Loop: Header=BB246_6 Depth=1
	s_wait_alu 0xfffe
	s_or_b32 exec_lo, exec_lo, s3
	s_add_co_i32 s22, s22, 0x10000
	s_delay_alu instid0(SALU_CYCLE_1)
	s_cmp_lt_u32 s22, s20
	s_cbranch_scc0 .LBB246_42
.LBB246_6:                              ; =>This Loop Header: Depth=1
                                        ;     Child Loop BB246_12 Depth 2
                                        ;     Child Loop BB246_26 Depth 2
	s_lshl_b64 s[34:35], s[22:23], 3
	v_cmp_ne_u32_e32 vcc_lo, 1, v23
	s_wait_alu 0xfffe
	s_add_nc_u64 s[36:37], s[12:13], s[34:35]
	s_add_nc_u64 s[34:35], s[16:17], s[34:35]
	global_load_b64 v[0:1], v8, s[36:37]
	s_wait_loadcnt 0x1
	global_load_b64 v[4:5], v8, s[34:35]
	s_and_b32 vcc_lo, exec_lo, vcc_lo
	s_mov_b64 s[34:35], 1
	s_mov_b64 s[36:37], s[24:25]
	s_wait_loadcnt 0x1
	v_add_co_u32 v17, s3, v0, s14
	s_wait_alu 0xf1ff
	v_add_co_ci_u32_e64 v18, null, s15, v1, s3
	s_wait_alu 0xfffe
	s_cbranch_vccz .LBB246_8
; %bb.7:                                ;   in Loop: Header=BB246_6 Depth=1
	s_and_saveexec_b32 s3, s44
	s_cbranch_execz .LBB246_5
	s_branch .LBB246_23
.LBB246_8:                              ;   in Loop: Header=BB246_6 Depth=1
	s_and_not1_b32 vcc_lo, exec_lo, s45
	s_wait_alu 0xfffe
	s_cbranch_vccnz .LBB246_22
; %bb.9:                                ;   in Loop: Header=BB246_6 Depth=1
	v_add_co_u32 v20, vcc_lo, v17, v9
	s_wait_alu 0xfffd
	v_add_co_ci_u32_e64 v21, null, v18, v10, vcc_lo
	v_mov_b32_e32 v15, v6
	s_delay_alu instid0(VALU_DEP_3) | instskip(SKIP_1) | instid1(VALU_DEP_3)
	v_add_co_u32 v13, vcc_lo, v20, v27
	s_wait_alu 0xfffd
	v_add_co_ci_u32_e64 v14, null, 0, v21, vcc_lo
	s_mov_b32 s34, s33
	s_branch .LBB246_12
.LBB246_10:                             ;   in Loop: Header=BB246_12 Depth=2
	s_wait_alu 0xfffe
	s_or_b32 exec_lo, exec_lo, s35
	s_load_b32 s35, s[26:27], 0xc
	s_wait_kmcnt 0x0
	s_and_b32 s35, s35, 0xffff
	s_wait_alu 0xfffe
	v_mul_u32_u24_e32 v0, s35, v7
	s_delay_alu instid0(VALU_DEP_1)
	v_lshl_add_u32 v0, v0, 4, v26
	ds_store_2addr_b64 v0, v[16:17], v[18:19] offset1:1
.LBB246_11:                             ;   in Loop: Header=BB246_12 Depth=2
	s_wait_alu 0xfffe
	s_or_b32 exec_lo, exec_lo, s3
	s_ashr_i32 s35, s34, 31
	v_add_nc_u32_e32 v15, s33, v15
	s_wait_alu 0xfffe
	v_cmp_le_i64_e64 s3, s[4:5], s[34:35]
	s_add_co_i32 s34, s34, s33
	s_and_b32 vcc_lo, exec_lo, s3
	s_wait_alu 0xfffe
	s_cbranch_vccnz .LBB246_22
.LBB246_12:                             ;   Parent Loop BB246_6 Depth=1
                                        ; =>  This Inner Loop Header: Depth=2
	s_mov_b32 s36, s42
	s_and_saveexec_b32 s35, s1
	s_cbranch_execz .LBB246_16
; %bb.13:                               ;   in Loop: Header=BB246_12 Depth=2
	v_ashrrev_i32_e32 v16, 31, v15
	v_cmp_lt_i32_e64 s3, v7, v15
	s_mov_b32 s36, -1
	v_cmp_gt_i64_e32 vcc_lo, s[4:5], v[15:16]
	s_and_b32 s37, s3, vcc_lo
	s_wait_alu 0xfffe
	s_and_saveexec_b32 s3, s37
	s_cbranch_execz .LBB246_15
; %bb.14:                               ;   in Loop: Header=BB246_12 Depth=2
	v_lshlrev_b64_e32 v[0:1], 4, v[15:16]
	s_load_b32 s36, s[26:27], 0xc
	s_delay_alu instid0(VALU_DEP_1) | instskip(SKIP_1) | instid1(VALU_DEP_2)
	v_add_co_u32 v0, vcc_lo, v20, v0
	s_wait_alu 0xfffd
	v_add_co_ci_u32_e64 v1, null, v21, v1, vcc_lo
	flat_load_b128 v[0:3], v[0:1]
	s_wait_kmcnt 0x0
	s_and_b32 s36, s36, 0xffff
	s_wait_alu 0xfffe
	v_mul_lo_u32 v16, v15, s36
	s_xor_b32 s36, exec_lo, -1
	s_delay_alu instid0(VALU_DEP_1)
	v_lshl_add_u32 v16, v16, 4, v26
	s_wait_loadcnt_dscnt 0x0
	ds_store_2addr_b64 v16, v[0:1], v[2:3] offset1:1
.LBB246_15:                             ;   in Loop: Header=BB246_12 Depth=2
	s_wait_alu 0xfffe
	s_or_b32 exec_lo, exec_lo, s3
	s_delay_alu instid0(SALU_CYCLE_1)
	s_and_not1_b32 s3, s42, exec_lo
	s_and_b32 s36, s36, exec_lo
	s_wait_alu 0xfffe
	s_or_b32 s36, s3, s36
.LBB246_16:                             ;   in Loop: Header=BB246_12 Depth=2
	s_wait_alu 0xfffe
	s_or_b32 exec_lo, exec_lo, s35
	s_and_saveexec_b32 s3, s36
	s_cbranch_execz .LBB246_11
; %bb.17:                               ;   in Loop: Header=BB246_12 Depth=2
	v_cmp_eq_u32_e32 vcc_lo, v7, v15
	s_and_b32 s35, s46, vcc_lo
	s_wait_alu 0xfffe
	s_and_b32 exec_lo, exec_lo, s35
	s_cbranch_execz .LBB246_11
; %bb.18:                               ;   in Loop: Header=BB246_12 Depth=2
	flat_load_b128 v[0:3], v[13:14]
                                        ; implicit-def: $vgpr16_vgpr17
	s_wait_loadcnt_dscnt 0x0
	v_cmp_ngt_f64_e64 s35, |v[0:1]|, |v[2:3]|
	s_and_saveexec_b32 s36, s35
	s_wait_alu 0xfffe
	s_xor_b32 s35, exec_lo, s36
                                        ; implicit-def: $vgpr18_vgpr19
	s_cbranch_execz .LBB246_20
; %bb.19:                               ;   in Loop: Header=BB246_12 Depth=2
	v_div_scale_f64 v[16:17], null, v[2:3], v[2:3], v[0:1]
	v_div_scale_f64 v[30:31], vcc_lo, v[0:1], v[2:3], v[0:1]
	s_delay_alu instid0(VALU_DEP_2) | instskip(NEXT) | instid1(TRANS32_DEP_1)
	v_rcp_f64_e32 v[18:19], v[16:17]
	v_fma_f64 v[28:29], -v[16:17], v[18:19], 1.0
	s_delay_alu instid0(VALU_DEP_1) | instskip(NEXT) | instid1(VALU_DEP_1)
	v_fma_f64 v[18:19], v[18:19], v[28:29], v[18:19]
	v_fma_f64 v[28:29], -v[16:17], v[18:19], 1.0
	s_delay_alu instid0(VALU_DEP_1) | instskip(NEXT) | instid1(VALU_DEP_1)
	v_fma_f64 v[18:19], v[18:19], v[28:29], v[18:19]
	v_mul_f64_e32 v[28:29], v[30:31], v[18:19]
	s_delay_alu instid0(VALU_DEP_1) | instskip(SKIP_1) | instid1(VALU_DEP_1)
	v_fma_f64 v[16:17], -v[16:17], v[28:29], v[30:31]
	s_wait_alu 0xfffd
	v_div_fmas_f64 v[16:17], v[16:17], v[18:19], v[28:29]
	s_delay_alu instid0(VALU_DEP_1) | instskip(NEXT) | instid1(VALU_DEP_1)
	v_div_fixup_f64 v[16:17], v[16:17], v[2:3], v[0:1]
	v_fma_f64 v[0:1], v[0:1], v[16:17], v[2:3]
	s_delay_alu instid0(VALU_DEP_1) | instskip(NEXT) | instid1(VALU_DEP_1)
	v_div_scale_f64 v[2:3], null, v[0:1], v[0:1], 1.0
	v_rcp_f64_e32 v[18:19], v[2:3]
	s_delay_alu instid0(TRANS32_DEP_1) | instskip(NEXT) | instid1(VALU_DEP_1)
	v_fma_f64 v[28:29], -v[2:3], v[18:19], 1.0
	v_fma_f64 v[18:19], v[18:19], v[28:29], v[18:19]
	s_delay_alu instid0(VALU_DEP_1) | instskip(NEXT) | instid1(VALU_DEP_1)
	v_fma_f64 v[28:29], -v[2:3], v[18:19], 1.0
	v_fma_f64 v[18:19], v[18:19], v[28:29], v[18:19]
	v_div_scale_f64 v[28:29], vcc_lo, 1.0, v[0:1], 1.0
	s_delay_alu instid0(VALU_DEP_1) | instskip(NEXT) | instid1(VALU_DEP_1)
	v_mul_f64_e32 v[30:31], v[28:29], v[18:19]
	v_fma_f64 v[2:3], -v[2:3], v[30:31], v[28:29]
	s_wait_alu 0xfffd
	s_delay_alu instid0(VALU_DEP_1) | instskip(NEXT) | instid1(VALU_DEP_1)
	v_div_fmas_f64 v[2:3], v[2:3], v[18:19], v[30:31]
	v_div_fixup_f64 v[18:19], v[2:3], v[0:1], 1.0
                                        ; implicit-def: $vgpr0_vgpr1
	s_delay_alu instid0(VALU_DEP_1)
	v_mul_f64_e32 v[16:17], v[16:17], v[18:19]
	v_xor_b32_e32 v19, 0x80000000, v19
.LBB246_20:                             ;   in Loop: Header=BB246_12 Depth=2
	s_wait_alu 0xfffe
	s_and_not1_saveexec_b32 s35, s35
	s_cbranch_execz .LBB246_10
; %bb.21:                               ;   in Loop: Header=BB246_12 Depth=2
	v_div_scale_f64 v[16:17], null, v[0:1], v[0:1], v[2:3]
	v_div_scale_f64 v[30:31], vcc_lo, v[2:3], v[0:1], v[2:3]
	s_delay_alu instid0(VALU_DEP_2) | instskip(NEXT) | instid1(TRANS32_DEP_1)
	v_rcp_f64_e32 v[18:19], v[16:17]
	v_fma_f64 v[28:29], -v[16:17], v[18:19], 1.0
	s_delay_alu instid0(VALU_DEP_1) | instskip(NEXT) | instid1(VALU_DEP_1)
	v_fma_f64 v[18:19], v[18:19], v[28:29], v[18:19]
	v_fma_f64 v[28:29], -v[16:17], v[18:19], 1.0
	s_delay_alu instid0(VALU_DEP_1) | instskip(NEXT) | instid1(VALU_DEP_1)
	v_fma_f64 v[18:19], v[18:19], v[28:29], v[18:19]
	v_mul_f64_e32 v[28:29], v[30:31], v[18:19]
	s_delay_alu instid0(VALU_DEP_1) | instskip(SKIP_1) | instid1(VALU_DEP_1)
	v_fma_f64 v[16:17], -v[16:17], v[28:29], v[30:31]
	s_wait_alu 0xfffd
	v_div_fmas_f64 v[16:17], v[16:17], v[18:19], v[28:29]
	s_delay_alu instid0(VALU_DEP_1) | instskip(NEXT) | instid1(VALU_DEP_1)
	v_div_fixup_f64 v[18:19], v[16:17], v[0:1], v[2:3]
	v_fma_f64 v[0:1], v[2:3], v[18:19], v[0:1]
	s_delay_alu instid0(VALU_DEP_1) | instskip(NEXT) | instid1(VALU_DEP_1)
	v_div_scale_f64 v[2:3], null, v[0:1], v[0:1], 1.0
	v_rcp_f64_e32 v[16:17], v[2:3]
	s_delay_alu instid0(TRANS32_DEP_1) | instskip(NEXT) | instid1(VALU_DEP_1)
	v_fma_f64 v[28:29], -v[2:3], v[16:17], 1.0
	v_fma_f64 v[16:17], v[16:17], v[28:29], v[16:17]
	s_delay_alu instid0(VALU_DEP_1) | instskip(NEXT) | instid1(VALU_DEP_1)
	v_fma_f64 v[28:29], -v[2:3], v[16:17], 1.0
	v_fma_f64 v[16:17], v[16:17], v[28:29], v[16:17]
	v_div_scale_f64 v[28:29], vcc_lo, 1.0, v[0:1], 1.0
	s_delay_alu instid0(VALU_DEP_1) | instskip(NEXT) | instid1(VALU_DEP_1)
	v_mul_f64_e32 v[30:31], v[28:29], v[16:17]
	v_fma_f64 v[2:3], -v[2:3], v[30:31], v[28:29]
	s_wait_alu 0xfffd
	s_delay_alu instid0(VALU_DEP_1) | instskip(NEXT) | instid1(VALU_DEP_1)
	v_div_fmas_f64 v[2:3], v[2:3], v[16:17], v[30:31]
	v_div_fixup_f64 v[16:17], v[2:3], v[0:1], 1.0
	s_delay_alu instid0(VALU_DEP_1)
	v_mul_f64_e64 v[18:19], v[18:19], -v[16:17]
	s_branch .LBB246_10
.LBB246_22:                             ;   in Loop: Header=BB246_6 Depth=1
	s_load_b32 s3, s[26:27], 0xc
	v_dual_mov_b32 v17, s28 :: v_dual_mov_b32 v18, s29
	s_mov_b32 s35, s23
	s_mov_b64 s[36:37], 1
	s_wait_kmcnt 0x0
	s_and_b32 s34, s3, 0xffff
	s_and_saveexec_b32 s3, s44
	s_cbranch_execz .LBB246_5
.LBB246_23:                             ;   in Loop: Header=BB246_6 Depth=1
	s_wait_loadcnt 0x0
	v_add_co_u32 v0, vcc_lo, v4, s18
	s_wait_alu 0xfffd
	v_add_co_ci_u32_e64 v1, null, s19, v5, vcc_lo
	s_delay_alu instid0(VALU_DEP_2) | instskip(SKIP_1) | instid1(VALU_DEP_2)
	v_add_co_u32 v0, vcc_lo, v0, v11
	s_wait_alu 0xfffd
	v_add_co_ci_u32_e64 v1, null, v1, v12, vcc_lo
	s_delay_alu instid0(VALU_DEP_2) | instskip(SKIP_1) | instid1(VALU_DEP_2)
	v_add_co_u32 v13, vcc_lo, v0, v27
	s_wait_alu 0xfffd
	v_add_co_ci_u32_e64 v14, null, 0, v1, vcc_lo
	s_and_not1_b32 vcc_lo, exec_lo, s43
	flat_load_b128 v[2:5], v[13:14]
	s_wait_loadcnt_dscnt 0x0
	v_mul_f64_e32 v[0:1], s[10:11], v[4:5]
	v_mul_f64_e32 v[4:5], s[8:9], v[4:5]
	s_delay_alu instid0(VALU_DEP_2) | instskip(NEXT) | instid1(VALU_DEP_2)
	v_fma_f64 v[0:1], s[8:9], v[2:3], -v[0:1]
	v_fma_f64 v[15:16], s[10:11], v[2:3], v[4:5]
	s_wait_alu 0xfffe
	s_cbranch_vccnz .LBB246_36
; %bb.24:                               ;   in Loop: Header=BB246_6 Depth=1
	s_mul_u64 s[40:41], s[30:31], s[34:35]
	s_add_nc_u64 s[38:39], s[34:35], s[36:37]
	s_wait_alu 0xfffe
	v_add_co_u32 v4, vcc_lo, v17, s40
	s_wait_alu 0xfffd
	v_add_co_ci_u32_e64 v5, null, s41, v18, vcc_lo
	v_mad_co_u64_u32 v[2:3], null, s38, v7, 0
	s_lshl_b32 s38, s34, 4
	v_mad_co_u64_u32 v[4:5], null, v24, s36, v[4:5]
	s_mov_b64 s[40:41], s[6:7]
	v_mad_co_u64_u32 v[19:20], null, s39, v7, v[3:4]
	v_mad_co_u64_u32 v[20:21], null, v24, s37, v[5:6]
	s_mov_b32 s39, s23
	s_wait_alu 0xfffe
	s_sub_nc_u64 s[38:39], 0, s[38:39]
	v_mov_b32_e32 v3, v19
	v_add_co_u32 v19, vcc_lo, v4, 8
	s_wait_alu 0xfffd
	v_add_co_ci_u32_e64 v20, null, 0, v20, vcc_lo
	s_delay_alu instid0(VALU_DEP_3) | instskip(NEXT) | instid1(VALU_DEP_1)
	v_lshlrev_b64_e32 v[2:3], 4, v[2:3]
	v_add_co_u32 v21, vcc_lo, v17, v2
	s_wait_alu 0xfffd
	s_delay_alu instid0(VALU_DEP_2)
	v_add_co_ci_u32_e64 v22, null, v18, v3, vcc_lo
	s_branch .LBB246_26
.LBB246_25:                             ;   in Loop: Header=BB246_26 Depth=2
	s_or_b32 exec_lo, exec_lo, s47
	s_add_nc_u64 s[48:49], s[40:41], 1
	s_wait_alu 0xfffe
	v_add_co_u32 v19, vcc_lo, v19, s38
	v_cmp_lt_u64_e64 s47, s[48:49], 3
	s_wait_alu 0xfffd
	v_add_co_ci_u32_e64 v20, null, s39, v20, vcc_lo
	s_add_nc_u64 s[40:41], s[40:41], -1
	s_and_b32 vcc_lo, exec_lo, s47
	s_wait_alu 0xfffe
	s_cbranch_vccnz .LBB246_36
.LBB246_26:                             ;   Parent Loop BB246_6 Depth=1
                                        ; =>  This Inner Loop Header: Depth=2
	s_mov_b32 s47, exec_lo
	s_barrier_signal -1
	s_barrier_wait -1
	global_inv scope:SCOPE_SE
	v_cmpx_eq_u64_e64 s[40:41], v[7:8]
	s_cbranch_execz .LBB246_34
; %bb.27:                               ;   in Loop: Header=BB246_26 Depth=2
	flat_load_b128 v[2:5], v[21:22]
	s_and_not1_b32 vcc_lo, exec_lo, s21
	s_wait_alu 0xfffe
	s_cbranch_vccnz .LBB246_33
; %bb.28:                               ;   in Loop: Header=BB246_26 Depth=2
	s_wait_loadcnt_dscnt 0x0
	v_cmp_ngt_f64_e64 s48, |v[2:3]|, |v[4:5]|
	s_and_saveexec_b32 s49, s48
	s_wait_alu 0xfffe
	s_xor_b32 s48, exec_lo, s49
	s_cbranch_execz .LBB246_30
; %bb.29:                               ;   in Loop: Header=BB246_26 Depth=2
	v_div_scale_f64 v[28:29], null, v[4:5], v[4:5], v[2:3]
	v_div_scale_f64 v[34:35], vcc_lo, v[2:3], v[4:5], v[2:3]
	s_delay_alu instid0(VALU_DEP_2) | instskip(NEXT) | instid1(TRANS32_DEP_1)
	v_rcp_f64_e32 v[30:31], v[28:29]
	v_fma_f64 v[32:33], -v[28:29], v[30:31], 1.0
	s_delay_alu instid0(VALU_DEP_1) | instskip(NEXT) | instid1(VALU_DEP_1)
	v_fma_f64 v[30:31], v[30:31], v[32:33], v[30:31]
	v_fma_f64 v[32:33], -v[28:29], v[30:31], 1.0
	s_delay_alu instid0(VALU_DEP_1) | instskip(NEXT) | instid1(VALU_DEP_1)
	v_fma_f64 v[30:31], v[30:31], v[32:33], v[30:31]
	v_mul_f64_e32 v[32:33], v[34:35], v[30:31]
	s_delay_alu instid0(VALU_DEP_1) | instskip(SKIP_1) | instid1(VALU_DEP_1)
	v_fma_f64 v[28:29], -v[28:29], v[32:33], v[34:35]
	s_wait_alu 0xfffd
	v_div_fmas_f64 v[28:29], v[28:29], v[30:31], v[32:33]
	s_delay_alu instid0(VALU_DEP_1) | instskip(NEXT) | instid1(VALU_DEP_1)
	v_div_fixup_f64 v[28:29], v[28:29], v[4:5], v[2:3]
	v_fma_f64 v[2:3], v[2:3], v[28:29], v[4:5]
	s_delay_alu instid0(VALU_DEP_1) | instskip(NEXT) | instid1(VALU_DEP_1)
	v_div_scale_f64 v[4:5], null, v[2:3], v[2:3], 1.0
	v_rcp_f64_e32 v[30:31], v[4:5]
	s_delay_alu instid0(TRANS32_DEP_1) | instskip(NEXT) | instid1(VALU_DEP_1)
	v_fma_f64 v[32:33], -v[4:5], v[30:31], 1.0
	v_fma_f64 v[30:31], v[30:31], v[32:33], v[30:31]
	s_delay_alu instid0(VALU_DEP_1) | instskip(NEXT) | instid1(VALU_DEP_1)
	v_fma_f64 v[32:33], -v[4:5], v[30:31], 1.0
	v_fma_f64 v[30:31], v[30:31], v[32:33], v[30:31]
	v_div_scale_f64 v[32:33], vcc_lo, 1.0, v[2:3], 1.0
	s_delay_alu instid0(VALU_DEP_1) | instskip(NEXT) | instid1(VALU_DEP_1)
	v_mul_f64_e32 v[34:35], v[32:33], v[30:31]
	v_fma_f64 v[4:5], -v[4:5], v[34:35], v[32:33]
	s_wait_alu 0xfffd
	s_delay_alu instid0(VALU_DEP_1) | instskip(NEXT) | instid1(VALU_DEP_1)
	v_div_fmas_f64 v[4:5], v[4:5], v[30:31], v[34:35]
	v_div_fixup_f64 v[4:5], v[4:5], v[2:3], 1.0
	s_delay_alu instid0(VALU_DEP_1)
	v_mul_f64_e32 v[2:3], v[28:29], v[4:5]
	v_xor_b32_e32 v5, 0x80000000, v5
.LBB246_30:                             ;   in Loop: Header=BB246_26 Depth=2
	s_wait_alu 0xfffe
	s_and_not1_saveexec_b32 s48, s48
	s_cbranch_execz .LBB246_32
; %bb.31:                               ;   in Loop: Header=BB246_26 Depth=2
	s_delay_alu instid0(VALU_DEP_1) | instskip(SKIP_1) | instid1(VALU_DEP_2)
	v_div_scale_f64 v[28:29], null, v[2:3], v[2:3], v[4:5]
	v_div_scale_f64 v[34:35], vcc_lo, v[4:5], v[2:3], v[4:5]
	v_rcp_f64_e32 v[30:31], v[28:29]
	s_delay_alu instid0(TRANS32_DEP_1) | instskip(NEXT) | instid1(VALU_DEP_1)
	v_fma_f64 v[32:33], -v[28:29], v[30:31], 1.0
	v_fma_f64 v[30:31], v[30:31], v[32:33], v[30:31]
	s_delay_alu instid0(VALU_DEP_1) | instskip(NEXT) | instid1(VALU_DEP_1)
	v_fma_f64 v[32:33], -v[28:29], v[30:31], 1.0
	v_fma_f64 v[30:31], v[30:31], v[32:33], v[30:31]
	s_delay_alu instid0(VALU_DEP_1) | instskip(NEXT) | instid1(VALU_DEP_1)
	v_mul_f64_e32 v[32:33], v[34:35], v[30:31]
	v_fma_f64 v[28:29], -v[28:29], v[32:33], v[34:35]
	s_wait_alu 0xfffd
	s_delay_alu instid0(VALU_DEP_1) | instskip(NEXT) | instid1(VALU_DEP_1)
	v_div_fmas_f64 v[28:29], v[28:29], v[30:31], v[32:33]
	v_div_fixup_f64 v[28:29], v[28:29], v[2:3], v[4:5]
	s_delay_alu instid0(VALU_DEP_1) | instskip(NEXT) | instid1(VALU_DEP_1)
	v_fma_f64 v[2:3], v[4:5], v[28:29], v[2:3]
	v_div_scale_f64 v[4:5], null, v[2:3], v[2:3], 1.0
	s_delay_alu instid0(VALU_DEP_1) | instskip(NEXT) | instid1(TRANS32_DEP_1)
	v_rcp_f64_e32 v[30:31], v[4:5]
	v_fma_f64 v[32:33], -v[4:5], v[30:31], 1.0
	s_delay_alu instid0(VALU_DEP_1) | instskip(NEXT) | instid1(VALU_DEP_1)
	v_fma_f64 v[30:31], v[30:31], v[32:33], v[30:31]
	v_fma_f64 v[32:33], -v[4:5], v[30:31], 1.0
	s_delay_alu instid0(VALU_DEP_1) | instskip(SKIP_1) | instid1(VALU_DEP_1)
	v_fma_f64 v[30:31], v[30:31], v[32:33], v[30:31]
	v_div_scale_f64 v[32:33], vcc_lo, 1.0, v[2:3], 1.0
	v_mul_f64_e32 v[34:35], v[32:33], v[30:31]
	s_delay_alu instid0(VALU_DEP_1) | instskip(SKIP_1) | instid1(VALU_DEP_1)
	v_fma_f64 v[4:5], -v[4:5], v[34:35], v[32:33]
	s_wait_alu 0xfffd
	v_div_fmas_f64 v[4:5], v[4:5], v[30:31], v[34:35]
	s_delay_alu instid0(VALU_DEP_1) | instskip(NEXT) | instid1(VALU_DEP_1)
	v_div_fixup_f64 v[2:3], v[4:5], v[2:3], 1.0
	v_mul_f64_e64 v[4:5], v[28:29], -v[2:3]
.LBB246_32:                             ;   in Loop: Header=BB246_26 Depth=2
	s_wait_alu 0xfffe
	s_or_b32 exec_lo, exec_lo, s48
.LBB246_33:                             ;   in Loop: Header=BB246_26 Depth=2
	s_wait_loadcnt_dscnt 0x0
	s_delay_alu instid0(VALU_DEP_1) | instskip(SKIP_1) | instid1(VALU_DEP_2)
	v_mul_f64_e32 v[28:29], v[15:16], v[4:5]
	v_mul_f64_e32 v[4:5], v[0:1], v[4:5]
	v_fma_f64 v[28:29], v[0:1], v[2:3], -v[28:29]
	s_delay_alu instid0(VALU_DEP_2) | instskip(NEXT) | instid1(VALU_DEP_2)
	v_fma_f64 v[15:16], v[15:16], v[2:3], v[4:5]
	v_dual_mov_b32 v0, v28 :: v_dual_mov_b32 v1, v29
	ds_store_2addr_b64 v25, v[28:29], v[15:16] offset1:1
.LBB246_34:                             ;   in Loop: Header=BB246_26 Depth=2
	s_or_b32 exec_lo, exec_lo, s47
	s_delay_alu instid0(SALU_CYCLE_1)
	s_mov_b32 s47, exec_lo
	s_wait_loadcnt_dscnt 0x0
	s_barrier_signal -1
	s_barrier_wait -1
	global_inv scope:SCOPE_SE
	v_cmpx_gt_i64_e64 s[40:41], v[7:8]
	s_cbranch_execz .LBB246_25
; %bb.35:                               ;   in Loop: Header=BB246_26 Depth=2
	flat_load_b128 v[2:5], v[19:20] offset:-8
	ds_load_2addr_b64 v[28:31], v25 offset1:1
	s_wait_loadcnt_dscnt 0x1
	v_xor_b32_e32 v32, 0x80000000, v5
	s_delay_alu instid0(VALU_DEP_1) | instskip(SKIP_1) | instid1(VALU_DEP_1)
	v_cndmask_b32_e64 v5, v5, v32, s2
	s_wait_dscnt 0x0
	v_mul_f64_e32 v[32:33], v[4:5], v[30:31]
	v_mul_f64_e32 v[30:31], v[2:3], v[30:31]
	s_delay_alu instid0(VALU_DEP_2) | instskip(NEXT) | instid1(VALU_DEP_2)
	v_fma_f64 v[2:3], v[2:3], v[28:29], -v[32:33]
	v_fma_f64 v[4:5], v[4:5], v[28:29], v[30:31]
	s_delay_alu instid0(VALU_DEP_2) | instskip(NEXT) | instid1(VALU_DEP_2)
	v_add_f64_e64 v[0:1], v[0:1], -v[2:3]
	v_add_f64_e64 v[15:16], v[15:16], -v[4:5]
	s_branch .LBB246_25
.LBB246_36:                             ;   in Loop: Header=BB246_6 Depth=1
	s_and_saveexec_b32 s38, s0
	s_cbranch_execz .LBB246_4
; %bb.37:                               ;   in Loop: Header=BB246_6 Depth=1
	s_add_nc_u64 s[34:35], s[34:35], s[36:37]
	s_wait_alu 0xfffe
	v_mad_co_u64_u32 v[2:3], null, s34, v7, 0
	s_delay_alu instid0(VALU_DEP_1) | instskip(NEXT) | instid1(VALU_DEP_1)
	v_mad_co_u64_u32 v[3:4], null, s35, v7, v[3:4]
	v_lshlrev_b64_e32 v[2:3], 4, v[2:3]
	s_delay_alu instid0(VALU_DEP_1) | instskip(SKIP_1) | instid1(VALU_DEP_2)
	v_add_co_u32 v2, vcc_lo, v17, v2
	s_wait_alu 0xfffd
	v_add_co_ci_u32_e64 v3, null, v18, v3, vcc_lo
	s_and_not1_b32 vcc_lo, exec_lo, s21
	flat_load_b128 v[2:5], v[2:3]
	s_wait_alu 0xfffe
	s_cbranch_vccnz .LBB246_3
; %bb.38:                               ;   in Loop: Header=BB246_6 Depth=1
	s_wait_loadcnt_dscnt 0x0
	v_cmp_ngt_f64_e64 s34, |v[2:3]|, |v[4:5]|
	s_and_saveexec_b32 s35, s34
	s_wait_alu 0xfffe
	s_xor_b32 s34, exec_lo, s35
	s_cbranch_execz .LBB246_40
; %bb.39:                               ;   in Loop: Header=BB246_6 Depth=1
	v_div_scale_f64 v[17:18], null, v[4:5], v[4:5], v[2:3]
	v_div_scale_f64 v[28:29], vcc_lo, v[2:3], v[4:5], v[2:3]
	s_delay_alu instid0(VALU_DEP_2) | instskip(NEXT) | instid1(TRANS32_DEP_1)
	v_rcp_f64_e32 v[19:20], v[17:18]
	v_fma_f64 v[21:22], -v[17:18], v[19:20], 1.0
	s_delay_alu instid0(VALU_DEP_1) | instskip(NEXT) | instid1(VALU_DEP_1)
	v_fma_f64 v[19:20], v[19:20], v[21:22], v[19:20]
	v_fma_f64 v[21:22], -v[17:18], v[19:20], 1.0
	s_delay_alu instid0(VALU_DEP_1) | instskip(NEXT) | instid1(VALU_DEP_1)
	v_fma_f64 v[19:20], v[19:20], v[21:22], v[19:20]
	v_mul_f64_e32 v[21:22], v[28:29], v[19:20]
	s_delay_alu instid0(VALU_DEP_1) | instskip(SKIP_1) | instid1(VALU_DEP_1)
	v_fma_f64 v[17:18], -v[17:18], v[21:22], v[28:29]
	s_wait_alu 0xfffd
	v_div_fmas_f64 v[17:18], v[17:18], v[19:20], v[21:22]
	s_delay_alu instid0(VALU_DEP_1) | instskip(NEXT) | instid1(VALU_DEP_1)
	v_div_fixup_f64 v[17:18], v[17:18], v[4:5], v[2:3]
	v_fma_f64 v[2:3], v[2:3], v[17:18], v[4:5]
	s_delay_alu instid0(VALU_DEP_1) | instskip(NEXT) | instid1(VALU_DEP_1)
	v_div_scale_f64 v[4:5], null, v[2:3], v[2:3], 1.0
	v_rcp_f64_e32 v[19:20], v[4:5]
	s_delay_alu instid0(TRANS32_DEP_1) | instskip(NEXT) | instid1(VALU_DEP_1)
	v_fma_f64 v[21:22], -v[4:5], v[19:20], 1.0
	v_fma_f64 v[19:20], v[19:20], v[21:22], v[19:20]
	s_delay_alu instid0(VALU_DEP_1) | instskip(NEXT) | instid1(VALU_DEP_1)
	v_fma_f64 v[21:22], -v[4:5], v[19:20], 1.0
	v_fma_f64 v[19:20], v[19:20], v[21:22], v[19:20]
	v_div_scale_f64 v[21:22], vcc_lo, 1.0, v[2:3], 1.0
	s_delay_alu instid0(VALU_DEP_1) | instskip(NEXT) | instid1(VALU_DEP_1)
	v_mul_f64_e32 v[28:29], v[21:22], v[19:20]
	v_fma_f64 v[4:5], -v[4:5], v[28:29], v[21:22]
	s_wait_alu 0xfffd
	s_delay_alu instid0(VALU_DEP_1) | instskip(NEXT) | instid1(VALU_DEP_1)
	v_div_fmas_f64 v[4:5], v[4:5], v[19:20], v[28:29]
	v_div_fixup_f64 v[4:5], v[4:5], v[2:3], 1.0
	s_delay_alu instid0(VALU_DEP_1)
	v_mul_f64_e32 v[2:3], v[17:18], v[4:5]
	v_xor_b32_e32 v5, 0x80000000, v5
.LBB246_40:                             ;   in Loop: Header=BB246_6 Depth=1
	s_wait_alu 0xfffe
	s_and_not1_saveexec_b32 s34, s34
	s_cbranch_execz .LBB246_2
; %bb.41:                               ;   in Loop: Header=BB246_6 Depth=1
	s_delay_alu instid0(VALU_DEP_1) | instskip(SKIP_1) | instid1(VALU_DEP_2)
	v_div_scale_f64 v[17:18], null, v[2:3], v[2:3], v[4:5]
	v_div_scale_f64 v[28:29], vcc_lo, v[4:5], v[2:3], v[4:5]
	v_rcp_f64_e32 v[19:20], v[17:18]
	s_delay_alu instid0(TRANS32_DEP_1) | instskip(NEXT) | instid1(VALU_DEP_1)
	v_fma_f64 v[21:22], -v[17:18], v[19:20], 1.0
	v_fma_f64 v[19:20], v[19:20], v[21:22], v[19:20]
	s_delay_alu instid0(VALU_DEP_1) | instskip(NEXT) | instid1(VALU_DEP_1)
	v_fma_f64 v[21:22], -v[17:18], v[19:20], 1.0
	v_fma_f64 v[19:20], v[19:20], v[21:22], v[19:20]
	s_delay_alu instid0(VALU_DEP_1) | instskip(NEXT) | instid1(VALU_DEP_1)
	v_mul_f64_e32 v[21:22], v[28:29], v[19:20]
	v_fma_f64 v[17:18], -v[17:18], v[21:22], v[28:29]
	s_wait_alu 0xfffd
	s_delay_alu instid0(VALU_DEP_1) | instskip(NEXT) | instid1(VALU_DEP_1)
	v_div_fmas_f64 v[17:18], v[17:18], v[19:20], v[21:22]
	v_div_fixup_f64 v[17:18], v[17:18], v[2:3], v[4:5]
	s_delay_alu instid0(VALU_DEP_1) | instskip(NEXT) | instid1(VALU_DEP_1)
	v_fma_f64 v[2:3], v[4:5], v[17:18], v[2:3]
	v_div_scale_f64 v[4:5], null, v[2:3], v[2:3], 1.0
	s_delay_alu instid0(VALU_DEP_1) | instskip(NEXT) | instid1(TRANS32_DEP_1)
	v_rcp_f64_e32 v[19:20], v[4:5]
	v_fma_f64 v[21:22], -v[4:5], v[19:20], 1.0
	s_delay_alu instid0(VALU_DEP_1) | instskip(NEXT) | instid1(VALU_DEP_1)
	v_fma_f64 v[19:20], v[19:20], v[21:22], v[19:20]
	v_fma_f64 v[21:22], -v[4:5], v[19:20], 1.0
	s_delay_alu instid0(VALU_DEP_1) | instskip(SKIP_1) | instid1(VALU_DEP_1)
	v_fma_f64 v[19:20], v[19:20], v[21:22], v[19:20]
	v_div_scale_f64 v[21:22], vcc_lo, 1.0, v[2:3], 1.0
	v_mul_f64_e32 v[28:29], v[21:22], v[19:20]
	s_delay_alu instid0(VALU_DEP_1) | instskip(SKIP_1) | instid1(VALU_DEP_1)
	v_fma_f64 v[4:5], -v[4:5], v[28:29], v[21:22]
	s_wait_alu 0xfffd
	v_div_fmas_f64 v[4:5], v[4:5], v[19:20], v[28:29]
	s_delay_alu instid0(VALU_DEP_1) | instskip(NEXT) | instid1(VALU_DEP_1)
	v_div_fixup_f64 v[2:3], v[4:5], v[2:3], 1.0
	v_mul_f64_e64 v[4:5], v[17:18], -v[2:3]
	s_branch .LBB246_2
.LBB246_42:
	s_endpgm
	.section	.rodata,"a",@progbits
	.p2align	6, 0x0
	.amdhsa_kernel _ZL40rocblas_trsm_block_backward_substitutionI19rocblas_complex_numIdES1_PKPKS1_PKPS1_Lb0ELb1ELb0EEv18rocblas_operation_llT0_T1_lllT2_lllib
		.amdhsa_group_segment_fixed_size 0
		.amdhsa_private_segment_fixed_size 0
		.amdhsa_kernarg_size 368
		.amdhsa_user_sgpr_count 2
		.amdhsa_user_sgpr_dispatch_ptr 0
		.amdhsa_user_sgpr_queue_ptr 0
		.amdhsa_user_sgpr_kernarg_segment_ptr 1
		.amdhsa_user_sgpr_dispatch_id 0
		.amdhsa_user_sgpr_private_segment_size 0
		.amdhsa_wavefront_size32 1
		.amdhsa_uses_dynamic_stack 0
		.amdhsa_enable_private_segment 0
		.amdhsa_system_sgpr_workgroup_id_x 1
		.amdhsa_system_sgpr_workgroup_id_y 1
		.amdhsa_system_sgpr_workgroup_id_z 1
		.amdhsa_system_sgpr_workgroup_info 0
		.amdhsa_system_vgpr_workitem_id 1
		.amdhsa_next_free_vgpr 36
		.amdhsa_next_free_sgpr 50
		.amdhsa_reserve_vcc 1
		.amdhsa_float_round_mode_32 0
		.amdhsa_float_round_mode_16_64 0
		.amdhsa_float_denorm_mode_32 3
		.amdhsa_float_denorm_mode_16_64 3
		.amdhsa_fp16_overflow 0
		.amdhsa_workgroup_processor_mode 1
		.amdhsa_memory_ordered 1
		.amdhsa_forward_progress 1
		.amdhsa_inst_pref_size 25
		.amdhsa_round_robin_scheduling 0
		.amdhsa_exception_fp_ieee_invalid_op 0
		.amdhsa_exception_fp_denorm_src 0
		.amdhsa_exception_fp_ieee_div_zero 0
		.amdhsa_exception_fp_ieee_overflow 0
		.amdhsa_exception_fp_ieee_underflow 0
		.amdhsa_exception_fp_ieee_inexact 0
		.amdhsa_exception_int_div_zero 0
	.end_amdhsa_kernel
	.section	.text._ZL40rocblas_trsm_block_backward_substitutionI19rocblas_complex_numIdES1_PKPKS1_PKPS1_Lb0ELb1ELb0EEv18rocblas_operation_llT0_T1_lllT2_lllib,"axG",@progbits,_ZL40rocblas_trsm_block_backward_substitutionI19rocblas_complex_numIdES1_PKPKS1_PKPS1_Lb0ELb1ELb0EEv18rocblas_operation_llT0_T1_lllT2_lllib,comdat
.Lfunc_end246:
	.size	_ZL40rocblas_trsm_block_backward_substitutionI19rocblas_complex_numIdES1_PKPKS1_PKPS1_Lb0ELb1ELb0EEv18rocblas_operation_llT0_T1_lllT2_lllib, .Lfunc_end246-_ZL40rocblas_trsm_block_backward_substitutionI19rocblas_complex_numIdES1_PKPKS1_PKPS1_Lb0ELb1ELb0EEv18rocblas_operation_llT0_T1_lllT2_lllib
                                        ; -- End function
	.set _ZL40rocblas_trsm_block_backward_substitutionI19rocblas_complex_numIdES1_PKPKS1_PKPS1_Lb0ELb1ELb0EEv18rocblas_operation_llT0_T1_lllT2_lllib.num_vgpr, 36
	.set _ZL40rocblas_trsm_block_backward_substitutionI19rocblas_complex_numIdES1_PKPKS1_PKPS1_Lb0ELb1ELb0EEv18rocblas_operation_llT0_T1_lllT2_lllib.num_agpr, 0
	.set _ZL40rocblas_trsm_block_backward_substitutionI19rocblas_complex_numIdES1_PKPKS1_PKPS1_Lb0ELb1ELb0EEv18rocblas_operation_llT0_T1_lllT2_lllib.numbered_sgpr, 50
	.set _ZL40rocblas_trsm_block_backward_substitutionI19rocblas_complex_numIdES1_PKPKS1_PKPS1_Lb0ELb1ELb0EEv18rocblas_operation_llT0_T1_lllT2_lllib.num_named_barrier, 0
	.set _ZL40rocblas_trsm_block_backward_substitutionI19rocblas_complex_numIdES1_PKPKS1_PKPS1_Lb0ELb1ELb0EEv18rocblas_operation_llT0_T1_lllT2_lllib.private_seg_size, 0
	.set _ZL40rocblas_trsm_block_backward_substitutionI19rocblas_complex_numIdES1_PKPKS1_PKPS1_Lb0ELb1ELb0EEv18rocblas_operation_llT0_T1_lllT2_lllib.uses_vcc, 1
	.set _ZL40rocblas_trsm_block_backward_substitutionI19rocblas_complex_numIdES1_PKPKS1_PKPS1_Lb0ELb1ELb0EEv18rocblas_operation_llT0_T1_lllT2_lllib.uses_flat_scratch, 0
	.set _ZL40rocblas_trsm_block_backward_substitutionI19rocblas_complex_numIdES1_PKPKS1_PKPS1_Lb0ELb1ELb0EEv18rocblas_operation_llT0_T1_lllT2_lllib.has_dyn_sized_stack, 0
	.set _ZL40rocblas_trsm_block_backward_substitutionI19rocblas_complex_numIdES1_PKPKS1_PKPS1_Lb0ELb1ELb0EEv18rocblas_operation_llT0_T1_lllT2_lllib.has_recursion, 0
	.set _ZL40rocblas_trsm_block_backward_substitutionI19rocblas_complex_numIdES1_PKPKS1_PKPS1_Lb0ELb1ELb0EEv18rocblas_operation_llT0_T1_lllT2_lllib.has_indirect_call, 0
	.section	.AMDGPU.csdata,"",@progbits
; Kernel info:
; codeLenInByte = 3200
; TotalNumSgprs: 52
; NumVgprs: 36
; ScratchSize: 0
; MemoryBound: 1
; FloatMode: 240
; IeeeMode: 1
; LDSByteSize: 0 bytes/workgroup (compile time only)
; SGPRBlocks: 0
; VGPRBlocks: 4
; NumSGPRsForWavesPerEU: 52
; NumVGPRsForWavesPerEU: 36
; Occupancy: 16
; WaveLimiterHint : 1
; COMPUTE_PGM_RSRC2:SCRATCH_EN: 0
; COMPUTE_PGM_RSRC2:USER_SGPR: 2
; COMPUTE_PGM_RSRC2:TRAP_HANDLER: 0
; COMPUTE_PGM_RSRC2:TGID_X_EN: 1
; COMPUTE_PGM_RSRC2:TGID_Y_EN: 1
; COMPUTE_PGM_RSRC2:TGID_Z_EN: 1
; COMPUTE_PGM_RSRC2:TIDIG_COMP_CNT: 1
	.section	.text._ZL39rocblas_trsm_block_forward_substitutionI19rocblas_complex_numIdES1_PKPKS1_PKPS1_Lb0ELb1ELb1EEv18rocblas_operation_llT0_T1_lllT2_lllib,"axG",@progbits,_ZL39rocblas_trsm_block_forward_substitutionI19rocblas_complex_numIdES1_PKPKS1_PKPS1_Lb0ELb1ELb1EEv18rocblas_operation_llT0_T1_lllT2_lllib,comdat
	.globl	_ZL39rocblas_trsm_block_forward_substitutionI19rocblas_complex_numIdES1_PKPKS1_PKPS1_Lb0ELb1ELb1EEv18rocblas_operation_llT0_T1_lllT2_lllib ; -- Begin function _ZL39rocblas_trsm_block_forward_substitutionI19rocblas_complex_numIdES1_PKPKS1_PKPS1_Lb0ELb1ELb1EEv18rocblas_operation_llT0_T1_lllT2_lllib
	.p2align	8
	.type	_ZL39rocblas_trsm_block_forward_substitutionI19rocblas_complex_numIdES1_PKPKS1_PKPS1_Lb0ELb1ELb1EEv18rocblas_operation_llT0_T1_lllT2_lllib,@function
_ZL39rocblas_trsm_block_forward_substitutionI19rocblas_complex_numIdES1_PKPKS1_PKPS1_Lb0ELb1ELb1EEv18rocblas_operation_llT0_T1_lllT2_lllib: ; @_ZL39rocblas_trsm_block_forward_substitutionI19rocblas_complex_numIdES1_PKPKS1_PKPS1_Lb0ELb1ELb1EEv18rocblas_operation_llT0_T1_lllT2_lllib
; %bb.0:
	s_load_b64 s[2:3], s[0:1], 0x68
	s_lshr_b32 s20, ttmp7, 16
	s_wait_kmcnt 0x0
	s_cmp_ge_u32 s20, s2
	s_cbranch_scc1 .LBB247_19
; %bb.1:
	s_mov_b64 s[26:27], src_shared_base
	s_clause 0x6
	s_load_b64 s[28:29], s[0:1], 0x58
	s_load_b32 s26, s[0:1], 0x0
	s_load_b256 s[4:11], s[0:1], 0x8
	s_load_u16 s33, s[0:1], 0x7e
	s_load_b128 s[12:15], s[0:1], 0x28
	s_load_b64 s[22:23], s[0:1], 0x38
	s_load_b128 s[16:19], s[0:1], 0x48
	s_bitcmp1_b32 s3, 0
	v_dual_mov_b32 v5, 0 :: v_dual_and_b32 v4, 0x3ff, v0
	v_bfe_u32 v6, v0, 10, 10
	s_cselect_b32 s3, -1, 0
	s_add_nc_u64 s[24:25], s[0:1], 0x70
	s_delay_alu instid0(VALU_DEP_2) | instskip(SKIP_3) | instid1(VALU_DEP_3)
	v_lshlrev_b32_e32 v9, 4, v4
	s_mov_b32 s21, 0
	v_lshl_add_u32 v15, v6, 4, 0
	v_lshlrev_b32_e32 v18, 4, v4
	v_or_b32_e32 v16, 8, v9
	s_wait_kmcnt 0x0
	v_mad_co_u64_u32 v[0:1], null, s28, v4, 0
	s_cmp_eq_u32 s26, 0x71
	v_cmp_gt_i64_e64 s34, s[4:5], 0
	s_cselect_b32 s0, -1, 0
	s_and_b32 s1, ttmp7, 0xffff
	s_lshl_b32 s26, s33, 4
	v_mad_co_u64_u32 v[2:3], null, s1, s33, v[6:7]
	v_mov_b32_e32 v3, v5
	v_cmp_gt_i64_e64 s1, s[4:5], v[4:5]
	s_add_co_i32 s26, s26, 0
	v_cmp_gt_i64_e64 s36, s[4:5], 1
	v_add_nc_u32_e32 v17, s26, v9
	s_lshl_b64 s[14:15], s[14:15], 4
	v_mad_co_u64_u32 v[7:8], null, s29, v4, v[1:2]
	v_cmp_gt_i64_e32 vcc_lo, s[6:7], v[2:3]
	s_add_nc_u64 s[6:7], s[4:5], -1
	s_lshl_b64 s[18:19], s[18:19], 4
	s_and_b32 s35, vcc_lo, s1
	s_delay_alu instid0(VALU_DEP_2) | instskip(SKIP_1) | instid1(VALU_DEP_2)
	v_mov_b32_e32 v1, v7
	v_lshlrev_b64_e32 v[7:8], 4, v[2:3]
	v_lshlrev_b64_e32 v[9:10], 4, v[0:1]
	s_branch .LBB247_4
.LBB247_2:                              ;   in Loop: Header=BB247_4 Depth=1
	flat_store_b128 v[11:12], v[0:3]
.LBB247_3:                              ;   in Loop: Header=BB247_4 Depth=1
	s_or_b32 exec_lo, exec_lo, s37
	s_add_co_i32 s20, s20, 0x10000
	s_delay_alu instid0(SALU_CYCLE_1)
	s_cmp_lt_u32 s20, s2
	s_cbranch_scc0 .LBB247_19
.LBB247_4:                              ; =>This Loop Header: Depth=1
                                        ;     Child Loop BB247_9 Depth 2
                                        ;     Child Loop BB247_15 Depth 2
	s_lshl_b64 s[28:29], s[20:21], 3
	s_wait_alu 0xfffe
	s_add_nc_u64 s[30:31], s[12:13], s[28:29]
	s_add_nc_u64 s[28:29], s[16:17], s[28:29]
	global_load_b64 v[2:3], v5, s[30:31]
	s_wait_loadcnt 0x1
	global_load_b64 v[0:1], v5, s[28:29]
	s_wait_loadcnt 0x1
	v_add_co_u32 v13, vcc_lo, v2, s14
	s_wait_alu 0xfffd
	v_add_co_ci_u32_e64 v14, null, s15, v3, vcc_lo
	s_and_not1_b32 vcc_lo, exec_lo, s3
	s_wait_alu 0xfffe
	s_cbranch_vccz .LBB247_6
; %bb.5:                                ;   in Loop: Header=BB247_4 Depth=1
	s_and_saveexec_b32 s37, s35
	s_cbranch_execz .LBB247_3
	s_branch .LBB247_12
.LBB247_6:                              ;   in Loop: Header=BB247_4 Depth=1
	s_and_not1_b32 vcc_lo, exec_lo, s34
	s_wait_alu 0xfffe
	s_cbranch_vccnz .LBB247_11
; %bb.7:                                ;   in Loop: Header=BB247_4 Depth=1
	v_add_co_u32 v2, vcc_lo, v13, v18
	s_wait_alu 0xfffd
	v_add_co_ci_u32_e64 v3, null, 0, v14, vcc_lo
	s_mov_b32 s28, 0
	s_branch .LBB247_9
.LBB247_8:                              ;   in Loop: Header=BB247_9 Depth=2
	s_wait_alu 0xfffe
	s_or_b32 exec_lo, exec_lo, s29
	s_add_co_i32 s28, s28, s33
	s_wait_alu 0xfffe
	s_ashr_i32 s29, s28, 31
	s_wait_alu 0xfffe
	v_cmp_le_i64_e64 s29, s[4:5], s[28:29]
	s_and_b32 vcc_lo, exec_lo, s29
	s_wait_alu 0xfffe
	s_cbranch_vccnz .LBB247_11
.LBB247_9:                              ;   Parent Loop BB247_4 Depth=1
                                        ; =>  This Inner Loop Header: Depth=2
	s_wait_alu 0xfffe
	v_add_nc_u32_e32 v11, s28, v6
	s_delay_alu instid0(VALU_DEP_1)
	v_cmp_gt_i32_e32 vcc_lo, v4, v11
	s_and_b32 s30, s1, vcc_lo
	s_wait_alu 0xfffe
	s_and_saveexec_b32 s29, s30
	s_cbranch_execz .LBB247_8
; %bb.10:                               ;   in Loop: Header=BB247_9 Depth=2
	v_ashrrev_i32_e32 v14, 31, v11
	v_mul_lo_u32 v19, s23, v11
	v_mad_co_u64_u32 v[12:13], null, s22, v11, 0
	s_load_b32 s30, s[24:25], 0xc
	v_mul_lo_u32 v14, s22, v14
	s_delay_alu instid0(VALU_DEP_1) | instskip(NEXT) | instid1(VALU_DEP_1)
	v_add3_u32 v13, v13, v14, v19
	v_lshlrev_b64_e32 v[12:13], 4, v[12:13]
	s_wait_kmcnt 0x0
	s_and_b32 s30, s30, 0xffff
	s_delay_alu instid0(VALU_DEP_1) | instskip(SKIP_1) | instid1(VALU_DEP_2)
	v_add_co_u32 v12, vcc_lo, v2, v12
	s_wait_alu 0xfffd
	v_add_co_ci_u32_e64 v13, null, v3, v13, vcc_lo
	s_wait_alu 0xfffe
	v_mul_lo_u32 v11, v11, s30
	flat_load_b128 v[19:22], v[12:13]
	v_lshl_add_u32 v11, v11, 4, v17
	s_wait_loadcnt_dscnt 0x0
	ds_store_2addr_b64 v11, v[19:20], v[21:22] offset1:1
	s_branch .LBB247_8
.LBB247_11:                             ;   in Loop: Header=BB247_4 Depth=1
	s_load_b32 s22, s[24:25], 0xc
	v_dual_mov_b32 v13, s26 :: v_dual_mov_b32 v14, s27
	s_mov_b32 s23, s21
	s_wait_kmcnt 0x0
	s_and_b32 s22, s22, 0xffff
	s_and_saveexec_b32 s37, s35
	s_cbranch_execz .LBB247_3
.LBB247_12:                             ;   in Loop: Header=BB247_4 Depth=1
	s_wait_loadcnt 0x0
	v_add_co_u32 v0, vcc_lo, v0, s18
	s_wait_alu 0xfffd
	v_add_co_ci_u32_e64 v1, null, s19, v1, vcc_lo
	s_delay_alu instid0(VALU_DEP_2) | instskip(SKIP_1) | instid1(VALU_DEP_2)
	v_add_co_u32 v0, vcc_lo, v0, v9
	s_wait_alu 0xfffd
	v_add_co_ci_u32_e64 v1, null, v1, v10, vcc_lo
	s_delay_alu instid0(VALU_DEP_2) | instskip(SKIP_1) | instid1(VALU_DEP_2)
	v_add_co_u32 v11, vcc_lo, v0, v7
	s_wait_alu 0xfffd
	v_add_co_ci_u32_e64 v12, null, v1, v8, vcc_lo
	s_and_not1_b32 vcc_lo, exec_lo, s36
	flat_load_b128 v[19:22], v[11:12]
	s_wait_loadcnt_dscnt 0x0
	v_mul_f64_e32 v[0:1], s[10:11], v[21:22]
	v_mul_f64_e32 v[2:3], s[8:9], v[21:22]
	s_delay_alu instid0(VALU_DEP_2) | instskip(NEXT) | instid1(VALU_DEP_2)
	v_fma_f64 v[0:1], s[8:9], v[19:20], -v[0:1]
	v_fma_f64 v[2:3], s[10:11], v[19:20], v[2:3]
	s_wait_alu 0xfffe
	s_cbranch_vccnz .LBB247_2
; %bb.13:                               ;   in Loop: Header=BB247_4 Depth=1
	v_add_co_u32 v13, vcc_lo, v13, v16
	s_wait_alu 0xfffd
	v_add_co_ci_u32_e64 v14, null, 0, v14, vcc_lo
	s_lshl_b64 s[28:29], s[22:23], 4
	s_mov_b64 s[30:31], 0
	s_branch .LBB247_15
.LBB247_14:                             ;   in Loop: Header=BB247_15 Depth=2
	s_or_b32 exec_lo, exec_lo, s38
	v_add_co_u32 v13, vcc_lo, v13, s28
	s_wait_alu 0xfffd
	v_add_co_ci_u32_e64 v14, null, s29, v14, vcc_lo
	s_add_nc_u64 s[30:31], s[30:31], 1
	s_wait_alu 0xfffe
	s_cmp_eq_u64 s[6:7], s[30:31]
	s_cbranch_scc1 .LBB247_2
.LBB247_15:                             ;   Parent Loop BB247_4 Depth=1
                                        ; =>  This Inner Loop Header: Depth=2
	s_mov_b32 s38, exec_lo
	s_barrier_signal -1
	s_barrier_wait -1
	global_inv scope:SCOPE_SE
	s_wait_alu 0xfffe
	v_cmpx_eq_u64_e64 s[30:31], v[4:5]
; %bb.16:                               ;   in Loop: Header=BB247_15 Depth=2
	ds_store_2addr_b64 v15, v[0:1], v[2:3] offset1:1
; %bb.17:                               ;   in Loop: Header=BB247_15 Depth=2
	s_or_b32 exec_lo, exec_lo, s38
	s_delay_alu instid0(SALU_CYCLE_1)
	s_mov_b32 s38, exec_lo
	s_wait_loadcnt_dscnt 0x0
	s_barrier_signal -1
	s_barrier_wait -1
	global_inv scope:SCOPE_SE
	v_cmpx_lt_u64_e64 s[30:31], v[4:5]
	s_cbranch_execz .LBB247_14
; %bb.18:                               ;   in Loop: Header=BB247_15 Depth=2
	flat_load_b128 v[19:22], v[13:14] offset:-8
	ds_load_2addr_b64 v[23:26], v15 offset1:1
	s_wait_loadcnt_dscnt 0x1
	v_xor_b32_e32 v27, 0x80000000, v22
	s_delay_alu instid0(VALU_DEP_1) | instskip(SKIP_1) | instid1(VALU_DEP_1)
	v_cndmask_b32_e64 v22, v22, v27, s0
	s_wait_dscnt 0x0
	v_mul_f64_e32 v[27:28], v[21:22], v[25:26]
	v_mul_f64_e32 v[25:26], v[19:20], v[25:26]
	s_delay_alu instid0(VALU_DEP_2) | instskip(NEXT) | instid1(VALU_DEP_2)
	v_fma_f64 v[19:20], v[19:20], v[23:24], -v[27:28]
	v_fma_f64 v[21:22], v[21:22], v[23:24], v[25:26]
	s_delay_alu instid0(VALU_DEP_2) | instskip(NEXT) | instid1(VALU_DEP_2)
	v_add_f64_e64 v[0:1], v[0:1], -v[19:20]
	v_add_f64_e64 v[2:3], v[2:3], -v[21:22]
	s_branch .LBB247_14
.LBB247_19:
	s_endpgm
	.section	.rodata,"a",@progbits
	.p2align	6, 0x0
	.amdhsa_kernel _ZL39rocblas_trsm_block_forward_substitutionI19rocblas_complex_numIdES1_PKPKS1_PKPS1_Lb0ELb1ELb1EEv18rocblas_operation_llT0_T1_lllT2_lllib
		.amdhsa_group_segment_fixed_size 0
		.amdhsa_private_segment_fixed_size 0
		.amdhsa_kernarg_size 368
		.amdhsa_user_sgpr_count 2
		.amdhsa_user_sgpr_dispatch_ptr 0
		.amdhsa_user_sgpr_queue_ptr 0
		.amdhsa_user_sgpr_kernarg_segment_ptr 1
		.amdhsa_user_sgpr_dispatch_id 0
		.amdhsa_user_sgpr_private_segment_size 0
		.amdhsa_wavefront_size32 1
		.amdhsa_uses_dynamic_stack 0
		.amdhsa_enable_private_segment 0
		.amdhsa_system_sgpr_workgroup_id_x 1
		.amdhsa_system_sgpr_workgroup_id_y 1
		.amdhsa_system_sgpr_workgroup_id_z 1
		.amdhsa_system_sgpr_workgroup_info 0
		.amdhsa_system_vgpr_workitem_id 1
		.amdhsa_next_free_vgpr 29
		.amdhsa_next_free_sgpr 39
		.amdhsa_reserve_vcc 1
		.amdhsa_float_round_mode_32 0
		.amdhsa_float_round_mode_16_64 0
		.amdhsa_float_denorm_mode_32 3
		.amdhsa_float_denorm_mode_16_64 3
		.amdhsa_fp16_overflow 0
		.amdhsa_workgroup_processor_mode 1
		.amdhsa_memory_ordered 1
		.amdhsa_forward_progress 1
		.amdhsa_inst_pref_size 9
		.amdhsa_round_robin_scheduling 0
		.amdhsa_exception_fp_ieee_invalid_op 0
		.amdhsa_exception_fp_denorm_src 0
		.amdhsa_exception_fp_ieee_div_zero 0
		.amdhsa_exception_fp_ieee_overflow 0
		.amdhsa_exception_fp_ieee_underflow 0
		.amdhsa_exception_fp_ieee_inexact 0
		.amdhsa_exception_int_div_zero 0
	.end_amdhsa_kernel
	.section	.text._ZL39rocblas_trsm_block_forward_substitutionI19rocblas_complex_numIdES1_PKPKS1_PKPS1_Lb0ELb1ELb1EEv18rocblas_operation_llT0_T1_lllT2_lllib,"axG",@progbits,_ZL39rocblas_trsm_block_forward_substitutionI19rocblas_complex_numIdES1_PKPKS1_PKPS1_Lb0ELb1ELb1EEv18rocblas_operation_llT0_T1_lllT2_lllib,comdat
.Lfunc_end247:
	.size	_ZL39rocblas_trsm_block_forward_substitutionI19rocblas_complex_numIdES1_PKPKS1_PKPS1_Lb0ELb1ELb1EEv18rocblas_operation_llT0_T1_lllT2_lllib, .Lfunc_end247-_ZL39rocblas_trsm_block_forward_substitutionI19rocblas_complex_numIdES1_PKPKS1_PKPS1_Lb0ELb1ELb1EEv18rocblas_operation_llT0_T1_lllT2_lllib
                                        ; -- End function
	.set _ZL39rocblas_trsm_block_forward_substitutionI19rocblas_complex_numIdES1_PKPKS1_PKPS1_Lb0ELb1ELb1EEv18rocblas_operation_llT0_T1_lllT2_lllib.num_vgpr, 29
	.set _ZL39rocblas_trsm_block_forward_substitutionI19rocblas_complex_numIdES1_PKPKS1_PKPS1_Lb0ELb1ELb1EEv18rocblas_operation_llT0_T1_lllT2_lllib.num_agpr, 0
	.set _ZL39rocblas_trsm_block_forward_substitutionI19rocblas_complex_numIdES1_PKPKS1_PKPS1_Lb0ELb1ELb1EEv18rocblas_operation_llT0_T1_lllT2_lllib.numbered_sgpr, 39
	.set _ZL39rocblas_trsm_block_forward_substitutionI19rocblas_complex_numIdES1_PKPKS1_PKPS1_Lb0ELb1ELb1EEv18rocblas_operation_llT0_T1_lllT2_lllib.num_named_barrier, 0
	.set _ZL39rocblas_trsm_block_forward_substitutionI19rocblas_complex_numIdES1_PKPKS1_PKPS1_Lb0ELb1ELb1EEv18rocblas_operation_llT0_T1_lllT2_lllib.private_seg_size, 0
	.set _ZL39rocblas_trsm_block_forward_substitutionI19rocblas_complex_numIdES1_PKPKS1_PKPS1_Lb0ELb1ELb1EEv18rocblas_operation_llT0_T1_lllT2_lllib.uses_vcc, 1
	.set _ZL39rocblas_trsm_block_forward_substitutionI19rocblas_complex_numIdES1_PKPKS1_PKPS1_Lb0ELb1ELb1EEv18rocblas_operation_llT0_T1_lllT2_lllib.uses_flat_scratch, 0
	.set _ZL39rocblas_trsm_block_forward_substitutionI19rocblas_complex_numIdES1_PKPKS1_PKPS1_Lb0ELb1ELb1EEv18rocblas_operation_llT0_T1_lllT2_lllib.has_dyn_sized_stack, 0
	.set _ZL39rocblas_trsm_block_forward_substitutionI19rocblas_complex_numIdES1_PKPKS1_PKPS1_Lb0ELb1ELb1EEv18rocblas_operation_llT0_T1_lllT2_lllib.has_recursion, 0
	.set _ZL39rocblas_trsm_block_forward_substitutionI19rocblas_complex_numIdES1_PKPKS1_PKPS1_Lb0ELb1ELb1EEv18rocblas_operation_llT0_T1_lllT2_lllib.has_indirect_call, 0
	.section	.AMDGPU.csdata,"",@progbits
; Kernel info:
; codeLenInByte = 1096
; TotalNumSgprs: 41
; NumVgprs: 29
; ScratchSize: 0
; MemoryBound: 0
; FloatMode: 240
; IeeeMode: 1
; LDSByteSize: 0 bytes/workgroup (compile time only)
; SGPRBlocks: 0
; VGPRBlocks: 3
; NumSGPRsForWavesPerEU: 41
; NumVGPRsForWavesPerEU: 29
; Occupancy: 16
; WaveLimiterHint : 1
; COMPUTE_PGM_RSRC2:SCRATCH_EN: 0
; COMPUTE_PGM_RSRC2:USER_SGPR: 2
; COMPUTE_PGM_RSRC2:TRAP_HANDLER: 0
; COMPUTE_PGM_RSRC2:TGID_X_EN: 1
; COMPUTE_PGM_RSRC2:TGID_Y_EN: 1
; COMPUTE_PGM_RSRC2:TGID_Z_EN: 1
; COMPUTE_PGM_RSRC2:TIDIG_COMP_CNT: 1
	.section	.text._ZL40rocblas_trsm_block_backward_substitutionI19rocblas_complex_numIdES1_PKPKS1_PKPS1_Lb0ELb1ELb1EEv18rocblas_operation_llT0_T1_lllT2_lllib,"axG",@progbits,_ZL40rocblas_trsm_block_backward_substitutionI19rocblas_complex_numIdES1_PKPKS1_PKPS1_Lb0ELb1ELb1EEv18rocblas_operation_llT0_T1_lllT2_lllib,comdat
	.globl	_ZL40rocblas_trsm_block_backward_substitutionI19rocblas_complex_numIdES1_PKPKS1_PKPS1_Lb0ELb1ELb1EEv18rocblas_operation_llT0_T1_lllT2_lllib ; -- Begin function _ZL40rocblas_trsm_block_backward_substitutionI19rocblas_complex_numIdES1_PKPKS1_PKPS1_Lb0ELb1ELb1EEv18rocblas_operation_llT0_T1_lllT2_lllib
	.p2align	8
	.type	_ZL40rocblas_trsm_block_backward_substitutionI19rocblas_complex_numIdES1_PKPKS1_PKPS1_Lb0ELb1ELb1EEv18rocblas_operation_llT0_T1_lllT2_lllib,@function
_ZL40rocblas_trsm_block_backward_substitutionI19rocblas_complex_numIdES1_PKPKS1_PKPS1_Lb0ELb1ELb1EEv18rocblas_operation_llT0_T1_lllT2_lllib: ; @_ZL40rocblas_trsm_block_backward_substitutionI19rocblas_complex_numIdES1_PKPKS1_PKPS1_Lb0ELb1ELb1EEv18rocblas_operation_llT0_T1_lllT2_lllib
; %bb.0:
	s_load_b64 s[20:21], s[0:1], 0x68
	s_lshr_b32 s22, ttmp7, 16
	s_wait_kmcnt 0x0
	s_cmp_ge_u32 s22, s20
	s_cbranch_scc1 .LBB248_19
; %bb.1:
	s_clause 0x3
	s_load_b32 s2, s[0:1], 0x0
	s_load_u16 s3, s[0:1], 0x7e
	s_load_b64 s[24:25], s[0:1], 0x38
	s_load_b64 s[30:31], s[0:1], 0x58
	s_bitcmp1_b32 s21, 0
	v_bfe_u32 v4, v0, 10, 10
	s_cselect_b32 s21, -1, 0
	s_add_nc_u64 s[26:27], s[0:1], 0x70
	s_mov_b64 s[28:29], src_shared_base
	s_mov_b32 s23, 0
	v_lshl_add_u32 v16, v4, 4, 0
	v_mov_b32_e32 v6, 0
	s_wait_kmcnt 0x0
	s_cmp_eq_u32 s2, 0x71
	s_cselect_b32 s2, -1, 0
	s_and_b32 s4, ttmp7, 0xffff
	s_delay_alu instid0(SALU_CYCLE_1)
	v_mad_co_u64_u32 v[1:2], null, s4, s3, v[4:5]
	v_and_b32_e32 v5, 0x3ff, v0
	s_clause 0x2
	s_load_b128 s[12:15], s[0:1], 0x28
	s_load_b256 s[4:11], s[0:1], 0x8
	s_load_b128 s[16:19], s[0:1], 0x48
	s_lshl_b32 s1, s3, 4
	s_delay_alu instid0(SALU_CYCLE_1) | instskip(SKIP_3) | instid1(VALU_DEP_3)
	s_add_co_i32 s28, s1, 0
	v_mad_co_u64_u32 v[7:8], null, s24, v5, 0
	v_mad_co_u64_u32 v[9:10], null, s30, v1, 0
	v_lshlrev_b32_e32 v18, 4, v5
	v_dual_mov_b32 v0, v8 :: v_dual_lshlrev_b32 v15, 4, v5
	s_delay_alu instid0(VALU_DEP_1) | instskip(NEXT) | instid1(VALU_DEP_2)
	v_dual_mov_b32 v2, v10 :: v_dual_add_nc_u32 v17, s28, v15
	v_mad_co_u64_u32 v[10:11], null, s25, v5, v[0:1]
	s_delay_alu instid0(VALU_DEP_2)
	v_mad_co_u64_u32 v[11:12], null, s31, v1, v[2:3]
	v_mov_b32_e32 v2, v6
	s_wait_kmcnt 0x0
	v_cmp_gt_i64_e64 s0, s[4:5], v[5:6]
	v_cmp_gt_i64_e64 s33, s[4:5], 0
	;; [unrolled: 1-line block ×3, first 2 shown]
	v_mov_b32_e32 v8, v10
	v_cmp_gt_i64_e32 vcc_lo, s[6:7], v[1:2]
	v_mov_b32_e32 v10, v11
	s_add_nc_u64 s[30:31], s[4:5], -1
	s_lshl_b64 s[14:15], s[14:15], 4
	v_lshlrev_b64_e32 v[7:8], 4, v[7:8]
	s_wait_alu 0xfffe
	s_lshl_b64 s[6:7], s[30:31], 4
	v_lshlrev_b64_e32 v[9:10], 4, v[9:10]
	s_and_b32 s38, vcc_lo, s0
	s_lshl_b64 s[18:19], s[18:19], 4
	s_branch .LBB248_4
.LBB248_2:                              ;   in Loop: Header=BB248_4 Depth=1
	flat_store_b128 v[11:12], v[0:3]
.LBB248_3:                              ;   in Loop: Header=BB248_4 Depth=1
	s_or_b32 exec_lo, exec_lo, s1
	s_add_co_i32 s22, s22, 0x10000
	s_delay_alu instid0(SALU_CYCLE_1)
	s_cmp_lt_u32 s22, s20
	s_cbranch_scc0 .LBB248_19
.LBB248_4:                              ; =>This Loop Header: Depth=1
                                        ;     Child Loop BB248_9 Depth 2
                                        ;     Child Loop BB248_15 Depth 2
	s_lshl_b64 s[34:35], s[22:23], 3
	s_wait_alu 0xfffe
	s_add_nc_u64 s[36:37], s[12:13], s[34:35]
	s_add_nc_u64 s[34:35], s[16:17], s[34:35]
	global_load_b64 v[2:3], v6, s[36:37]
	s_wait_loadcnt 0x1
	global_load_b64 v[0:1], v6, s[34:35]
	s_mov_b64 s[34:35], 1
	s_mov_b64 s[36:37], s[24:25]
	s_wait_loadcnt 0x1
	v_add_co_u32 v13, vcc_lo, v2, s14
	s_wait_alu 0xfffd
	v_add_co_ci_u32_e64 v14, null, s15, v3, vcc_lo
	s_and_not1_b32 vcc_lo, exec_lo, s21
	s_wait_alu 0xfffe
	s_cbranch_vccz .LBB248_6
; %bb.5:                                ;   in Loop: Header=BB248_4 Depth=1
	s_and_saveexec_b32 s1, s38
	s_cbranch_execz .LBB248_3
	s_branch .LBB248_12
.LBB248_6:                              ;   in Loop: Header=BB248_4 Depth=1
	s_and_not1_b32 vcc_lo, exec_lo, s33
	s_wait_alu 0xfffe
	s_cbranch_vccnz .LBB248_11
; %bb.7:                                ;   in Loop: Header=BB248_4 Depth=1
	v_add_co_u32 v11, vcc_lo, v13, v7
	s_wait_alu 0xfffd
	v_add_co_ci_u32_e64 v12, null, v14, v8, vcc_lo
	s_mov_b32 s34, 0
	s_branch .LBB248_9
.LBB248_8:                              ;   in Loop: Header=BB248_9 Depth=2
	s_or_b32 exec_lo, exec_lo, s1
	s_add_co_i32 s34, s34, s3
	s_wait_alu 0xfffe
	s_ashr_i32 s35, s34, 31
	s_wait_alu 0xfffe
	v_cmp_le_i64_e64 s1, s[4:5], s[34:35]
	s_and_b32 vcc_lo, exec_lo, s1
	s_wait_alu 0xfffe
	s_cbranch_vccnz .LBB248_11
.LBB248_9:                              ;   Parent Loop BB248_4 Depth=1
                                        ; =>  This Inner Loop Header: Depth=2
	s_wait_alu 0xfffe
	v_add_nc_u32_e32 v2, s34, v4
	s_delay_alu instid0(VALU_DEP_1) | instskip(SKIP_1) | instid1(VALU_DEP_2)
	v_ashrrev_i32_e32 v3, 31, v2
	v_cmp_lt_i32_e64 s1, v5, v2
	v_cmp_gt_i64_e32 vcc_lo, s[4:5], v[2:3]
	s_and_b32 s1, s1, vcc_lo
	s_delay_alu instid0(SALU_CYCLE_1)
	s_and_b32 s35, s0, s1
	s_wait_alu 0xfffe
	s_and_saveexec_b32 s1, s35
	s_cbranch_execz .LBB248_8
; %bb.10:                               ;   in Loop: Header=BB248_9 Depth=2
	v_lshlrev_b64_e32 v[13:14], 4, v[2:3]
	s_load_b32 s35, s[26:27], 0xc
	s_delay_alu instid0(VALU_DEP_1) | instskip(SKIP_1) | instid1(VALU_DEP_2)
	v_add_co_u32 v13, vcc_lo, v11, v13
	s_wait_alu 0xfffd
	v_add_co_ci_u32_e64 v14, null, v12, v14, vcc_lo
	flat_load_b128 v[19:22], v[13:14]
	s_wait_kmcnt 0x0
	s_and_b32 s35, s35, 0xffff
	s_wait_alu 0xfffe
	v_mul_lo_u32 v2, v2, s35
	s_delay_alu instid0(VALU_DEP_1)
	v_lshl_add_u32 v2, v2, 4, v17
	s_wait_loadcnt_dscnt 0x0
	ds_store_2addr_b64 v2, v[19:20], v[21:22] offset1:1
	s_branch .LBB248_8
.LBB248_11:                             ;   in Loop: Header=BB248_4 Depth=1
	s_load_b32 s1, s[26:27], 0xc
	v_dual_mov_b32 v13, s28 :: v_dual_mov_b32 v14, s29
	s_mov_b32 s35, s23
	s_mov_b64 s[36:37], 1
	s_wait_kmcnt 0x0
	s_and_b32 s34, s1, 0xffff
	s_and_saveexec_b32 s1, s38
	s_cbranch_execz .LBB248_3
.LBB248_12:                             ;   in Loop: Header=BB248_4 Depth=1
	s_wait_loadcnt 0x0
	v_add_co_u32 v0, vcc_lo, v0, s18
	s_wait_alu 0xfffd
	v_add_co_ci_u32_e64 v1, null, s19, v1, vcc_lo
	s_delay_alu instid0(VALU_DEP_2) | instskip(SKIP_1) | instid1(VALU_DEP_2)
	v_add_co_u32 v0, vcc_lo, v0, v9
	s_wait_alu 0xfffd
	v_add_co_ci_u32_e64 v1, null, v1, v10, vcc_lo
	s_delay_alu instid0(VALU_DEP_2) | instskip(SKIP_1) | instid1(VALU_DEP_2)
	v_add_co_u32 v11, vcc_lo, v0, v18
	s_wait_alu 0xfffd
	v_add_co_ci_u32_e64 v12, null, 0, v1, vcc_lo
	s_and_not1_b32 vcc_lo, exec_lo, s39
	flat_load_b128 v[19:22], v[11:12]
	s_wait_loadcnt_dscnt 0x0
	v_mul_f64_e32 v[0:1], s[10:11], v[21:22]
	v_mul_f64_e32 v[2:3], s[8:9], v[21:22]
	s_delay_alu instid0(VALU_DEP_2) | instskip(NEXT) | instid1(VALU_DEP_2)
	v_fma_f64 v[0:1], s[8:9], v[19:20], -v[0:1]
	v_fma_f64 v[2:3], s[10:11], v[19:20], v[2:3]
	s_wait_alu 0xfffe
	s_cbranch_vccnz .LBB248_2
; %bb.13:                               ;   in Loop: Header=BB248_4 Depth=1
	s_mul_u64 s[40:41], s[6:7], s[34:35]
	s_lshl_b32 s34, s34, 4
	s_wait_alu 0xfffe
	v_add_co_u32 v13, vcc_lo, v13, s40
	s_wait_alu 0xfffd
	v_add_co_ci_u32_e64 v14, null, s41, v14, vcc_lo
	s_mov_b32 s35, s23
	s_wait_alu 0xfffe
	s_sub_nc_u64 s[34:35], 0, s[34:35]
	v_mad_co_u64_u32 v[13:14], null, v15, s36, v[13:14]
	s_delay_alu instid0(VALU_DEP_1) | instskip(NEXT) | instid1(VALU_DEP_2)
	v_mad_co_u64_u32 v[19:20], null, v15, s37, v[14:15]
	v_add_co_u32 v13, vcc_lo, v13, 8
	s_mov_b64 s[36:37], s[30:31]
	s_wait_alu 0xfffd
	v_add_co_ci_u32_e64 v14, null, 0, v19, vcc_lo
	s_branch .LBB248_15
.LBB248_14:                             ;   in Loop: Header=BB248_15 Depth=2
	s_wait_alu 0xfffe
	s_or_b32 exec_lo, exec_lo, s40
	s_add_nc_u64 s[40:41], s[36:37], 1
	v_add_co_u32 v13, vcc_lo, v13, s34
	s_wait_alu 0xfffe
	v_cmp_lt_u64_e64 s40, s[40:41], 3
	s_wait_alu 0xfffd
	v_add_co_ci_u32_e64 v14, null, s35, v14, vcc_lo
	s_add_nc_u64 s[36:37], s[36:37], -1
	s_and_b32 vcc_lo, exec_lo, s40
	s_wait_alu 0xfffe
	s_cbranch_vccnz .LBB248_2
.LBB248_15:                             ;   Parent Loop BB248_4 Depth=1
                                        ; =>  This Inner Loop Header: Depth=2
	s_mov_b32 s40, exec_lo
	s_barrier_signal -1
	s_barrier_wait -1
	global_inv scope:SCOPE_SE
	s_wait_alu 0xfffe
	v_cmpx_eq_u64_e64 s[36:37], v[5:6]
; %bb.16:                               ;   in Loop: Header=BB248_15 Depth=2
	ds_store_2addr_b64 v16, v[0:1], v[2:3] offset1:1
; %bb.17:                               ;   in Loop: Header=BB248_15 Depth=2
	s_or_b32 exec_lo, exec_lo, s40
	s_delay_alu instid0(SALU_CYCLE_1)
	s_mov_b32 s40, exec_lo
	s_wait_loadcnt_dscnt 0x0
	s_barrier_signal -1
	s_barrier_wait -1
	global_inv scope:SCOPE_SE
	v_cmpx_gt_i64_e64 s[36:37], v[5:6]
	s_cbranch_execz .LBB248_14
; %bb.18:                               ;   in Loop: Header=BB248_15 Depth=2
	flat_load_b128 v[19:22], v[13:14] offset:-8
	ds_load_2addr_b64 v[23:26], v16 offset1:1
	s_wait_loadcnt_dscnt 0x1
	v_xor_b32_e32 v27, 0x80000000, v22
	s_delay_alu instid0(VALU_DEP_1) | instskip(SKIP_1) | instid1(VALU_DEP_1)
	v_cndmask_b32_e64 v22, v22, v27, s2
	s_wait_dscnt 0x0
	v_mul_f64_e32 v[27:28], v[21:22], v[25:26]
	v_mul_f64_e32 v[25:26], v[19:20], v[25:26]
	s_delay_alu instid0(VALU_DEP_2) | instskip(NEXT) | instid1(VALU_DEP_2)
	v_fma_f64 v[19:20], v[19:20], v[23:24], -v[27:28]
	v_fma_f64 v[21:22], v[21:22], v[23:24], v[25:26]
	s_delay_alu instid0(VALU_DEP_2) | instskip(NEXT) | instid1(VALU_DEP_2)
	v_add_f64_e64 v[0:1], v[0:1], -v[19:20]
	v_add_f64_e64 v[2:3], v[2:3], -v[21:22]
	s_branch .LBB248_14
.LBB248_19:
	s_endpgm
	.section	.rodata,"a",@progbits
	.p2align	6, 0x0
	.amdhsa_kernel _ZL40rocblas_trsm_block_backward_substitutionI19rocblas_complex_numIdES1_PKPKS1_PKPS1_Lb0ELb1ELb1EEv18rocblas_operation_llT0_T1_lllT2_lllib
		.amdhsa_group_segment_fixed_size 0
		.amdhsa_private_segment_fixed_size 0
		.amdhsa_kernarg_size 368
		.amdhsa_user_sgpr_count 2
		.amdhsa_user_sgpr_dispatch_ptr 0
		.amdhsa_user_sgpr_queue_ptr 0
		.amdhsa_user_sgpr_kernarg_segment_ptr 1
		.amdhsa_user_sgpr_dispatch_id 0
		.amdhsa_user_sgpr_private_segment_size 0
		.amdhsa_wavefront_size32 1
		.amdhsa_uses_dynamic_stack 0
		.amdhsa_enable_private_segment 0
		.amdhsa_system_sgpr_workgroup_id_x 1
		.amdhsa_system_sgpr_workgroup_id_y 1
		.amdhsa_system_sgpr_workgroup_id_z 1
		.amdhsa_system_sgpr_workgroup_info 0
		.amdhsa_system_vgpr_workitem_id 1
		.amdhsa_next_free_vgpr 29
		.amdhsa_next_free_sgpr 42
		.amdhsa_reserve_vcc 1
		.amdhsa_float_round_mode_32 0
		.amdhsa_float_round_mode_16_64 0
		.amdhsa_float_denorm_mode_32 3
		.amdhsa_float_denorm_mode_16_64 3
		.amdhsa_fp16_overflow 0
		.amdhsa_workgroup_processor_mode 1
		.amdhsa_memory_ordered 1
		.amdhsa_forward_progress 1
		.amdhsa_inst_pref_size 10
		.amdhsa_round_robin_scheduling 0
		.amdhsa_exception_fp_ieee_invalid_op 0
		.amdhsa_exception_fp_denorm_src 0
		.amdhsa_exception_fp_ieee_div_zero 0
		.amdhsa_exception_fp_ieee_overflow 0
		.amdhsa_exception_fp_ieee_underflow 0
		.amdhsa_exception_fp_ieee_inexact 0
		.amdhsa_exception_int_div_zero 0
	.end_amdhsa_kernel
	.section	.text._ZL40rocblas_trsm_block_backward_substitutionI19rocblas_complex_numIdES1_PKPKS1_PKPS1_Lb0ELb1ELb1EEv18rocblas_operation_llT0_T1_lllT2_lllib,"axG",@progbits,_ZL40rocblas_trsm_block_backward_substitutionI19rocblas_complex_numIdES1_PKPKS1_PKPS1_Lb0ELb1ELb1EEv18rocblas_operation_llT0_T1_lllT2_lllib,comdat
.Lfunc_end248:
	.size	_ZL40rocblas_trsm_block_backward_substitutionI19rocblas_complex_numIdES1_PKPKS1_PKPS1_Lb0ELb1ELb1EEv18rocblas_operation_llT0_T1_lllT2_lllib, .Lfunc_end248-_ZL40rocblas_trsm_block_backward_substitutionI19rocblas_complex_numIdES1_PKPKS1_PKPS1_Lb0ELb1ELb1EEv18rocblas_operation_llT0_T1_lllT2_lllib
                                        ; -- End function
	.set _ZL40rocblas_trsm_block_backward_substitutionI19rocblas_complex_numIdES1_PKPKS1_PKPS1_Lb0ELb1ELb1EEv18rocblas_operation_llT0_T1_lllT2_lllib.num_vgpr, 29
	.set _ZL40rocblas_trsm_block_backward_substitutionI19rocblas_complex_numIdES1_PKPKS1_PKPS1_Lb0ELb1ELb1EEv18rocblas_operation_llT0_T1_lllT2_lllib.num_agpr, 0
	.set _ZL40rocblas_trsm_block_backward_substitutionI19rocblas_complex_numIdES1_PKPKS1_PKPS1_Lb0ELb1ELb1EEv18rocblas_operation_llT0_T1_lllT2_lllib.numbered_sgpr, 42
	.set _ZL40rocblas_trsm_block_backward_substitutionI19rocblas_complex_numIdES1_PKPKS1_PKPS1_Lb0ELb1ELb1EEv18rocblas_operation_llT0_T1_lllT2_lllib.num_named_barrier, 0
	.set _ZL40rocblas_trsm_block_backward_substitutionI19rocblas_complex_numIdES1_PKPKS1_PKPS1_Lb0ELb1ELb1EEv18rocblas_operation_llT0_T1_lllT2_lllib.private_seg_size, 0
	.set _ZL40rocblas_trsm_block_backward_substitutionI19rocblas_complex_numIdES1_PKPKS1_PKPS1_Lb0ELb1ELb1EEv18rocblas_operation_llT0_T1_lllT2_lllib.uses_vcc, 1
	.set _ZL40rocblas_trsm_block_backward_substitutionI19rocblas_complex_numIdES1_PKPKS1_PKPS1_Lb0ELb1ELb1EEv18rocblas_operation_llT0_T1_lllT2_lllib.uses_flat_scratch, 0
	.set _ZL40rocblas_trsm_block_backward_substitutionI19rocblas_complex_numIdES1_PKPKS1_PKPS1_Lb0ELb1ELb1EEv18rocblas_operation_llT0_T1_lllT2_lllib.has_dyn_sized_stack, 0
	.set _ZL40rocblas_trsm_block_backward_substitutionI19rocblas_complex_numIdES1_PKPKS1_PKPS1_Lb0ELb1ELb1EEv18rocblas_operation_llT0_T1_lllT2_lllib.has_recursion, 0
	.set _ZL40rocblas_trsm_block_backward_substitutionI19rocblas_complex_numIdES1_PKPKS1_PKPS1_Lb0ELb1ELb1EEv18rocblas_operation_llT0_T1_lllT2_lllib.has_indirect_call, 0
	.section	.AMDGPU.csdata,"",@progbits
; Kernel info:
; codeLenInByte = 1216
; TotalNumSgprs: 44
; NumVgprs: 29
; ScratchSize: 0
; MemoryBound: 0
; FloatMode: 240
; IeeeMode: 1
; LDSByteSize: 0 bytes/workgroup (compile time only)
; SGPRBlocks: 0
; VGPRBlocks: 3
; NumSGPRsForWavesPerEU: 44
; NumVGPRsForWavesPerEU: 29
; Occupancy: 16
; WaveLimiterHint : 1
; COMPUTE_PGM_RSRC2:SCRATCH_EN: 0
; COMPUTE_PGM_RSRC2:USER_SGPR: 2
; COMPUTE_PGM_RSRC2:TRAP_HANDLER: 0
; COMPUTE_PGM_RSRC2:TGID_X_EN: 1
; COMPUTE_PGM_RSRC2:TGID_Y_EN: 1
; COMPUTE_PGM_RSRC2:TGID_Z_EN: 1
; COMPUTE_PGM_RSRC2:TIDIG_COMP_CNT: 1
	.section	.text._ZL39rocblas_trsm_block_forward_substitutionI19rocblas_complex_numIdES1_PKPKS1_PKPS1_Lb1ELb1ELb0EEv18rocblas_operation_llT0_T1_lllT2_lllib,"axG",@progbits,_ZL39rocblas_trsm_block_forward_substitutionI19rocblas_complex_numIdES1_PKPKS1_PKPS1_Lb1ELb1ELb0EEv18rocblas_operation_llT0_T1_lllT2_lllib,comdat
	.globl	_ZL39rocblas_trsm_block_forward_substitutionI19rocblas_complex_numIdES1_PKPKS1_PKPS1_Lb1ELb1ELb0EEv18rocblas_operation_llT0_T1_lllT2_lllib ; -- Begin function _ZL39rocblas_trsm_block_forward_substitutionI19rocblas_complex_numIdES1_PKPKS1_PKPS1_Lb1ELb1ELb0EEv18rocblas_operation_llT0_T1_lllT2_lllib
	.p2align	8
	.type	_ZL39rocblas_trsm_block_forward_substitutionI19rocblas_complex_numIdES1_PKPKS1_PKPS1_Lb1ELb1ELb0EEv18rocblas_operation_llT0_T1_lllT2_lllib,@function
_ZL39rocblas_trsm_block_forward_substitutionI19rocblas_complex_numIdES1_PKPKS1_PKPS1_Lb1ELb1ELb0EEv18rocblas_operation_llT0_T1_lllT2_lllib: ; @_ZL39rocblas_trsm_block_forward_substitutionI19rocblas_complex_numIdES1_PKPKS1_PKPS1_Lb1ELb1ELb0EEv18rocblas_operation_llT0_T1_lllT2_lllib
; %bb.0:
	s_load_b64 s[20:21], s[0:1], 0x68
	s_lshr_b32 s22, ttmp7, 16
	s_wait_kmcnt 0x0
	s_cmp_ge_u32 s22, s20
	s_cbranch_scc1 .LBB249_41
; %bb.1:
	s_mov_b64 s[26:27], src_shared_base
	s_clause 0x5
	s_load_b64 s[2:3], s[0:1], 0x58
	s_load_b32 s26, s[0:1], 0x0
	s_load_b256 s[4:11], s[0:1], 0x8
	s_load_b128 s[12:15], s[0:1], 0x28
	s_load_b64 s[34:35], s[0:1], 0x38
	s_load_b128 s[16:19], s[0:1], 0x48
	s_bitcmp1_b32 s21, 0
	s_load_u16 s21, s[0:1], 0x7e
	s_add_nc_u64 s[24:25], s[0:1], 0x70
	s_cselect_b32 s0, -1, 0
	v_bfe_u32 v6, v0, 10, 10
	v_dual_mov_b32 v8, 0 :: v_dual_and_b32 v7, 0x3ff, v0
	s_xor_b32 s33, s0, -1
	v_cndmask_b32_e64 v23, 0, 1, s0
	s_delay_alu instid0(VALU_DEP_3)
	v_lshl_add_u32 v25, v6, 4, 0
	s_mov_b32 s23, 0
	v_lshlrev_b32_e32 v24, 4, v7
	s_mov_b64 s[28:29], 1
	s_wait_kmcnt 0x0
	v_mad_co_u64_u32 v[0:1], null, s2, v7, 0
	s_cmp_eq_u32 s26, 0x71
	v_cmp_le_i64_e32 vcc_lo, s[4:5], v[7:8]
	s_cselect_b32 s0, -1, 0
	s_wait_alu 0xfffe
	s_and_b32 s1, ttmp7, 0xffff
	v_cmp_gt_i64_e64 s2, s[4:5], v[7:8]
	s_wait_alu 0xfffe
	v_mad_co_u64_u32 v[2:3], null, s1, s21, v[6:7]
	v_mov_b32_e32 v3, v8
	s_lshl_b32 s1, s21, 4
	s_add_nc_u64 s[30:31], s[4:5], -1
	s_wait_alu 0xfffe
	s_add_co_i32 s26, s1, 0
	v_cmp_gt_i64_e64 s36, s[4:5], 1
	v_cmp_eq_u64_e64 s1, s[30:31], v[7:8]
	v_mad_co_u64_u32 v[4:5], null, s3, v7, v[1:2]
	v_cmp_gt_i64_e64 s3, s[6:7], v[2:3]
	v_lshlrev_b64_e32 v[9:10], 4, v[2:3]
	v_cmp_gt_i64_e64 s38, s[4:5], 0
	s_lshl_b64 s[6:7], s[14:15], 4
	v_add_nc_u32_e32 v26, s26, v24
	s_lshl_b64 s[14:15], s[18:19], 4
	v_mov_b32_e32 v1, v4
	s_and_b32 s37, s3, s2
	s_xor_b32 s39, vcc_lo, -1
	s_delay_alu instid0(VALU_DEP_1)
	v_lshlrev_b64_e32 v[11:12], 4, v[0:1]
	s_branch .LBB249_6
.LBB249_2:                              ;   in Loop: Header=BB249_6 Depth=1
	s_wait_alu 0xfffe
	s_or_b32 exec_lo, exec_lo, s3
.LBB249_3:                              ;   in Loop: Header=BB249_6 Depth=1
	s_wait_loadcnt_dscnt 0x0
	s_delay_alu instid0(VALU_DEP_1) | instskip(NEXT) | instid1(VALU_DEP_3)
	v_mul_f64_e32 v[17:18], v[15:16], v[4:5]
	v_mul_f64_e32 v[15:16], v[15:16], v[2:3]
	s_delay_alu instid0(VALU_DEP_2) | instskip(NEXT) | instid1(VALU_DEP_2)
	v_fma_f64 v[2:3], v[0:1], v[2:3], -v[17:18]
	v_fma_f64 v[15:16], v[0:1], v[4:5], v[15:16]
	s_delay_alu instid0(VALU_DEP_2)
	v_dual_mov_b32 v0, v2 :: v_dual_mov_b32 v1, v3
.LBB249_4:                              ;   in Loop: Header=BB249_6 Depth=1
	s_wait_alu 0xfffe
	s_or_b32 exec_lo, exec_lo, s2
	s_delay_alu instid0(VALU_DEP_1)
	v_dual_mov_b32 v2, v15 :: v_dual_mov_b32 v3, v16
	flat_store_b128 v[13:14], v[0:3]
.LBB249_5:                              ;   in Loop: Header=BB249_6 Depth=1
	s_or_b32 exec_lo, exec_lo, s40
	s_add_co_i32 s22, s22, 0x10000
	s_delay_alu instid0(SALU_CYCLE_1)
	s_cmp_lt_u32 s22, s20
	s_cbranch_scc0 .LBB249_41
.LBB249_6:                              ; =>This Loop Header: Depth=1
                                        ;     Child Loop BB249_13 Depth 2
                                        ;     Child Loop BB249_25 Depth 2
	s_lshl_b64 s[2:3], s[22:23], 3
	v_cmp_ne_u32_e32 vcc_lo, 1, v23
	s_wait_alu 0xfffe
	s_add_nc_u64 s[18:19], s[12:13], s[2:3]
	s_add_nc_u64 s[2:3], s[16:17], s[2:3]
	global_load_b64 v[0:1], v8, s[18:19]
	s_wait_loadcnt 0x1
	global_load_b64 v[4:5], v8, s[2:3]
	s_wait_loadcnt 0x1
	v_add_co_u32 v17, s2, v0, s6
	s_wait_alu 0xf1fe
	v_add_co_ci_u32_e64 v18, null, s7, v1, s2
	s_cbranch_vccz .LBB249_8
; %bb.7:                                ;   in Loop: Header=BB249_6 Depth=1
	s_and_saveexec_b32 s40, s37
	s_cbranch_execz .LBB249_5
	s_branch .LBB249_22
.LBB249_8:                              ;   in Loop: Header=BB249_6 Depth=1
	s_and_not1_b32 vcc_lo, exec_lo, s38
	s_wait_alu 0xfffe
	s_cbranch_vccnz .LBB249_21
; %bb.9:                                ;   in Loop: Header=BB249_6 Depth=1
	v_mad_co_u64_u32 v[0:1], null, s34, v7, 0
	v_mul_hi_u32_u24_e32 v3, s28, v7
	v_mov_b32_e32 v21, v6
	s_mov_b32 s2, s21
	s_delay_alu instid0(VALU_DEP_3) | instskip(SKIP_1) | instid1(VALU_DEP_1)
	v_mad_co_u64_u32 v[1:2], null, s35, v7, v[1:2]
	v_mul_u32_u24_e32 v2, s28, v7
	v_lshlrev_b64_e32 v[2:3], 4, v[2:3]
	s_delay_alu instid0(VALU_DEP_3) | instskip(NEXT) | instid1(VALU_DEP_1)
	v_lshlrev_b64_e32 v[0:1], 4, v[0:1]
	v_add_co_u32 v19, vcc_lo, v17, v0
	s_wait_alu 0xfffd
	s_delay_alu instid0(VALU_DEP_2) | instskip(NEXT) | instid1(VALU_DEP_2)
	v_add_co_ci_u32_e64 v20, null, v18, v1, vcc_lo
	v_add_co_u32 v13, vcc_lo, v19, v2
	s_wait_alu 0xfffd
	s_delay_alu instid0(VALU_DEP_2)
	v_add_co_ci_u32_e64 v14, null, v20, v3, vcc_lo
	s_branch .LBB249_13
.LBB249_10:                             ;   in Loop: Header=BB249_13 Depth=2
	s_wait_alu 0xfffe
	s_or_b32 exec_lo, exec_lo, s19
	s_load_b32 s19, s[24:25], 0xc
	s_wait_kmcnt 0x0
	s_and_b32 s19, s19, 0xffff
	s_wait_alu 0xfffe
	v_mul_u32_u24_e32 v0, s19, v7
	s_delay_alu instid0(VALU_DEP_1)
	v_lshl_add_u32 v0, v0, 4, v26
	ds_store_2addr_b64 v0, v[15:16], v[17:18] offset1:1
.LBB249_11:                             ;   in Loop: Header=BB249_13 Depth=2
	s_wait_alu 0xfffe
	s_or_b32 exec_lo, exec_lo, s18
.LBB249_12:                             ;   in Loop: Header=BB249_13 Depth=2
	s_wait_alu 0xfffe
	s_or_b32 exec_lo, exec_lo, s3
	s_ashr_i32 s3, s2, 31
	v_add_nc_u32_e32 v21, s21, v21
	s_wait_alu 0xfffe
	v_cmp_le_i64_e64 s3, s[4:5], s[2:3]
	s_add_co_i32 s2, s2, s21
	s_and_b32 vcc_lo, exec_lo, s3
	s_wait_alu 0xfffe
	s_cbranch_vccnz .LBB249_21
.LBB249_13:                             ;   Parent Loop BB249_6 Depth=1
                                        ; =>  This Inner Loop Header: Depth=2
	v_cmp_gt_i32_e32 vcc_lo, v7, v21
	s_and_b32 s3, s39, vcc_lo
	s_wait_alu 0xfffe
	s_and_saveexec_b32 s18, s3
	s_wait_alu 0xfffe
	s_xor_b32 s3, exec_lo, s18
	s_cbranch_execz .LBB249_15
; %bb.14:                               ;   in Loop: Header=BB249_13 Depth=2
	v_ashrrev_i32_e32 v2, 31, v21
	v_mul_lo_u32 v3, s29, v21
	v_mad_co_u64_u32 v[0:1], null, s28, v21, 0
	s_load_b32 s18, s[24:25], 0xc
	v_mul_lo_u32 v2, s28, v2
	s_delay_alu instid0(VALU_DEP_1) | instskip(NEXT) | instid1(VALU_DEP_1)
	v_add3_u32 v1, v1, v2, v3
	v_lshlrev_b64_e32 v[0:1], 4, v[0:1]
	s_wait_kmcnt 0x0
	s_and_b32 s18, s18, 0xffff
	s_delay_alu instid0(VALU_DEP_1) | instskip(SKIP_1) | instid1(VALU_DEP_2)
	v_add_co_u32 v0, vcc_lo, v19, v0
	s_wait_alu 0xfffd
	v_add_co_ci_u32_e64 v1, null, v20, v1, vcc_lo
	s_wait_alu 0xfffe
	v_mul_lo_u32 v15, v21, s18
	flat_load_b128 v[0:3], v[0:1]
	v_lshl_add_u32 v15, v15, 4, v26
	s_wait_loadcnt_dscnt 0x0
	ds_store_2addr_b64 v15, v[0:1], v[2:3] offset1:1
.LBB249_15:                             ;   in Loop: Header=BB249_13 Depth=2
	s_wait_alu 0xfffe
	s_and_not1_saveexec_b32 s3, s3
	s_cbranch_execz .LBB249_12
; %bb.16:                               ;   in Loop: Header=BB249_13 Depth=2
	v_cmp_eq_u32_e32 vcc_lo, v7, v21
	s_and_b32 s19, s39, vcc_lo
	s_wait_alu 0xfffe
	s_and_saveexec_b32 s18, s19
	s_cbranch_execz .LBB249_11
; %bb.17:                               ;   in Loop: Header=BB249_13 Depth=2
	flat_load_b128 v[0:3], v[13:14]
                                        ; implicit-def: $vgpr15_vgpr16
	s_wait_loadcnt_dscnt 0x0
	v_cmp_ngt_f64_e64 s19, |v[0:1]|, |v[2:3]|
	s_and_saveexec_b32 s34, s19
	s_wait_alu 0xfffe
	s_xor_b32 s19, exec_lo, s34
                                        ; implicit-def: $vgpr17_vgpr18
	s_cbranch_execz .LBB249_19
; %bb.18:                               ;   in Loop: Header=BB249_13 Depth=2
	v_div_scale_f64 v[15:16], null, v[2:3], v[2:3], v[0:1]
	v_div_scale_f64 v[29:30], vcc_lo, v[0:1], v[2:3], v[0:1]
	s_delay_alu instid0(VALU_DEP_2) | instskip(NEXT) | instid1(TRANS32_DEP_1)
	v_rcp_f64_e32 v[17:18], v[15:16]
	v_fma_f64 v[27:28], -v[15:16], v[17:18], 1.0
	s_delay_alu instid0(VALU_DEP_1) | instskip(NEXT) | instid1(VALU_DEP_1)
	v_fma_f64 v[17:18], v[17:18], v[27:28], v[17:18]
	v_fma_f64 v[27:28], -v[15:16], v[17:18], 1.0
	s_delay_alu instid0(VALU_DEP_1) | instskip(NEXT) | instid1(VALU_DEP_1)
	v_fma_f64 v[17:18], v[17:18], v[27:28], v[17:18]
	v_mul_f64_e32 v[27:28], v[29:30], v[17:18]
	s_delay_alu instid0(VALU_DEP_1) | instskip(SKIP_1) | instid1(VALU_DEP_1)
	v_fma_f64 v[15:16], -v[15:16], v[27:28], v[29:30]
	s_wait_alu 0xfffd
	v_div_fmas_f64 v[15:16], v[15:16], v[17:18], v[27:28]
	s_delay_alu instid0(VALU_DEP_1) | instskip(NEXT) | instid1(VALU_DEP_1)
	v_div_fixup_f64 v[15:16], v[15:16], v[2:3], v[0:1]
	v_fma_f64 v[0:1], v[0:1], v[15:16], v[2:3]
	s_delay_alu instid0(VALU_DEP_1) | instskip(NEXT) | instid1(VALU_DEP_1)
	v_div_scale_f64 v[2:3], null, v[0:1], v[0:1], 1.0
	v_rcp_f64_e32 v[17:18], v[2:3]
	s_delay_alu instid0(TRANS32_DEP_1) | instskip(NEXT) | instid1(VALU_DEP_1)
	v_fma_f64 v[27:28], -v[2:3], v[17:18], 1.0
	v_fma_f64 v[17:18], v[17:18], v[27:28], v[17:18]
	s_delay_alu instid0(VALU_DEP_1) | instskip(NEXT) | instid1(VALU_DEP_1)
	v_fma_f64 v[27:28], -v[2:3], v[17:18], 1.0
	v_fma_f64 v[17:18], v[17:18], v[27:28], v[17:18]
	v_div_scale_f64 v[27:28], vcc_lo, 1.0, v[0:1], 1.0
	s_delay_alu instid0(VALU_DEP_1) | instskip(NEXT) | instid1(VALU_DEP_1)
	v_mul_f64_e32 v[29:30], v[27:28], v[17:18]
	v_fma_f64 v[2:3], -v[2:3], v[29:30], v[27:28]
	s_wait_alu 0xfffd
	s_delay_alu instid0(VALU_DEP_1) | instskip(NEXT) | instid1(VALU_DEP_1)
	v_div_fmas_f64 v[2:3], v[2:3], v[17:18], v[29:30]
	v_div_fixup_f64 v[17:18], v[2:3], v[0:1], 1.0
                                        ; implicit-def: $vgpr0_vgpr1
	s_delay_alu instid0(VALU_DEP_1)
	v_mul_f64_e32 v[15:16], v[15:16], v[17:18]
	v_xor_b32_e32 v18, 0x80000000, v18
.LBB249_19:                             ;   in Loop: Header=BB249_13 Depth=2
	s_wait_alu 0xfffe
	s_and_not1_saveexec_b32 s19, s19
	s_cbranch_execz .LBB249_10
; %bb.20:                               ;   in Loop: Header=BB249_13 Depth=2
	v_div_scale_f64 v[15:16], null, v[0:1], v[0:1], v[2:3]
	v_div_scale_f64 v[29:30], vcc_lo, v[2:3], v[0:1], v[2:3]
	s_delay_alu instid0(VALU_DEP_2) | instskip(NEXT) | instid1(TRANS32_DEP_1)
	v_rcp_f64_e32 v[17:18], v[15:16]
	v_fma_f64 v[27:28], -v[15:16], v[17:18], 1.0
	s_delay_alu instid0(VALU_DEP_1) | instskip(NEXT) | instid1(VALU_DEP_1)
	v_fma_f64 v[17:18], v[17:18], v[27:28], v[17:18]
	v_fma_f64 v[27:28], -v[15:16], v[17:18], 1.0
	s_delay_alu instid0(VALU_DEP_1) | instskip(NEXT) | instid1(VALU_DEP_1)
	v_fma_f64 v[17:18], v[17:18], v[27:28], v[17:18]
	v_mul_f64_e32 v[27:28], v[29:30], v[17:18]
	s_delay_alu instid0(VALU_DEP_1) | instskip(SKIP_1) | instid1(VALU_DEP_1)
	v_fma_f64 v[15:16], -v[15:16], v[27:28], v[29:30]
	s_wait_alu 0xfffd
	v_div_fmas_f64 v[15:16], v[15:16], v[17:18], v[27:28]
	s_delay_alu instid0(VALU_DEP_1) | instskip(NEXT) | instid1(VALU_DEP_1)
	v_div_fixup_f64 v[17:18], v[15:16], v[0:1], v[2:3]
	v_fma_f64 v[0:1], v[2:3], v[17:18], v[0:1]
	s_delay_alu instid0(VALU_DEP_1) | instskip(NEXT) | instid1(VALU_DEP_1)
	v_div_scale_f64 v[2:3], null, v[0:1], v[0:1], 1.0
	v_rcp_f64_e32 v[15:16], v[2:3]
	s_delay_alu instid0(TRANS32_DEP_1) | instskip(NEXT) | instid1(VALU_DEP_1)
	v_fma_f64 v[27:28], -v[2:3], v[15:16], 1.0
	v_fma_f64 v[15:16], v[15:16], v[27:28], v[15:16]
	s_delay_alu instid0(VALU_DEP_1) | instskip(NEXT) | instid1(VALU_DEP_1)
	v_fma_f64 v[27:28], -v[2:3], v[15:16], 1.0
	v_fma_f64 v[15:16], v[15:16], v[27:28], v[15:16]
	v_div_scale_f64 v[27:28], vcc_lo, 1.0, v[0:1], 1.0
	s_delay_alu instid0(VALU_DEP_1) | instskip(NEXT) | instid1(VALU_DEP_1)
	v_mul_f64_e32 v[29:30], v[27:28], v[15:16]
	v_fma_f64 v[2:3], -v[2:3], v[29:30], v[27:28]
	s_wait_alu 0xfffd
	s_delay_alu instid0(VALU_DEP_1) | instskip(NEXT) | instid1(VALU_DEP_1)
	v_div_fmas_f64 v[2:3], v[2:3], v[15:16], v[29:30]
	v_div_fixup_f64 v[15:16], v[2:3], v[0:1], 1.0
	s_delay_alu instid0(VALU_DEP_1)
	v_mul_f64_e64 v[17:18], v[17:18], -v[15:16]
	s_branch .LBB249_10
.LBB249_21:                             ;   in Loop: Header=BB249_6 Depth=1
	s_load_b32 s2, s[24:25], 0xc
	v_dual_mov_b32 v17, s26 :: v_dual_mov_b32 v18, s27
	s_mov_b32 s29, s23
	s_mov_b64 s[34:35], 1
	s_wait_kmcnt 0x0
	s_and_b32 s28, s2, 0xffff
	s_and_saveexec_b32 s40, s37
	s_cbranch_execz .LBB249_5
.LBB249_22:                             ;   in Loop: Header=BB249_6 Depth=1
	s_wait_loadcnt 0x0
	v_add_co_u32 v0, vcc_lo, v4, s14
	s_wait_alu 0xfffd
	v_add_co_ci_u32_e64 v1, null, s15, v5, vcc_lo
	s_delay_alu instid0(VALU_DEP_2) | instskip(SKIP_1) | instid1(VALU_DEP_2)
	v_add_co_u32 v0, vcc_lo, v0, v11
	s_wait_alu 0xfffd
	v_add_co_ci_u32_e64 v1, null, v1, v12, vcc_lo
	s_delay_alu instid0(VALU_DEP_2) | instskip(SKIP_1) | instid1(VALU_DEP_2)
	v_add_co_u32 v13, vcc_lo, v0, v9
	s_wait_alu 0xfffd
	v_add_co_ci_u32_e64 v14, null, v1, v10, vcc_lo
	s_and_not1_b32 vcc_lo, exec_lo, s36
	flat_load_b128 v[2:5], v[13:14]
	s_wait_loadcnt_dscnt 0x0
	v_mul_f64_e32 v[0:1], s[10:11], v[4:5]
	v_mul_f64_e32 v[4:5], s[8:9], v[4:5]
	s_delay_alu instid0(VALU_DEP_2) | instskip(NEXT) | instid1(VALU_DEP_2)
	v_fma_f64 v[0:1], s[8:9], v[2:3], -v[0:1]
	v_fma_f64 v[15:16], s[10:11], v[2:3], v[4:5]
	s_wait_alu 0xfffe
	s_cbranch_vccnz .LBB249_35
; %bb.23:                               ;   in Loop: Header=BB249_6 Depth=1
	s_add_nc_u64 s[2:3], s[28:29], s[34:35]
	s_mov_b64 s[18:19], 0
	s_wait_alu 0xfffe
	v_mad_co_u64_u32 v[2:3], null, s2, v7, 0
	s_delay_alu instid0(VALU_DEP_1) | instskip(SKIP_4) | instid1(VALU_DEP_2)
	v_mad_co_u64_u32 v[3:4], null, s3, v7, v[3:4]
	v_mad_co_u64_u32 v[4:5], null, v24, s34, v[17:18]
	s_lshl_b64 s[2:3], s[28:29], 4
	v_lshlrev_b64_e32 v[2:3], 4, v[2:3]
	v_mad_co_u64_u32 v[27:28], null, v24, s35, v[5:6]
	v_add_co_u32 v19, vcc_lo, v17, v2
	s_wait_alu 0xfffd
	s_delay_alu instid0(VALU_DEP_3) | instskip(SKIP_2) | instid1(VALU_DEP_4)
	v_add_co_ci_u32_e64 v20, null, v18, v3, vcc_lo
	v_add_co_u32 v21, vcc_lo, v4, 8
	s_wait_alu 0xfffd
	v_add_co_ci_u32_e64 v22, null, 0, v27, vcc_lo
	s_branch .LBB249_25
.LBB249_24:                             ;   in Loop: Header=BB249_25 Depth=2
	s_or_b32 exec_lo, exec_lo, s41
	s_wait_alu 0xfffe
	v_add_co_u32 v21, vcc_lo, v21, s2
	s_wait_alu 0xfffd
	v_add_co_ci_u32_e64 v22, null, s3, v22, vcc_lo
	s_add_nc_u64 s[18:19], s[18:19], 1
	s_wait_alu 0xfffe
	s_cmp_eq_u64 s[30:31], s[18:19]
	s_cbranch_scc1 .LBB249_35
.LBB249_25:                             ;   Parent Loop BB249_6 Depth=1
                                        ; =>  This Inner Loop Header: Depth=2
	s_mov_b32 s41, exec_lo
	s_barrier_signal -1
	s_barrier_wait -1
	global_inv scope:SCOPE_SE
	v_cmpx_eq_u64_e64 s[18:19], v[7:8]
	s_cbranch_execz .LBB249_33
; %bb.26:                               ;   in Loop: Header=BB249_25 Depth=2
	flat_load_b128 v[2:5], v[19:20]
	s_and_not1_b32 vcc_lo, exec_lo, s33
	s_wait_alu 0xfffe
	s_cbranch_vccnz .LBB249_32
; %bb.27:                               ;   in Loop: Header=BB249_25 Depth=2
	s_wait_loadcnt_dscnt 0x0
	v_cmp_ngt_f64_e64 s42, |v[2:3]|, |v[4:5]|
	s_and_saveexec_b32 s43, s42
	s_delay_alu instid0(SALU_CYCLE_1)
	s_xor_b32 s42, exec_lo, s43
	s_cbranch_execz .LBB249_29
; %bb.28:                               ;   in Loop: Header=BB249_25 Depth=2
	v_div_scale_f64 v[27:28], null, v[4:5], v[4:5], v[2:3]
	v_div_scale_f64 v[33:34], vcc_lo, v[2:3], v[4:5], v[2:3]
	s_delay_alu instid0(VALU_DEP_2) | instskip(NEXT) | instid1(TRANS32_DEP_1)
	v_rcp_f64_e32 v[29:30], v[27:28]
	v_fma_f64 v[31:32], -v[27:28], v[29:30], 1.0
	s_delay_alu instid0(VALU_DEP_1) | instskip(NEXT) | instid1(VALU_DEP_1)
	v_fma_f64 v[29:30], v[29:30], v[31:32], v[29:30]
	v_fma_f64 v[31:32], -v[27:28], v[29:30], 1.0
	s_delay_alu instid0(VALU_DEP_1) | instskip(NEXT) | instid1(VALU_DEP_1)
	v_fma_f64 v[29:30], v[29:30], v[31:32], v[29:30]
	v_mul_f64_e32 v[31:32], v[33:34], v[29:30]
	s_delay_alu instid0(VALU_DEP_1) | instskip(SKIP_1) | instid1(VALU_DEP_1)
	v_fma_f64 v[27:28], -v[27:28], v[31:32], v[33:34]
	s_wait_alu 0xfffd
	v_div_fmas_f64 v[27:28], v[27:28], v[29:30], v[31:32]
	s_delay_alu instid0(VALU_DEP_1) | instskip(NEXT) | instid1(VALU_DEP_1)
	v_div_fixup_f64 v[27:28], v[27:28], v[4:5], v[2:3]
	v_fma_f64 v[2:3], v[2:3], v[27:28], v[4:5]
	s_delay_alu instid0(VALU_DEP_1) | instskip(NEXT) | instid1(VALU_DEP_1)
	v_div_scale_f64 v[4:5], null, v[2:3], v[2:3], 1.0
	v_rcp_f64_e32 v[29:30], v[4:5]
	s_delay_alu instid0(TRANS32_DEP_1) | instskip(NEXT) | instid1(VALU_DEP_1)
	v_fma_f64 v[31:32], -v[4:5], v[29:30], 1.0
	v_fma_f64 v[29:30], v[29:30], v[31:32], v[29:30]
	s_delay_alu instid0(VALU_DEP_1) | instskip(NEXT) | instid1(VALU_DEP_1)
	v_fma_f64 v[31:32], -v[4:5], v[29:30], 1.0
	v_fma_f64 v[29:30], v[29:30], v[31:32], v[29:30]
	v_div_scale_f64 v[31:32], vcc_lo, 1.0, v[2:3], 1.0
	s_delay_alu instid0(VALU_DEP_1) | instskip(NEXT) | instid1(VALU_DEP_1)
	v_mul_f64_e32 v[33:34], v[31:32], v[29:30]
	v_fma_f64 v[4:5], -v[4:5], v[33:34], v[31:32]
	s_wait_alu 0xfffd
	s_delay_alu instid0(VALU_DEP_1) | instskip(NEXT) | instid1(VALU_DEP_1)
	v_div_fmas_f64 v[4:5], v[4:5], v[29:30], v[33:34]
	v_div_fixup_f64 v[4:5], v[4:5], v[2:3], 1.0
	s_delay_alu instid0(VALU_DEP_1)
	v_mul_f64_e32 v[2:3], v[27:28], v[4:5]
	v_xor_b32_e32 v5, 0x80000000, v5
.LBB249_29:                             ;   in Loop: Header=BB249_25 Depth=2
	s_and_not1_saveexec_b32 s42, s42
	s_cbranch_execz .LBB249_31
; %bb.30:                               ;   in Loop: Header=BB249_25 Depth=2
	s_delay_alu instid0(VALU_DEP_1) | instskip(SKIP_1) | instid1(VALU_DEP_2)
	v_div_scale_f64 v[27:28], null, v[2:3], v[2:3], v[4:5]
	v_div_scale_f64 v[33:34], vcc_lo, v[4:5], v[2:3], v[4:5]
	v_rcp_f64_e32 v[29:30], v[27:28]
	s_delay_alu instid0(TRANS32_DEP_1) | instskip(NEXT) | instid1(VALU_DEP_1)
	v_fma_f64 v[31:32], -v[27:28], v[29:30], 1.0
	v_fma_f64 v[29:30], v[29:30], v[31:32], v[29:30]
	s_delay_alu instid0(VALU_DEP_1) | instskip(NEXT) | instid1(VALU_DEP_1)
	v_fma_f64 v[31:32], -v[27:28], v[29:30], 1.0
	v_fma_f64 v[29:30], v[29:30], v[31:32], v[29:30]
	s_delay_alu instid0(VALU_DEP_1) | instskip(NEXT) | instid1(VALU_DEP_1)
	v_mul_f64_e32 v[31:32], v[33:34], v[29:30]
	v_fma_f64 v[27:28], -v[27:28], v[31:32], v[33:34]
	s_wait_alu 0xfffd
	s_delay_alu instid0(VALU_DEP_1) | instskip(NEXT) | instid1(VALU_DEP_1)
	v_div_fmas_f64 v[27:28], v[27:28], v[29:30], v[31:32]
	v_div_fixup_f64 v[27:28], v[27:28], v[2:3], v[4:5]
	s_delay_alu instid0(VALU_DEP_1) | instskip(NEXT) | instid1(VALU_DEP_1)
	v_fma_f64 v[2:3], v[4:5], v[27:28], v[2:3]
	v_div_scale_f64 v[4:5], null, v[2:3], v[2:3], 1.0
	s_delay_alu instid0(VALU_DEP_1) | instskip(NEXT) | instid1(TRANS32_DEP_1)
	v_rcp_f64_e32 v[29:30], v[4:5]
	v_fma_f64 v[31:32], -v[4:5], v[29:30], 1.0
	s_delay_alu instid0(VALU_DEP_1) | instskip(NEXT) | instid1(VALU_DEP_1)
	v_fma_f64 v[29:30], v[29:30], v[31:32], v[29:30]
	v_fma_f64 v[31:32], -v[4:5], v[29:30], 1.0
	s_delay_alu instid0(VALU_DEP_1) | instskip(SKIP_1) | instid1(VALU_DEP_1)
	v_fma_f64 v[29:30], v[29:30], v[31:32], v[29:30]
	v_div_scale_f64 v[31:32], vcc_lo, 1.0, v[2:3], 1.0
	v_mul_f64_e32 v[33:34], v[31:32], v[29:30]
	s_delay_alu instid0(VALU_DEP_1) | instskip(SKIP_1) | instid1(VALU_DEP_1)
	v_fma_f64 v[4:5], -v[4:5], v[33:34], v[31:32]
	s_wait_alu 0xfffd
	v_div_fmas_f64 v[4:5], v[4:5], v[29:30], v[33:34]
	s_delay_alu instid0(VALU_DEP_1) | instskip(NEXT) | instid1(VALU_DEP_1)
	v_div_fixup_f64 v[2:3], v[4:5], v[2:3], 1.0
	v_mul_f64_e64 v[4:5], v[27:28], -v[2:3]
.LBB249_31:                             ;   in Loop: Header=BB249_25 Depth=2
	s_or_b32 exec_lo, exec_lo, s42
.LBB249_32:                             ;   in Loop: Header=BB249_25 Depth=2
	s_wait_loadcnt_dscnt 0x0
	s_delay_alu instid0(VALU_DEP_1) | instskip(SKIP_1) | instid1(VALU_DEP_2)
	v_mul_f64_e32 v[27:28], v[15:16], v[4:5]
	v_mul_f64_e32 v[4:5], v[0:1], v[4:5]
	v_fma_f64 v[27:28], v[0:1], v[2:3], -v[27:28]
	s_delay_alu instid0(VALU_DEP_2) | instskip(NEXT) | instid1(VALU_DEP_2)
	v_fma_f64 v[15:16], v[15:16], v[2:3], v[4:5]
	v_dual_mov_b32 v0, v27 :: v_dual_mov_b32 v1, v28
	ds_store_2addr_b64 v25, v[27:28], v[15:16] offset1:1
.LBB249_33:                             ;   in Loop: Header=BB249_25 Depth=2
	s_or_b32 exec_lo, exec_lo, s41
	s_delay_alu instid0(SALU_CYCLE_1)
	s_mov_b32 s41, exec_lo
	s_wait_loadcnt_dscnt 0x0
	s_barrier_signal -1
	s_barrier_wait -1
	global_inv scope:SCOPE_SE
	v_cmpx_lt_u64_e64 s[18:19], v[7:8]
	s_cbranch_execz .LBB249_24
; %bb.34:                               ;   in Loop: Header=BB249_25 Depth=2
	flat_load_b128 v[2:5], v[21:22] offset:-8
	ds_load_2addr_b64 v[27:30], v25 offset1:1
	s_wait_loadcnt_dscnt 0x1
	v_xor_b32_e32 v31, 0x80000000, v5
	s_delay_alu instid0(VALU_DEP_1) | instskip(SKIP_1) | instid1(VALU_DEP_1)
	v_cndmask_b32_e64 v5, v5, v31, s0
	s_wait_dscnt 0x0
	v_mul_f64_e32 v[31:32], v[4:5], v[29:30]
	v_mul_f64_e32 v[29:30], v[2:3], v[29:30]
	s_delay_alu instid0(VALU_DEP_2) | instskip(NEXT) | instid1(VALU_DEP_2)
	v_fma_f64 v[2:3], v[2:3], v[27:28], -v[31:32]
	v_fma_f64 v[4:5], v[4:5], v[27:28], v[29:30]
	s_delay_alu instid0(VALU_DEP_2) | instskip(NEXT) | instid1(VALU_DEP_2)
	v_add_f64_e64 v[0:1], v[0:1], -v[2:3]
	v_add_f64_e64 v[15:16], v[15:16], -v[4:5]
	s_branch .LBB249_24
.LBB249_35:                             ;   in Loop: Header=BB249_6 Depth=1
	s_and_saveexec_b32 s2, s1
	s_cbranch_execz .LBB249_4
; %bb.36:                               ;   in Loop: Header=BB249_6 Depth=1
	s_add_nc_u64 s[18:19], s[28:29], s[34:35]
	s_wait_alu 0xfffe
	v_mad_co_u64_u32 v[2:3], null, s18, v7, 0
	s_delay_alu instid0(VALU_DEP_1) | instskip(NEXT) | instid1(VALU_DEP_1)
	v_mad_co_u64_u32 v[3:4], null, s19, v7, v[3:4]
	v_lshlrev_b64_e32 v[2:3], 4, v[2:3]
	s_delay_alu instid0(VALU_DEP_1) | instskip(SKIP_1) | instid1(VALU_DEP_2)
	v_add_co_u32 v2, vcc_lo, v17, v2
	s_wait_alu 0xfffd
	v_add_co_ci_u32_e64 v3, null, v18, v3, vcc_lo
	s_and_not1_b32 vcc_lo, exec_lo, s33
	flat_load_b128 v[2:5], v[2:3]
	s_wait_alu 0xfffe
	s_cbranch_vccnz .LBB249_3
; %bb.37:                               ;   in Loop: Header=BB249_6 Depth=1
	s_wait_loadcnt_dscnt 0x0
	v_cmp_ngt_f64_e64 s3, |v[2:3]|, |v[4:5]|
	s_and_saveexec_b32 s18, s3
	s_wait_alu 0xfffe
	s_xor_b32 s3, exec_lo, s18
	s_cbranch_execz .LBB249_39
; %bb.38:                               ;   in Loop: Header=BB249_6 Depth=1
	v_div_scale_f64 v[17:18], null, v[4:5], v[4:5], v[2:3]
	v_div_scale_f64 v[27:28], vcc_lo, v[2:3], v[4:5], v[2:3]
	s_delay_alu instid0(VALU_DEP_2) | instskip(NEXT) | instid1(TRANS32_DEP_1)
	v_rcp_f64_e32 v[19:20], v[17:18]
	v_fma_f64 v[21:22], -v[17:18], v[19:20], 1.0
	s_delay_alu instid0(VALU_DEP_1) | instskip(NEXT) | instid1(VALU_DEP_1)
	v_fma_f64 v[19:20], v[19:20], v[21:22], v[19:20]
	v_fma_f64 v[21:22], -v[17:18], v[19:20], 1.0
	s_delay_alu instid0(VALU_DEP_1) | instskip(NEXT) | instid1(VALU_DEP_1)
	v_fma_f64 v[19:20], v[19:20], v[21:22], v[19:20]
	v_mul_f64_e32 v[21:22], v[27:28], v[19:20]
	s_delay_alu instid0(VALU_DEP_1) | instskip(SKIP_1) | instid1(VALU_DEP_1)
	v_fma_f64 v[17:18], -v[17:18], v[21:22], v[27:28]
	s_wait_alu 0xfffd
	v_div_fmas_f64 v[17:18], v[17:18], v[19:20], v[21:22]
	s_delay_alu instid0(VALU_DEP_1) | instskip(NEXT) | instid1(VALU_DEP_1)
	v_div_fixup_f64 v[17:18], v[17:18], v[4:5], v[2:3]
	v_fma_f64 v[2:3], v[2:3], v[17:18], v[4:5]
	s_delay_alu instid0(VALU_DEP_1) | instskip(NEXT) | instid1(VALU_DEP_1)
	v_div_scale_f64 v[4:5], null, v[2:3], v[2:3], 1.0
	v_rcp_f64_e32 v[19:20], v[4:5]
	s_delay_alu instid0(TRANS32_DEP_1) | instskip(NEXT) | instid1(VALU_DEP_1)
	v_fma_f64 v[21:22], -v[4:5], v[19:20], 1.0
	v_fma_f64 v[19:20], v[19:20], v[21:22], v[19:20]
	s_delay_alu instid0(VALU_DEP_1) | instskip(NEXT) | instid1(VALU_DEP_1)
	v_fma_f64 v[21:22], -v[4:5], v[19:20], 1.0
	v_fma_f64 v[19:20], v[19:20], v[21:22], v[19:20]
	v_div_scale_f64 v[21:22], vcc_lo, 1.0, v[2:3], 1.0
	s_delay_alu instid0(VALU_DEP_1) | instskip(NEXT) | instid1(VALU_DEP_1)
	v_mul_f64_e32 v[27:28], v[21:22], v[19:20]
	v_fma_f64 v[4:5], -v[4:5], v[27:28], v[21:22]
	s_wait_alu 0xfffd
	s_delay_alu instid0(VALU_DEP_1) | instskip(NEXT) | instid1(VALU_DEP_1)
	v_div_fmas_f64 v[4:5], v[4:5], v[19:20], v[27:28]
	v_div_fixup_f64 v[4:5], v[4:5], v[2:3], 1.0
	s_delay_alu instid0(VALU_DEP_1)
	v_mul_f64_e32 v[2:3], v[17:18], v[4:5]
	v_xor_b32_e32 v5, 0x80000000, v5
.LBB249_39:                             ;   in Loop: Header=BB249_6 Depth=1
	s_wait_alu 0xfffe
	s_and_not1_saveexec_b32 s3, s3
	s_cbranch_execz .LBB249_2
; %bb.40:                               ;   in Loop: Header=BB249_6 Depth=1
	s_delay_alu instid0(VALU_DEP_1) | instskip(SKIP_1) | instid1(VALU_DEP_2)
	v_div_scale_f64 v[17:18], null, v[2:3], v[2:3], v[4:5]
	v_div_scale_f64 v[27:28], vcc_lo, v[4:5], v[2:3], v[4:5]
	v_rcp_f64_e32 v[19:20], v[17:18]
	s_delay_alu instid0(TRANS32_DEP_1) | instskip(NEXT) | instid1(VALU_DEP_1)
	v_fma_f64 v[21:22], -v[17:18], v[19:20], 1.0
	v_fma_f64 v[19:20], v[19:20], v[21:22], v[19:20]
	s_delay_alu instid0(VALU_DEP_1) | instskip(NEXT) | instid1(VALU_DEP_1)
	v_fma_f64 v[21:22], -v[17:18], v[19:20], 1.0
	v_fma_f64 v[19:20], v[19:20], v[21:22], v[19:20]
	s_delay_alu instid0(VALU_DEP_1) | instskip(NEXT) | instid1(VALU_DEP_1)
	v_mul_f64_e32 v[21:22], v[27:28], v[19:20]
	v_fma_f64 v[17:18], -v[17:18], v[21:22], v[27:28]
	s_wait_alu 0xfffd
	s_delay_alu instid0(VALU_DEP_1) | instskip(NEXT) | instid1(VALU_DEP_1)
	v_div_fmas_f64 v[17:18], v[17:18], v[19:20], v[21:22]
	v_div_fixup_f64 v[17:18], v[17:18], v[2:3], v[4:5]
	s_delay_alu instid0(VALU_DEP_1) | instskip(NEXT) | instid1(VALU_DEP_1)
	v_fma_f64 v[2:3], v[4:5], v[17:18], v[2:3]
	v_div_scale_f64 v[4:5], null, v[2:3], v[2:3], 1.0
	s_delay_alu instid0(VALU_DEP_1) | instskip(NEXT) | instid1(TRANS32_DEP_1)
	v_rcp_f64_e32 v[19:20], v[4:5]
	v_fma_f64 v[21:22], -v[4:5], v[19:20], 1.0
	s_delay_alu instid0(VALU_DEP_1) | instskip(NEXT) | instid1(VALU_DEP_1)
	v_fma_f64 v[19:20], v[19:20], v[21:22], v[19:20]
	v_fma_f64 v[21:22], -v[4:5], v[19:20], 1.0
	s_delay_alu instid0(VALU_DEP_1) | instskip(SKIP_1) | instid1(VALU_DEP_1)
	v_fma_f64 v[19:20], v[19:20], v[21:22], v[19:20]
	v_div_scale_f64 v[21:22], vcc_lo, 1.0, v[2:3], 1.0
	v_mul_f64_e32 v[27:28], v[21:22], v[19:20]
	s_delay_alu instid0(VALU_DEP_1) | instskip(SKIP_1) | instid1(VALU_DEP_1)
	v_fma_f64 v[4:5], -v[4:5], v[27:28], v[21:22]
	s_wait_alu 0xfffd
	v_div_fmas_f64 v[4:5], v[4:5], v[19:20], v[27:28]
	s_delay_alu instid0(VALU_DEP_1) | instskip(NEXT) | instid1(VALU_DEP_1)
	v_div_fixup_f64 v[2:3], v[4:5], v[2:3], 1.0
	v_mul_f64_e64 v[4:5], v[17:18], -v[2:3]
	s_branch .LBB249_2
.LBB249_41:
	s_endpgm
	.section	.rodata,"a",@progbits
	.p2align	6, 0x0
	.amdhsa_kernel _ZL39rocblas_trsm_block_forward_substitutionI19rocblas_complex_numIdES1_PKPKS1_PKPS1_Lb1ELb1ELb0EEv18rocblas_operation_llT0_T1_lllT2_lllib
		.amdhsa_group_segment_fixed_size 0
		.amdhsa_private_segment_fixed_size 0
		.amdhsa_kernarg_size 368
		.amdhsa_user_sgpr_count 2
		.amdhsa_user_sgpr_dispatch_ptr 0
		.amdhsa_user_sgpr_queue_ptr 0
		.amdhsa_user_sgpr_kernarg_segment_ptr 1
		.amdhsa_user_sgpr_dispatch_id 0
		.amdhsa_user_sgpr_private_segment_size 0
		.amdhsa_wavefront_size32 1
		.amdhsa_uses_dynamic_stack 0
		.amdhsa_enable_private_segment 0
		.amdhsa_system_sgpr_workgroup_id_x 1
		.amdhsa_system_sgpr_workgroup_id_y 1
		.amdhsa_system_sgpr_workgroup_id_z 1
		.amdhsa_system_sgpr_workgroup_info 0
		.amdhsa_system_vgpr_workitem_id 1
		.amdhsa_next_free_vgpr 35
		.amdhsa_next_free_sgpr 44
		.amdhsa_reserve_vcc 1
		.amdhsa_float_round_mode_32 0
		.amdhsa_float_round_mode_16_64 0
		.amdhsa_float_denorm_mode_32 3
		.amdhsa_float_denorm_mode_16_64 3
		.amdhsa_fp16_overflow 0
		.amdhsa_workgroup_processor_mode 1
		.amdhsa_memory_ordered 1
		.amdhsa_forward_progress 1
		.amdhsa_inst_pref_size 25
		.amdhsa_round_robin_scheduling 0
		.amdhsa_exception_fp_ieee_invalid_op 0
		.amdhsa_exception_fp_denorm_src 0
		.amdhsa_exception_fp_ieee_div_zero 0
		.amdhsa_exception_fp_ieee_overflow 0
		.amdhsa_exception_fp_ieee_underflow 0
		.amdhsa_exception_fp_ieee_inexact 0
		.amdhsa_exception_int_div_zero 0
	.end_amdhsa_kernel
	.section	.text._ZL39rocblas_trsm_block_forward_substitutionI19rocblas_complex_numIdES1_PKPKS1_PKPS1_Lb1ELb1ELb0EEv18rocblas_operation_llT0_T1_lllT2_lllib,"axG",@progbits,_ZL39rocblas_trsm_block_forward_substitutionI19rocblas_complex_numIdES1_PKPKS1_PKPS1_Lb1ELb1ELb0EEv18rocblas_operation_llT0_T1_lllT2_lllib,comdat
.Lfunc_end249:
	.size	_ZL39rocblas_trsm_block_forward_substitutionI19rocblas_complex_numIdES1_PKPKS1_PKPS1_Lb1ELb1ELb0EEv18rocblas_operation_llT0_T1_lllT2_lllib, .Lfunc_end249-_ZL39rocblas_trsm_block_forward_substitutionI19rocblas_complex_numIdES1_PKPKS1_PKPS1_Lb1ELb1ELb0EEv18rocblas_operation_llT0_T1_lllT2_lllib
                                        ; -- End function
	.set _ZL39rocblas_trsm_block_forward_substitutionI19rocblas_complex_numIdES1_PKPKS1_PKPS1_Lb1ELb1ELb0EEv18rocblas_operation_llT0_T1_lllT2_lllib.num_vgpr, 35
	.set _ZL39rocblas_trsm_block_forward_substitutionI19rocblas_complex_numIdES1_PKPKS1_PKPS1_Lb1ELb1ELb0EEv18rocblas_operation_llT0_T1_lllT2_lllib.num_agpr, 0
	.set _ZL39rocblas_trsm_block_forward_substitutionI19rocblas_complex_numIdES1_PKPKS1_PKPS1_Lb1ELb1ELb0EEv18rocblas_operation_llT0_T1_lllT2_lllib.numbered_sgpr, 44
	.set _ZL39rocblas_trsm_block_forward_substitutionI19rocblas_complex_numIdES1_PKPKS1_PKPS1_Lb1ELb1ELb0EEv18rocblas_operation_llT0_T1_lllT2_lllib.num_named_barrier, 0
	.set _ZL39rocblas_trsm_block_forward_substitutionI19rocblas_complex_numIdES1_PKPKS1_PKPS1_Lb1ELb1ELb0EEv18rocblas_operation_llT0_T1_lllT2_lllib.private_seg_size, 0
	.set _ZL39rocblas_trsm_block_forward_substitutionI19rocblas_complex_numIdES1_PKPKS1_PKPS1_Lb1ELb1ELb0EEv18rocblas_operation_llT0_T1_lllT2_lllib.uses_vcc, 1
	.set _ZL39rocblas_trsm_block_forward_substitutionI19rocblas_complex_numIdES1_PKPKS1_PKPS1_Lb1ELb1ELb0EEv18rocblas_operation_llT0_T1_lllT2_lllib.uses_flat_scratch, 0
	.set _ZL39rocblas_trsm_block_forward_substitutionI19rocblas_complex_numIdES1_PKPKS1_PKPS1_Lb1ELb1ELb0EEv18rocblas_operation_llT0_T1_lllT2_lllib.has_dyn_sized_stack, 0
	.set _ZL39rocblas_trsm_block_forward_substitutionI19rocblas_complex_numIdES1_PKPKS1_PKPS1_Lb1ELb1ELb0EEv18rocblas_operation_llT0_T1_lllT2_lllib.has_recursion, 0
	.set _ZL39rocblas_trsm_block_forward_substitutionI19rocblas_complex_numIdES1_PKPKS1_PKPS1_Lb1ELb1ELb0EEv18rocblas_operation_llT0_T1_lllT2_lllib.has_indirect_call, 0
	.section	.AMDGPU.csdata,"",@progbits
; Kernel info:
; codeLenInByte = 3124
; TotalNumSgprs: 46
; NumVgprs: 35
; ScratchSize: 0
; MemoryBound: 1
; FloatMode: 240
; IeeeMode: 1
; LDSByteSize: 0 bytes/workgroup (compile time only)
; SGPRBlocks: 0
; VGPRBlocks: 4
; NumSGPRsForWavesPerEU: 46
; NumVGPRsForWavesPerEU: 35
; Occupancy: 16
; WaveLimiterHint : 1
; COMPUTE_PGM_RSRC2:SCRATCH_EN: 0
; COMPUTE_PGM_RSRC2:USER_SGPR: 2
; COMPUTE_PGM_RSRC2:TRAP_HANDLER: 0
; COMPUTE_PGM_RSRC2:TGID_X_EN: 1
; COMPUTE_PGM_RSRC2:TGID_Y_EN: 1
; COMPUTE_PGM_RSRC2:TGID_Z_EN: 1
; COMPUTE_PGM_RSRC2:TIDIG_COMP_CNT: 1
	.section	.text._ZL40rocblas_trsm_block_backward_substitutionI19rocblas_complex_numIdES1_PKPKS1_PKPS1_Lb1ELb1ELb0EEv18rocblas_operation_llT0_T1_lllT2_lllib,"axG",@progbits,_ZL40rocblas_trsm_block_backward_substitutionI19rocblas_complex_numIdES1_PKPKS1_PKPS1_Lb1ELb1ELb0EEv18rocblas_operation_llT0_T1_lllT2_lllib,comdat
	.globl	_ZL40rocblas_trsm_block_backward_substitutionI19rocblas_complex_numIdES1_PKPKS1_PKPS1_Lb1ELb1ELb0EEv18rocblas_operation_llT0_T1_lllT2_lllib ; -- Begin function _ZL40rocblas_trsm_block_backward_substitutionI19rocblas_complex_numIdES1_PKPKS1_PKPS1_Lb1ELb1ELb0EEv18rocblas_operation_llT0_T1_lllT2_lllib
	.p2align	8
	.type	_ZL40rocblas_trsm_block_backward_substitutionI19rocblas_complex_numIdES1_PKPKS1_PKPS1_Lb1ELb1ELb0EEv18rocblas_operation_llT0_T1_lllT2_lllib,@function
_ZL40rocblas_trsm_block_backward_substitutionI19rocblas_complex_numIdES1_PKPKS1_PKPS1_Lb1ELb1ELb0EEv18rocblas_operation_llT0_T1_lllT2_lllib: ; @_ZL40rocblas_trsm_block_backward_substitutionI19rocblas_complex_numIdES1_PKPKS1_PKPS1_Lb1ELb1ELb0EEv18rocblas_operation_llT0_T1_lllT2_lllib
; %bb.0:
	s_load_b64 s[20:21], s[0:1], 0x68
	s_lshr_b32 s22, ttmp7, 16
	s_wait_kmcnt 0x0
	s_cmp_ge_u32 s22, s20
	s_cbranch_scc1 .LBB250_42
; %bb.1:
	s_clause 0x6
	s_load_b32 s23, s[0:1], 0x0
	s_load_u16 s33, s[0:1], 0x7e
	s_load_b128 s[12:15], s[0:1], 0x28
	s_load_b64 s[24:25], s[0:1], 0x38
	s_load_b256 s[4:11], s[0:1], 0x8
	s_load_b64 s[2:3], s[0:1], 0x58
	s_load_b128 s[16:19], s[0:1], 0x48
	s_bitcmp1_b32 s21, 0
	v_bfe_u32 v6, v0, 10, 10
	s_cselect_b32 s21, -1, 0
	s_add_nc_u64 s[26:27], s[0:1], 0x70
	v_cndmask_b32_e64 v23, 0, 1, s21
	s_xor_b32 s21, s21, -1
	s_mov_b64 s[28:29], src_shared_base
	v_lshl_add_u32 v24, v6, 4, 0
	v_mov_b32_e32 v8, 0
	s_wait_kmcnt 0x0
	s_cmp_eq_u32 s23, 0x71
	s_mov_b32 s23, 0
	s_cselect_b32 s0, -1, 0
	s_and_b32 s1, ttmp7, 0xffff
	v_cmp_gt_i64_e64 s41, s[4:5], 1
	v_mad_co_u64_u32 v[1:2], null, s1, s33, v[6:7]
	v_and_b32_e32 v7, 0x3ff, v0
	v_cmp_gt_i64_e64 s43, s[4:5], 0
	v_mov_b32_e32 v2, v8
	s_lshl_b64 s[14:15], s[14:15], 4
	s_lshl_b64 s[18:19], s[18:19], 4
	v_mad_co_u64_u32 v[3:4], null, s24, v7, 0
	v_mad_co_u64_u32 v[11:12], null, s2, v1, 0
	v_lshlrev_b32_e32 v5, 4, v7
	v_cmp_gt_i64_e32 vcc_lo, s[6:7], v[1:2]
	v_cmp_le_i64_e64 s40, s[4:5], v[7:8]
	v_cmp_gt_i64_e64 s2, s[4:5], v[7:8]
	v_dual_mov_b32 v0, v4 :: v_dual_lshlrev_b32 v27, 4, v7
	v_mov_b32_e32 v4, v12
	v_cmp_eq_u32_e64 s1, 0, v7
	v_or_b32_e32 v26, 8, v5
	s_delay_alu instid0(VALU_DEP_4) | instskip(NEXT) | instid1(VALU_DEP_4)
	v_mad_co_u64_u32 v[9:10], null, s25, v7, v[0:1]
	v_mad_co_u64_u32 v[0:1], null, s3, v1, v[4:5]
	s_lshl_b32 s3, s33, 4
	s_add_nc_u64 s[6:7], s[4:5], -1
	s_wait_alu 0xfffe
	s_add_co_i32 s28, s3, 0
	s_and_b32 s42, vcc_lo, s2
	v_dual_mov_b32 v4, v9 :: v_dual_add_nc_u32 v25, s28, v5
	v_mov_b32_e32 v12, v0
	s_lshl_b64 s[30:31], s[6:7], 4
	s_xor_b32 s44, s40, -1
	s_delay_alu instid0(VALU_DEP_2) | instskip(NEXT) | instid1(VALU_DEP_2)
	v_lshlrev_b64_e32 v[9:10], 4, v[3:4]
	v_lshlrev_b64_e32 v[11:12], 4, v[11:12]
	s_branch .LBB250_6
.LBB250_2:                              ;   in Loop: Header=BB250_6 Depth=1
	s_wait_alu 0xfffe
	s_or_b32 exec_lo, exec_lo, s34
.LBB250_3:                              ;   in Loop: Header=BB250_6 Depth=1
	s_wait_loadcnt_dscnt 0x0
	s_delay_alu instid0(VALU_DEP_1) | instskip(NEXT) | instid1(VALU_DEP_3)
	v_mul_f64_e32 v[17:18], v[15:16], v[4:5]
	v_mul_f64_e32 v[15:16], v[15:16], v[2:3]
	s_delay_alu instid0(VALU_DEP_2) | instskip(NEXT) | instid1(VALU_DEP_2)
	v_fma_f64 v[2:3], v[0:1], v[2:3], -v[17:18]
	v_fma_f64 v[15:16], v[0:1], v[4:5], v[15:16]
	s_delay_alu instid0(VALU_DEP_2)
	v_dual_mov_b32 v0, v2 :: v_dual_mov_b32 v1, v3
.LBB250_4:                              ;   in Loop: Header=BB250_6 Depth=1
	s_wait_alu 0xfffe
	s_or_b32 exec_lo, exec_lo, s36
	s_delay_alu instid0(VALU_DEP_1)
	v_dual_mov_b32 v2, v15 :: v_dual_mov_b32 v3, v16
	flat_store_b128 v[13:14], v[0:3]
.LBB250_5:                              ;   in Loop: Header=BB250_6 Depth=1
	s_wait_alu 0xfffe
	s_or_b32 exec_lo, exec_lo, s3
	s_add_co_i32 s22, s22, 0x10000
	s_delay_alu instid0(SALU_CYCLE_1)
	s_cmp_lt_u32 s22, s20
	s_cbranch_scc0 .LBB250_42
.LBB250_6:                              ; =>This Loop Header: Depth=1
                                        ;     Child Loop BB250_12 Depth 2
                                        ;     Child Loop BB250_26 Depth 2
	s_lshl_b64 s[34:35], s[22:23], 3
	v_cmp_ne_u32_e32 vcc_lo, 1, v23
	s_wait_alu 0xfffe
	s_add_nc_u64 s[36:37], s[12:13], s[34:35]
	s_add_nc_u64 s[34:35], s[16:17], s[34:35]
	global_load_b64 v[0:1], v8, s[36:37]
	s_wait_loadcnt 0x1
	global_load_b64 v[4:5], v8, s[34:35]
	s_and_b32 vcc_lo, exec_lo, vcc_lo
	s_mov_b64 s[34:35], s[24:25]
	s_wait_loadcnt 0x1
	v_add_co_u32 v17, s3, v0, s14
	s_wait_alu 0xf1ff
	v_add_co_ci_u32_e64 v18, null, s15, v1, s3
	s_wait_alu 0xfffe
	s_cbranch_vccz .LBB250_8
; %bb.7:                                ;   in Loop: Header=BB250_6 Depth=1
	s_and_saveexec_b32 s3, s42
	s_cbranch_execz .LBB250_5
	s_branch .LBB250_23
.LBB250_8:                              ;   in Loop: Header=BB250_6 Depth=1
	s_and_not1_b32 vcc_lo, exec_lo, s43
	s_wait_alu 0xfffe
	s_cbranch_vccnz .LBB250_22
; %bb.9:                                ;   in Loop: Header=BB250_6 Depth=1
	v_add_co_u32 v20, vcc_lo, v17, v27
	s_wait_alu 0xfffd
	v_add_co_ci_u32_e64 v21, null, 0, v18, vcc_lo
	v_mov_b32_e32 v15, v6
	s_delay_alu instid0(VALU_DEP_3) | instskip(SKIP_1) | instid1(VALU_DEP_3)
	v_add_co_u32 v13, vcc_lo, v20, v9
	s_wait_alu 0xfffd
	v_add_co_ci_u32_e64 v14, null, v21, v10, vcc_lo
	s_mov_b32 s34, s33
	s_branch .LBB250_12
.LBB250_10:                             ;   in Loop: Header=BB250_12 Depth=2
	s_wait_alu 0xfffe
	s_or_b32 exec_lo, exec_lo, s35
	s_load_b32 s35, s[26:27], 0xc
	s_wait_kmcnt 0x0
	s_and_b32 s35, s35, 0xffff
	s_wait_alu 0xfffe
	v_mul_u32_u24_e32 v0, s35, v7
	s_delay_alu instid0(VALU_DEP_1)
	v_lshl_add_u32 v0, v0, 4, v25
	ds_store_2addr_b64 v0, v[16:17], v[18:19] offset1:1
.LBB250_11:                             ;   in Loop: Header=BB250_12 Depth=2
	s_wait_alu 0xfffe
	s_or_b32 exec_lo, exec_lo, s3
	s_ashr_i32 s35, s34, 31
	v_add_nc_u32_e32 v15, s33, v15
	s_wait_alu 0xfffe
	v_cmp_le_i64_e64 s3, s[4:5], s[34:35]
	s_add_co_i32 s34, s34, s33
	s_and_b32 vcc_lo, exec_lo, s3
	s_wait_alu 0xfffe
	s_cbranch_vccnz .LBB250_22
.LBB250_12:                             ;   Parent Loop BB250_6 Depth=1
                                        ; =>  This Inner Loop Header: Depth=2
	s_mov_b32 s36, s40
	s_and_saveexec_b32 s35, s2
	s_cbranch_execz .LBB250_16
; %bb.13:                               ;   in Loop: Header=BB250_12 Depth=2
	v_ashrrev_i32_e32 v16, 31, v15
	v_cmp_lt_i32_e64 s3, v7, v15
	s_mov_b32 s36, -1
	v_cmp_gt_i64_e32 vcc_lo, s[4:5], v[15:16]
	s_and_b32 s37, s3, vcc_lo
	s_wait_alu 0xfffe
	s_and_saveexec_b32 s3, s37
	s_cbranch_execz .LBB250_15
; %bb.14:                               ;   in Loop: Header=BB250_12 Depth=2
	v_mul_lo_u32 v2, s25, v15
	v_mul_lo_u32 v3, s24, v16
	v_mad_co_u64_u32 v[0:1], null, s24, v15, 0
	s_load_b32 s36, s[26:27], 0xc
	v_add3_u32 v1, v1, v3, v2
	s_delay_alu instid0(VALU_DEP_1) | instskip(NEXT) | instid1(VALU_DEP_1)
	v_lshlrev_b64_e32 v[0:1], 4, v[0:1]
	v_add_co_u32 v0, vcc_lo, v20, v0
	s_wait_alu 0xfffd
	s_delay_alu instid0(VALU_DEP_2)
	v_add_co_ci_u32_e64 v1, null, v21, v1, vcc_lo
	s_wait_kmcnt 0x0
	s_and_b32 s36, s36, 0xffff
	s_wait_alu 0xfffe
	v_mul_lo_u32 v16, v15, s36
	flat_load_b128 v[0:3], v[0:1]
	s_xor_b32 s36, exec_lo, -1
	v_lshl_add_u32 v16, v16, 4, v25
	s_wait_loadcnt_dscnt 0x0
	ds_store_2addr_b64 v16, v[0:1], v[2:3] offset1:1
.LBB250_15:                             ;   in Loop: Header=BB250_12 Depth=2
	s_wait_alu 0xfffe
	s_or_b32 exec_lo, exec_lo, s3
	s_delay_alu instid0(SALU_CYCLE_1)
	s_and_not1_b32 s3, s40, exec_lo
	s_and_b32 s36, s36, exec_lo
	s_wait_alu 0xfffe
	s_or_b32 s36, s3, s36
.LBB250_16:                             ;   in Loop: Header=BB250_12 Depth=2
	s_wait_alu 0xfffe
	s_or_b32 exec_lo, exec_lo, s35
	s_and_saveexec_b32 s3, s36
	s_cbranch_execz .LBB250_11
; %bb.17:                               ;   in Loop: Header=BB250_12 Depth=2
	v_cmp_eq_u32_e32 vcc_lo, v7, v15
	s_and_b32 s35, s44, vcc_lo
	s_wait_alu 0xfffe
	s_and_b32 exec_lo, exec_lo, s35
	s_cbranch_execz .LBB250_11
; %bb.18:                               ;   in Loop: Header=BB250_12 Depth=2
	flat_load_b128 v[0:3], v[13:14]
                                        ; implicit-def: $vgpr16_vgpr17
	s_wait_loadcnt_dscnt 0x0
	v_cmp_ngt_f64_e64 s35, |v[0:1]|, |v[2:3]|
	s_and_saveexec_b32 s36, s35
	s_wait_alu 0xfffe
	s_xor_b32 s35, exec_lo, s36
                                        ; implicit-def: $vgpr18_vgpr19
	s_cbranch_execz .LBB250_20
; %bb.19:                               ;   in Loop: Header=BB250_12 Depth=2
	v_div_scale_f64 v[16:17], null, v[2:3], v[2:3], v[0:1]
	v_div_scale_f64 v[30:31], vcc_lo, v[0:1], v[2:3], v[0:1]
	s_delay_alu instid0(VALU_DEP_2) | instskip(NEXT) | instid1(TRANS32_DEP_1)
	v_rcp_f64_e32 v[18:19], v[16:17]
	v_fma_f64 v[28:29], -v[16:17], v[18:19], 1.0
	s_delay_alu instid0(VALU_DEP_1) | instskip(NEXT) | instid1(VALU_DEP_1)
	v_fma_f64 v[18:19], v[18:19], v[28:29], v[18:19]
	v_fma_f64 v[28:29], -v[16:17], v[18:19], 1.0
	s_delay_alu instid0(VALU_DEP_1) | instskip(NEXT) | instid1(VALU_DEP_1)
	v_fma_f64 v[18:19], v[18:19], v[28:29], v[18:19]
	v_mul_f64_e32 v[28:29], v[30:31], v[18:19]
	s_delay_alu instid0(VALU_DEP_1) | instskip(SKIP_1) | instid1(VALU_DEP_1)
	v_fma_f64 v[16:17], -v[16:17], v[28:29], v[30:31]
	s_wait_alu 0xfffd
	v_div_fmas_f64 v[16:17], v[16:17], v[18:19], v[28:29]
	s_delay_alu instid0(VALU_DEP_1) | instskip(NEXT) | instid1(VALU_DEP_1)
	v_div_fixup_f64 v[16:17], v[16:17], v[2:3], v[0:1]
	v_fma_f64 v[0:1], v[0:1], v[16:17], v[2:3]
	s_delay_alu instid0(VALU_DEP_1) | instskip(NEXT) | instid1(VALU_DEP_1)
	v_div_scale_f64 v[2:3], null, v[0:1], v[0:1], 1.0
	v_rcp_f64_e32 v[18:19], v[2:3]
	s_delay_alu instid0(TRANS32_DEP_1) | instskip(NEXT) | instid1(VALU_DEP_1)
	v_fma_f64 v[28:29], -v[2:3], v[18:19], 1.0
	v_fma_f64 v[18:19], v[18:19], v[28:29], v[18:19]
	s_delay_alu instid0(VALU_DEP_1) | instskip(NEXT) | instid1(VALU_DEP_1)
	v_fma_f64 v[28:29], -v[2:3], v[18:19], 1.0
	v_fma_f64 v[18:19], v[18:19], v[28:29], v[18:19]
	v_div_scale_f64 v[28:29], vcc_lo, 1.0, v[0:1], 1.0
	s_delay_alu instid0(VALU_DEP_1) | instskip(NEXT) | instid1(VALU_DEP_1)
	v_mul_f64_e32 v[30:31], v[28:29], v[18:19]
	v_fma_f64 v[2:3], -v[2:3], v[30:31], v[28:29]
	s_wait_alu 0xfffd
	s_delay_alu instid0(VALU_DEP_1) | instskip(NEXT) | instid1(VALU_DEP_1)
	v_div_fmas_f64 v[2:3], v[2:3], v[18:19], v[30:31]
	v_div_fixup_f64 v[18:19], v[2:3], v[0:1], 1.0
                                        ; implicit-def: $vgpr0_vgpr1
	s_delay_alu instid0(VALU_DEP_1)
	v_mul_f64_e32 v[16:17], v[16:17], v[18:19]
	v_xor_b32_e32 v19, 0x80000000, v19
.LBB250_20:                             ;   in Loop: Header=BB250_12 Depth=2
	s_wait_alu 0xfffe
	s_and_not1_saveexec_b32 s35, s35
	s_cbranch_execz .LBB250_10
; %bb.21:                               ;   in Loop: Header=BB250_12 Depth=2
	v_div_scale_f64 v[16:17], null, v[0:1], v[0:1], v[2:3]
	v_div_scale_f64 v[30:31], vcc_lo, v[2:3], v[0:1], v[2:3]
	s_delay_alu instid0(VALU_DEP_2) | instskip(NEXT) | instid1(TRANS32_DEP_1)
	v_rcp_f64_e32 v[18:19], v[16:17]
	v_fma_f64 v[28:29], -v[16:17], v[18:19], 1.0
	s_delay_alu instid0(VALU_DEP_1) | instskip(NEXT) | instid1(VALU_DEP_1)
	v_fma_f64 v[18:19], v[18:19], v[28:29], v[18:19]
	v_fma_f64 v[28:29], -v[16:17], v[18:19], 1.0
	s_delay_alu instid0(VALU_DEP_1) | instskip(NEXT) | instid1(VALU_DEP_1)
	v_fma_f64 v[18:19], v[18:19], v[28:29], v[18:19]
	v_mul_f64_e32 v[28:29], v[30:31], v[18:19]
	s_delay_alu instid0(VALU_DEP_1) | instskip(SKIP_1) | instid1(VALU_DEP_1)
	v_fma_f64 v[16:17], -v[16:17], v[28:29], v[30:31]
	s_wait_alu 0xfffd
	v_div_fmas_f64 v[16:17], v[16:17], v[18:19], v[28:29]
	s_delay_alu instid0(VALU_DEP_1) | instskip(NEXT) | instid1(VALU_DEP_1)
	v_div_fixup_f64 v[18:19], v[16:17], v[0:1], v[2:3]
	v_fma_f64 v[0:1], v[2:3], v[18:19], v[0:1]
	s_delay_alu instid0(VALU_DEP_1) | instskip(NEXT) | instid1(VALU_DEP_1)
	v_div_scale_f64 v[2:3], null, v[0:1], v[0:1], 1.0
	v_rcp_f64_e32 v[16:17], v[2:3]
	s_delay_alu instid0(TRANS32_DEP_1) | instskip(NEXT) | instid1(VALU_DEP_1)
	v_fma_f64 v[28:29], -v[2:3], v[16:17], 1.0
	v_fma_f64 v[16:17], v[16:17], v[28:29], v[16:17]
	s_delay_alu instid0(VALU_DEP_1) | instskip(NEXT) | instid1(VALU_DEP_1)
	v_fma_f64 v[28:29], -v[2:3], v[16:17], 1.0
	v_fma_f64 v[16:17], v[16:17], v[28:29], v[16:17]
	v_div_scale_f64 v[28:29], vcc_lo, 1.0, v[0:1], 1.0
	s_delay_alu instid0(VALU_DEP_1) | instskip(NEXT) | instid1(VALU_DEP_1)
	v_mul_f64_e32 v[30:31], v[28:29], v[16:17]
	v_fma_f64 v[2:3], -v[2:3], v[30:31], v[28:29]
	s_wait_alu 0xfffd
	s_delay_alu instid0(VALU_DEP_1) | instskip(NEXT) | instid1(VALU_DEP_1)
	v_div_fmas_f64 v[2:3], v[2:3], v[16:17], v[30:31]
	v_div_fixup_f64 v[16:17], v[2:3], v[0:1], 1.0
	s_delay_alu instid0(VALU_DEP_1)
	v_mul_f64_e64 v[18:19], v[18:19], -v[16:17]
	s_branch .LBB250_10
.LBB250_22:                             ;   in Loop: Header=BB250_6 Depth=1
	s_load_b32 s3, s[26:27], 0xc
	v_dual_mov_b32 v17, s28 :: v_dual_mov_b32 v18, s29
	s_mov_b32 s35, s23
	s_wait_kmcnt 0x0
	s_and_b32 s34, s3, 0xffff
	s_and_saveexec_b32 s3, s42
	s_cbranch_execz .LBB250_5
.LBB250_23:                             ;   in Loop: Header=BB250_6 Depth=1
	s_wait_loadcnt 0x0
	v_add_co_u32 v0, vcc_lo, v4, s18
	s_wait_alu 0xfffd
	v_add_co_ci_u32_e64 v1, null, s19, v5, vcc_lo
	s_delay_alu instid0(VALU_DEP_2) | instskip(SKIP_1) | instid1(VALU_DEP_2)
	v_add_co_u32 v0, vcc_lo, v0, v11
	s_wait_alu 0xfffd
	v_add_co_ci_u32_e64 v1, null, v1, v12, vcc_lo
	s_delay_alu instid0(VALU_DEP_2) | instskip(SKIP_1) | instid1(VALU_DEP_2)
	v_add_co_u32 v13, vcc_lo, v0, v27
	s_wait_alu 0xfffd
	v_add_co_ci_u32_e64 v14, null, 0, v1, vcc_lo
	s_and_not1_b32 vcc_lo, exec_lo, s41
	flat_load_b128 v[2:5], v[13:14]
	s_wait_loadcnt_dscnt 0x0
	v_mul_f64_e32 v[0:1], s[10:11], v[4:5]
	v_mul_f64_e32 v[4:5], s[8:9], v[4:5]
	s_delay_alu instid0(VALU_DEP_2) | instskip(NEXT) | instid1(VALU_DEP_2)
	v_fma_f64 v[0:1], s[8:9], v[2:3], -v[0:1]
	v_fma_f64 v[15:16], s[10:11], v[2:3], v[4:5]
	s_wait_alu 0xfffe
	s_cbranch_vccnz .LBB250_36
; %bb.24:                               ;   in Loop: Header=BB250_6 Depth=1
	v_mad_co_u64_u32 v[2:3], null, v7, s34, v[7:8]
	s_mul_i32 s36, s31, s34
	s_mul_i32 s37, s30, s35
	s_mov_b64 s[38:39], s[6:7]
	v_mad_co_u64_u32 v[3:4], null, v7, s35, v[3:4]
	v_add_co_u32 v4, vcc_lo, v17, v26
	s_wait_alu 0xfffd
	v_add_co_ci_u32_e64 v5, null, 0, v18, vcc_lo
	s_delay_alu instid0(VALU_DEP_3) | instskip(NEXT) | instid1(VALU_DEP_2)
	v_lshlrev_b64_e32 v[2:3], 4, v[2:3]
	v_mad_co_u64_u32 v[19:20], null, s30, s34, v[4:5]
	s_delay_alu instid0(VALU_DEP_2) | instskip(SKIP_1) | instid1(VALU_DEP_3)
	v_add_co_u32 v21, vcc_lo, v17, v2
	s_wait_alu 0xfffd
	v_add_co_ci_u32_e64 v22, null, v18, v3, vcc_lo
	s_wait_alu 0xfffe
	s_delay_alu instid0(VALU_DEP_3)
	v_add3_u32 v20, s37, s36, v20
	s_lshl_b64 s[36:37], s[34:35], 4
	s_wait_alu 0xfffe
	s_sub_nc_u64 s[36:37], 0, s[36:37]
	s_branch .LBB250_26
.LBB250_25:                             ;   in Loop: Header=BB250_26 Depth=2
	s_or_b32 exec_lo, exec_lo, s45
	s_add_nc_u64 s[46:47], s[38:39], 1
	s_wait_alu 0xfffe
	v_add_co_u32 v19, vcc_lo, v19, s36
	v_cmp_lt_u64_e64 s45, s[46:47], 3
	s_wait_alu 0xfffd
	v_add_co_ci_u32_e64 v20, null, s37, v20, vcc_lo
	s_add_nc_u64 s[38:39], s[38:39], -1
	s_and_b32 vcc_lo, exec_lo, s45
	s_wait_alu 0xfffe
	s_cbranch_vccnz .LBB250_36
.LBB250_26:                             ;   Parent Loop BB250_6 Depth=1
                                        ; =>  This Inner Loop Header: Depth=2
	s_mov_b32 s45, exec_lo
	s_barrier_signal -1
	s_barrier_wait -1
	global_inv scope:SCOPE_SE
	v_cmpx_eq_u64_e64 s[38:39], v[7:8]
	s_cbranch_execz .LBB250_34
; %bb.27:                               ;   in Loop: Header=BB250_26 Depth=2
	flat_load_b128 v[2:5], v[21:22]
	s_and_not1_b32 vcc_lo, exec_lo, s21
	s_wait_alu 0xfffe
	s_cbranch_vccnz .LBB250_33
; %bb.28:                               ;   in Loop: Header=BB250_26 Depth=2
	s_wait_loadcnt_dscnt 0x0
	v_cmp_ngt_f64_e64 s46, |v[2:3]|, |v[4:5]|
	s_and_saveexec_b32 s47, s46
	s_wait_alu 0xfffe
	s_xor_b32 s46, exec_lo, s47
	s_cbranch_execz .LBB250_30
; %bb.29:                               ;   in Loop: Header=BB250_26 Depth=2
	v_div_scale_f64 v[28:29], null, v[4:5], v[4:5], v[2:3]
	v_div_scale_f64 v[34:35], vcc_lo, v[2:3], v[4:5], v[2:3]
	s_delay_alu instid0(VALU_DEP_2) | instskip(NEXT) | instid1(TRANS32_DEP_1)
	v_rcp_f64_e32 v[30:31], v[28:29]
	v_fma_f64 v[32:33], -v[28:29], v[30:31], 1.0
	s_delay_alu instid0(VALU_DEP_1) | instskip(NEXT) | instid1(VALU_DEP_1)
	v_fma_f64 v[30:31], v[30:31], v[32:33], v[30:31]
	v_fma_f64 v[32:33], -v[28:29], v[30:31], 1.0
	s_delay_alu instid0(VALU_DEP_1) | instskip(NEXT) | instid1(VALU_DEP_1)
	v_fma_f64 v[30:31], v[30:31], v[32:33], v[30:31]
	v_mul_f64_e32 v[32:33], v[34:35], v[30:31]
	s_delay_alu instid0(VALU_DEP_1) | instskip(SKIP_1) | instid1(VALU_DEP_1)
	v_fma_f64 v[28:29], -v[28:29], v[32:33], v[34:35]
	s_wait_alu 0xfffd
	v_div_fmas_f64 v[28:29], v[28:29], v[30:31], v[32:33]
	s_delay_alu instid0(VALU_DEP_1) | instskip(NEXT) | instid1(VALU_DEP_1)
	v_div_fixup_f64 v[28:29], v[28:29], v[4:5], v[2:3]
	v_fma_f64 v[2:3], v[2:3], v[28:29], v[4:5]
	s_delay_alu instid0(VALU_DEP_1) | instskip(NEXT) | instid1(VALU_DEP_1)
	v_div_scale_f64 v[4:5], null, v[2:3], v[2:3], 1.0
	v_rcp_f64_e32 v[30:31], v[4:5]
	s_delay_alu instid0(TRANS32_DEP_1) | instskip(NEXT) | instid1(VALU_DEP_1)
	v_fma_f64 v[32:33], -v[4:5], v[30:31], 1.0
	v_fma_f64 v[30:31], v[30:31], v[32:33], v[30:31]
	s_delay_alu instid0(VALU_DEP_1) | instskip(NEXT) | instid1(VALU_DEP_1)
	v_fma_f64 v[32:33], -v[4:5], v[30:31], 1.0
	v_fma_f64 v[30:31], v[30:31], v[32:33], v[30:31]
	v_div_scale_f64 v[32:33], vcc_lo, 1.0, v[2:3], 1.0
	s_delay_alu instid0(VALU_DEP_1) | instskip(NEXT) | instid1(VALU_DEP_1)
	v_mul_f64_e32 v[34:35], v[32:33], v[30:31]
	v_fma_f64 v[4:5], -v[4:5], v[34:35], v[32:33]
	s_wait_alu 0xfffd
	s_delay_alu instid0(VALU_DEP_1) | instskip(NEXT) | instid1(VALU_DEP_1)
	v_div_fmas_f64 v[4:5], v[4:5], v[30:31], v[34:35]
	v_div_fixup_f64 v[4:5], v[4:5], v[2:3], 1.0
	s_delay_alu instid0(VALU_DEP_1)
	v_mul_f64_e32 v[2:3], v[28:29], v[4:5]
	v_xor_b32_e32 v5, 0x80000000, v5
.LBB250_30:                             ;   in Loop: Header=BB250_26 Depth=2
	s_wait_alu 0xfffe
	s_and_not1_saveexec_b32 s46, s46
	s_cbranch_execz .LBB250_32
; %bb.31:                               ;   in Loop: Header=BB250_26 Depth=2
	s_delay_alu instid0(VALU_DEP_1) | instskip(SKIP_1) | instid1(VALU_DEP_2)
	v_div_scale_f64 v[28:29], null, v[2:3], v[2:3], v[4:5]
	v_div_scale_f64 v[34:35], vcc_lo, v[4:5], v[2:3], v[4:5]
	v_rcp_f64_e32 v[30:31], v[28:29]
	s_delay_alu instid0(TRANS32_DEP_1) | instskip(NEXT) | instid1(VALU_DEP_1)
	v_fma_f64 v[32:33], -v[28:29], v[30:31], 1.0
	v_fma_f64 v[30:31], v[30:31], v[32:33], v[30:31]
	s_delay_alu instid0(VALU_DEP_1) | instskip(NEXT) | instid1(VALU_DEP_1)
	v_fma_f64 v[32:33], -v[28:29], v[30:31], 1.0
	v_fma_f64 v[30:31], v[30:31], v[32:33], v[30:31]
	s_delay_alu instid0(VALU_DEP_1) | instskip(NEXT) | instid1(VALU_DEP_1)
	v_mul_f64_e32 v[32:33], v[34:35], v[30:31]
	v_fma_f64 v[28:29], -v[28:29], v[32:33], v[34:35]
	s_wait_alu 0xfffd
	s_delay_alu instid0(VALU_DEP_1) | instskip(NEXT) | instid1(VALU_DEP_1)
	v_div_fmas_f64 v[28:29], v[28:29], v[30:31], v[32:33]
	v_div_fixup_f64 v[28:29], v[28:29], v[2:3], v[4:5]
	s_delay_alu instid0(VALU_DEP_1) | instskip(NEXT) | instid1(VALU_DEP_1)
	v_fma_f64 v[2:3], v[4:5], v[28:29], v[2:3]
	v_div_scale_f64 v[4:5], null, v[2:3], v[2:3], 1.0
	s_delay_alu instid0(VALU_DEP_1) | instskip(NEXT) | instid1(TRANS32_DEP_1)
	v_rcp_f64_e32 v[30:31], v[4:5]
	v_fma_f64 v[32:33], -v[4:5], v[30:31], 1.0
	s_delay_alu instid0(VALU_DEP_1) | instskip(NEXT) | instid1(VALU_DEP_1)
	v_fma_f64 v[30:31], v[30:31], v[32:33], v[30:31]
	v_fma_f64 v[32:33], -v[4:5], v[30:31], 1.0
	s_delay_alu instid0(VALU_DEP_1) | instskip(SKIP_1) | instid1(VALU_DEP_1)
	v_fma_f64 v[30:31], v[30:31], v[32:33], v[30:31]
	v_div_scale_f64 v[32:33], vcc_lo, 1.0, v[2:3], 1.0
	v_mul_f64_e32 v[34:35], v[32:33], v[30:31]
	s_delay_alu instid0(VALU_DEP_1) | instskip(SKIP_1) | instid1(VALU_DEP_1)
	v_fma_f64 v[4:5], -v[4:5], v[34:35], v[32:33]
	s_wait_alu 0xfffd
	v_div_fmas_f64 v[4:5], v[4:5], v[30:31], v[34:35]
	s_delay_alu instid0(VALU_DEP_1) | instskip(NEXT) | instid1(VALU_DEP_1)
	v_div_fixup_f64 v[2:3], v[4:5], v[2:3], 1.0
	v_mul_f64_e64 v[4:5], v[28:29], -v[2:3]
.LBB250_32:                             ;   in Loop: Header=BB250_26 Depth=2
	s_wait_alu 0xfffe
	s_or_b32 exec_lo, exec_lo, s46
.LBB250_33:                             ;   in Loop: Header=BB250_26 Depth=2
	s_wait_loadcnt_dscnt 0x0
	s_delay_alu instid0(VALU_DEP_1) | instskip(SKIP_1) | instid1(VALU_DEP_2)
	v_mul_f64_e32 v[28:29], v[15:16], v[4:5]
	v_mul_f64_e32 v[4:5], v[0:1], v[4:5]
	v_fma_f64 v[28:29], v[0:1], v[2:3], -v[28:29]
	s_delay_alu instid0(VALU_DEP_2) | instskip(NEXT) | instid1(VALU_DEP_2)
	v_fma_f64 v[15:16], v[15:16], v[2:3], v[4:5]
	v_dual_mov_b32 v0, v28 :: v_dual_mov_b32 v1, v29
	ds_store_2addr_b64 v24, v[28:29], v[15:16] offset1:1
.LBB250_34:                             ;   in Loop: Header=BB250_26 Depth=2
	s_or_b32 exec_lo, exec_lo, s45
	s_delay_alu instid0(SALU_CYCLE_1)
	s_mov_b32 s45, exec_lo
	s_wait_loadcnt_dscnt 0x0
	s_barrier_signal -1
	s_barrier_wait -1
	global_inv scope:SCOPE_SE
	v_cmpx_gt_i64_e64 s[38:39], v[7:8]
	s_cbranch_execz .LBB250_25
; %bb.35:                               ;   in Loop: Header=BB250_26 Depth=2
	flat_load_b128 v[2:5], v[19:20] offset:-8
	ds_load_2addr_b64 v[28:31], v24 offset1:1
	s_wait_loadcnt_dscnt 0x1
	v_xor_b32_e32 v32, 0x80000000, v5
	s_delay_alu instid0(VALU_DEP_1) | instskip(SKIP_1) | instid1(VALU_DEP_1)
	v_cndmask_b32_e64 v5, v5, v32, s0
	s_wait_dscnt 0x0
	v_mul_f64_e32 v[32:33], v[4:5], v[30:31]
	v_mul_f64_e32 v[30:31], v[2:3], v[30:31]
	s_delay_alu instid0(VALU_DEP_2) | instskip(NEXT) | instid1(VALU_DEP_2)
	v_fma_f64 v[2:3], v[2:3], v[28:29], -v[32:33]
	v_fma_f64 v[4:5], v[4:5], v[28:29], v[30:31]
	s_delay_alu instid0(VALU_DEP_2) | instskip(NEXT) | instid1(VALU_DEP_2)
	v_add_f64_e64 v[0:1], v[0:1], -v[2:3]
	v_add_f64_e64 v[15:16], v[15:16], -v[4:5]
	s_branch .LBB250_25
.LBB250_36:                             ;   in Loop: Header=BB250_6 Depth=1
	s_and_saveexec_b32 s36, s1
	s_cbranch_execz .LBB250_4
; %bb.37:                               ;   in Loop: Header=BB250_6 Depth=1
	v_mad_co_u64_u32 v[2:3], null, v7, s34, v[7:8]
	s_delay_alu instid0(VALU_DEP_1) | instskip(NEXT) | instid1(VALU_DEP_1)
	v_mad_co_u64_u32 v[3:4], null, v7, s35, v[3:4]
	v_lshlrev_b64_e32 v[2:3], 4, v[2:3]
	s_delay_alu instid0(VALU_DEP_1) | instskip(SKIP_1) | instid1(VALU_DEP_2)
	v_add_co_u32 v2, vcc_lo, v17, v2
	s_wait_alu 0xfffd
	v_add_co_ci_u32_e64 v3, null, v18, v3, vcc_lo
	s_and_not1_b32 vcc_lo, exec_lo, s21
	flat_load_b128 v[2:5], v[2:3]
	s_wait_alu 0xfffe
	s_cbranch_vccnz .LBB250_3
; %bb.38:                               ;   in Loop: Header=BB250_6 Depth=1
	s_wait_loadcnt_dscnt 0x0
	v_cmp_ngt_f64_e64 s34, |v[2:3]|, |v[4:5]|
	s_and_saveexec_b32 s35, s34
	s_wait_alu 0xfffe
	s_xor_b32 s34, exec_lo, s35
	s_cbranch_execz .LBB250_40
; %bb.39:                               ;   in Loop: Header=BB250_6 Depth=1
	v_div_scale_f64 v[17:18], null, v[4:5], v[4:5], v[2:3]
	v_div_scale_f64 v[28:29], vcc_lo, v[2:3], v[4:5], v[2:3]
	s_delay_alu instid0(VALU_DEP_2) | instskip(NEXT) | instid1(TRANS32_DEP_1)
	v_rcp_f64_e32 v[19:20], v[17:18]
	v_fma_f64 v[21:22], -v[17:18], v[19:20], 1.0
	s_delay_alu instid0(VALU_DEP_1) | instskip(NEXT) | instid1(VALU_DEP_1)
	v_fma_f64 v[19:20], v[19:20], v[21:22], v[19:20]
	v_fma_f64 v[21:22], -v[17:18], v[19:20], 1.0
	s_delay_alu instid0(VALU_DEP_1) | instskip(NEXT) | instid1(VALU_DEP_1)
	v_fma_f64 v[19:20], v[19:20], v[21:22], v[19:20]
	v_mul_f64_e32 v[21:22], v[28:29], v[19:20]
	s_delay_alu instid0(VALU_DEP_1) | instskip(SKIP_1) | instid1(VALU_DEP_1)
	v_fma_f64 v[17:18], -v[17:18], v[21:22], v[28:29]
	s_wait_alu 0xfffd
	v_div_fmas_f64 v[17:18], v[17:18], v[19:20], v[21:22]
	s_delay_alu instid0(VALU_DEP_1) | instskip(NEXT) | instid1(VALU_DEP_1)
	v_div_fixup_f64 v[17:18], v[17:18], v[4:5], v[2:3]
	v_fma_f64 v[2:3], v[2:3], v[17:18], v[4:5]
	s_delay_alu instid0(VALU_DEP_1) | instskip(NEXT) | instid1(VALU_DEP_1)
	v_div_scale_f64 v[4:5], null, v[2:3], v[2:3], 1.0
	v_rcp_f64_e32 v[19:20], v[4:5]
	s_delay_alu instid0(TRANS32_DEP_1) | instskip(NEXT) | instid1(VALU_DEP_1)
	v_fma_f64 v[21:22], -v[4:5], v[19:20], 1.0
	v_fma_f64 v[19:20], v[19:20], v[21:22], v[19:20]
	s_delay_alu instid0(VALU_DEP_1) | instskip(NEXT) | instid1(VALU_DEP_1)
	v_fma_f64 v[21:22], -v[4:5], v[19:20], 1.0
	v_fma_f64 v[19:20], v[19:20], v[21:22], v[19:20]
	v_div_scale_f64 v[21:22], vcc_lo, 1.0, v[2:3], 1.0
	s_delay_alu instid0(VALU_DEP_1) | instskip(NEXT) | instid1(VALU_DEP_1)
	v_mul_f64_e32 v[28:29], v[21:22], v[19:20]
	v_fma_f64 v[4:5], -v[4:5], v[28:29], v[21:22]
	s_wait_alu 0xfffd
	s_delay_alu instid0(VALU_DEP_1) | instskip(NEXT) | instid1(VALU_DEP_1)
	v_div_fmas_f64 v[4:5], v[4:5], v[19:20], v[28:29]
	v_div_fixup_f64 v[4:5], v[4:5], v[2:3], 1.0
	s_delay_alu instid0(VALU_DEP_1)
	v_mul_f64_e32 v[2:3], v[17:18], v[4:5]
	v_xor_b32_e32 v5, 0x80000000, v5
.LBB250_40:                             ;   in Loop: Header=BB250_6 Depth=1
	s_wait_alu 0xfffe
	s_and_not1_saveexec_b32 s34, s34
	s_cbranch_execz .LBB250_2
; %bb.41:                               ;   in Loop: Header=BB250_6 Depth=1
	s_delay_alu instid0(VALU_DEP_1) | instskip(SKIP_1) | instid1(VALU_DEP_2)
	v_div_scale_f64 v[17:18], null, v[2:3], v[2:3], v[4:5]
	v_div_scale_f64 v[28:29], vcc_lo, v[4:5], v[2:3], v[4:5]
	v_rcp_f64_e32 v[19:20], v[17:18]
	s_delay_alu instid0(TRANS32_DEP_1) | instskip(NEXT) | instid1(VALU_DEP_1)
	v_fma_f64 v[21:22], -v[17:18], v[19:20], 1.0
	v_fma_f64 v[19:20], v[19:20], v[21:22], v[19:20]
	s_delay_alu instid0(VALU_DEP_1) | instskip(NEXT) | instid1(VALU_DEP_1)
	v_fma_f64 v[21:22], -v[17:18], v[19:20], 1.0
	v_fma_f64 v[19:20], v[19:20], v[21:22], v[19:20]
	s_delay_alu instid0(VALU_DEP_1) | instskip(NEXT) | instid1(VALU_DEP_1)
	v_mul_f64_e32 v[21:22], v[28:29], v[19:20]
	v_fma_f64 v[17:18], -v[17:18], v[21:22], v[28:29]
	s_wait_alu 0xfffd
	s_delay_alu instid0(VALU_DEP_1) | instskip(NEXT) | instid1(VALU_DEP_1)
	v_div_fmas_f64 v[17:18], v[17:18], v[19:20], v[21:22]
	v_div_fixup_f64 v[17:18], v[17:18], v[2:3], v[4:5]
	s_delay_alu instid0(VALU_DEP_1) | instskip(NEXT) | instid1(VALU_DEP_1)
	v_fma_f64 v[2:3], v[4:5], v[17:18], v[2:3]
	v_div_scale_f64 v[4:5], null, v[2:3], v[2:3], 1.0
	s_delay_alu instid0(VALU_DEP_1) | instskip(NEXT) | instid1(TRANS32_DEP_1)
	v_rcp_f64_e32 v[19:20], v[4:5]
	v_fma_f64 v[21:22], -v[4:5], v[19:20], 1.0
	s_delay_alu instid0(VALU_DEP_1) | instskip(NEXT) | instid1(VALU_DEP_1)
	v_fma_f64 v[19:20], v[19:20], v[21:22], v[19:20]
	v_fma_f64 v[21:22], -v[4:5], v[19:20], 1.0
	s_delay_alu instid0(VALU_DEP_1) | instskip(SKIP_1) | instid1(VALU_DEP_1)
	v_fma_f64 v[19:20], v[19:20], v[21:22], v[19:20]
	v_div_scale_f64 v[21:22], vcc_lo, 1.0, v[2:3], 1.0
	v_mul_f64_e32 v[28:29], v[21:22], v[19:20]
	s_delay_alu instid0(VALU_DEP_1) | instskip(SKIP_1) | instid1(VALU_DEP_1)
	v_fma_f64 v[4:5], -v[4:5], v[28:29], v[21:22]
	s_wait_alu 0xfffd
	v_div_fmas_f64 v[4:5], v[4:5], v[19:20], v[28:29]
	s_delay_alu instid0(VALU_DEP_1) | instskip(NEXT) | instid1(VALU_DEP_1)
	v_div_fixup_f64 v[2:3], v[4:5], v[2:3], 1.0
	v_mul_f64_e64 v[4:5], v[17:18], -v[2:3]
	s_branch .LBB250_2
.LBB250_42:
	s_endpgm
	.section	.rodata,"a",@progbits
	.p2align	6, 0x0
	.amdhsa_kernel _ZL40rocblas_trsm_block_backward_substitutionI19rocblas_complex_numIdES1_PKPKS1_PKPS1_Lb1ELb1ELb0EEv18rocblas_operation_llT0_T1_lllT2_lllib
		.amdhsa_group_segment_fixed_size 0
		.amdhsa_private_segment_fixed_size 0
		.amdhsa_kernarg_size 368
		.amdhsa_user_sgpr_count 2
		.amdhsa_user_sgpr_dispatch_ptr 0
		.amdhsa_user_sgpr_queue_ptr 0
		.amdhsa_user_sgpr_kernarg_segment_ptr 1
		.amdhsa_user_sgpr_dispatch_id 0
		.amdhsa_user_sgpr_private_segment_size 0
		.amdhsa_wavefront_size32 1
		.amdhsa_uses_dynamic_stack 0
		.amdhsa_enable_private_segment 0
		.amdhsa_system_sgpr_workgroup_id_x 1
		.amdhsa_system_sgpr_workgroup_id_y 1
		.amdhsa_system_sgpr_workgroup_id_z 1
		.amdhsa_system_sgpr_workgroup_info 0
		.amdhsa_system_vgpr_workitem_id 1
		.amdhsa_next_free_vgpr 36
		.amdhsa_next_free_sgpr 48
		.amdhsa_reserve_vcc 1
		.amdhsa_float_round_mode_32 0
		.amdhsa_float_round_mode_16_64 0
		.amdhsa_float_denorm_mode_32 3
		.amdhsa_float_denorm_mode_16_64 3
		.amdhsa_fp16_overflow 0
		.amdhsa_workgroup_processor_mode 1
		.amdhsa_memory_ordered 1
		.amdhsa_forward_progress 1
		.amdhsa_inst_pref_size 25
		.amdhsa_round_robin_scheduling 0
		.amdhsa_exception_fp_ieee_invalid_op 0
		.amdhsa_exception_fp_denorm_src 0
		.amdhsa_exception_fp_ieee_div_zero 0
		.amdhsa_exception_fp_ieee_overflow 0
		.amdhsa_exception_fp_ieee_underflow 0
		.amdhsa_exception_fp_ieee_inexact 0
		.amdhsa_exception_int_div_zero 0
	.end_amdhsa_kernel
	.section	.text._ZL40rocblas_trsm_block_backward_substitutionI19rocblas_complex_numIdES1_PKPKS1_PKPS1_Lb1ELb1ELb0EEv18rocblas_operation_llT0_T1_lllT2_lllib,"axG",@progbits,_ZL40rocblas_trsm_block_backward_substitutionI19rocblas_complex_numIdES1_PKPKS1_PKPS1_Lb1ELb1ELb0EEv18rocblas_operation_llT0_T1_lllT2_lllib,comdat
.Lfunc_end250:
	.size	_ZL40rocblas_trsm_block_backward_substitutionI19rocblas_complex_numIdES1_PKPKS1_PKPS1_Lb1ELb1ELb0EEv18rocblas_operation_llT0_T1_lllT2_lllib, .Lfunc_end250-_ZL40rocblas_trsm_block_backward_substitutionI19rocblas_complex_numIdES1_PKPKS1_PKPS1_Lb1ELb1ELb0EEv18rocblas_operation_llT0_T1_lllT2_lllib
                                        ; -- End function
	.set _ZL40rocblas_trsm_block_backward_substitutionI19rocblas_complex_numIdES1_PKPKS1_PKPS1_Lb1ELb1ELb0EEv18rocblas_operation_llT0_T1_lllT2_lllib.num_vgpr, 36
	.set _ZL40rocblas_trsm_block_backward_substitutionI19rocblas_complex_numIdES1_PKPKS1_PKPS1_Lb1ELb1ELb0EEv18rocblas_operation_llT0_T1_lllT2_lllib.num_agpr, 0
	.set _ZL40rocblas_trsm_block_backward_substitutionI19rocblas_complex_numIdES1_PKPKS1_PKPS1_Lb1ELb1ELb0EEv18rocblas_operation_llT0_T1_lllT2_lllib.numbered_sgpr, 48
	.set _ZL40rocblas_trsm_block_backward_substitutionI19rocblas_complex_numIdES1_PKPKS1_PKPS1_Lb1ELb1ELb0EEv18rocblas_operation_llT0_T1_lllT2_lllib.num_named_barrier, 0
	.set _ZL40rocblas_trsm_block_backward_substitutionI19rocblas_complex_numIdES1_PKPKS1_PKPS1_Lb1ELb1ELb0EEv18rocblas_operation_llT0_T1_lllT2_lllib.private_seg_size, 0
	.set _ZL40rocblas_trsm_block_backward_substitutionI19rocblas_complex_numIdES1_PKPKS1_PKPS1_Lb1ELb1ELb0EEv18rocblas_operation_llT0_T1_lllT2_lllib.uses_vcc, 1
	.set _ZL40rocblas_trsm_block_backward_substitutionI19rocblas_complex_numIdES1_PKPKS1_PKPS1_Lb1ELb1ELb0EEv18rocblas_operation_llT0_T1_lllT2_lllib.uses_flat_scratch, 0
	.set _ZL40rocblas_trsm_block_backward_substitutionI19rocblas_complex_numIdES1_PKPKS1_PKPS1_Lb1ELb1ELb0EEv18rocblas_operation_llT0_T1_lllT2_lllib.has_dyn_sized_stack, 0
	.set _ZL40rocblas_trsm_block_backward_substitutionI19rocblas_complex_numIdES1_PKPKS1_PKPS1_Lb1ELb1ELb0EEv18rocblas_operation_llT0_T1_lllT2_lllib.has_recursion, 0
	.set _ZL40rocblas_trsm_block_backward_substitutionI19rocblas_complex_numIdES1_PKPKS1_PKPS1_Lb1ELb1ELb0EEv18rocblas_operation_llT0_T1_lllT2_lllib.has_indirect_call, 0
	.section	.AMDGPU.csdata,"",@progbits
; Kernel info:
; codeLenInByte = 3192
; TotalNumSgprs: 50
; NumVgprs: 36
; ScratchSize: 0
; MemoryBound: 1
; FloatMode: 240
; IeeeMode: 1
; LDSByteSize: 0 bytes/workgroup (compile time only)
; SGPRBlocks: 0
; VGPRBlocks: 4
; NumSGPRsForWavesPerEU: 50
; NumVGPRsForWavesPerEU: 36
; Occupancy: 16
; WaveLimiterHint : 1
; COMPUTE_PGM_RSRC2:SCRATCH_EN: 0
; COMPUTE_PGM_RSRC2:USER_SGPR: 2
; COMPUTE_PGM_RSRC2:TRAP_HANDLER: 0
; COMPUTE_PGM_RSRC2:TGID_X_EN: 1
; COMPUTE_PGM_RSRC2:TGID_Y_EN: 1
; COMPUTE_PGM_RSRC2:TGID_Z_EN: 1
; COMPUTE_PGM_RSRC2:TIDIG_COMP_CNT: 1
	.section	.text._ZL39rocblas_trsm_block_forward_substitutionI19rocblas_complex_numIdES1_PKPKS1_PKPS1_Lb1ELb1ELb1EEv18rocblas_operation_llT0_T1_lllT2_lllib,"axG",@progbits,_ZL39rocblas_trsm_block_forward_substitutionI19rocblas_complex_numIdES1_PKPKS1_PKPS1_Lb1ELb1ELb1EEv18rocblas_operation_llT0_T1_lllT2_lllib,comdat
	.globl	_ZL39rocblas_trsm_block_forward_substitutionI19rocblas_complex_numIdES1_PKPKS1_PKPS1_Lb1ELb1ELb1EEv18rocblas_operation_llT0_T1_lllT2_lllib ; -- Begin function _ZL39rocblas_trsm_block_forward_substitutionI19rocblas_complex_numIdES1_PKPKS1_PKPS1_Lb1ELb1ELb1EEv18rocblas_operation_llT0_T1_lllT2_lllib
	.p2align	8
	.type	_ZL39rocblas_trsm_block_forward_substitutionI19rocblas_complex_numIdES1_PKPKS1_PKPS1_Lb1ELb1ELb1EEv18rocblas_operation_llT0_T1_lllT2_lllib,@function
_ZL39rocblas_trsm_block_forward_substitutionI19rocblas_complex_numIdES1_PKPKS1_PKPS1_Lb1ELb1ELb1EEv18rocblas_operation_llT0_T1_lllT2_lllib: ; @_ZL39rocblas_trsm_block_forward_substitutionI19rocblas_complex_numIdES1_PKPKS1_PKPS1_Lb1ELb1ELb1EEv18rocblas_operation_llT0_T1_lllT2_lllib
; %bb.0:
	s_load_b64 s[2:3], s[0:1], 0x68
	s_lshr_b32 s20, ttmp7, 16
	s_wait_kmcnt 0x0
	s_cmp_ge_u32 s20, s2
	s_cbranch_scc1 .LBB251_19
; %bb.1:
	s_mov_b64 s[24:25], src_shared_base
	s_clause 0x6
	s_load_b64 s[30:31], s[0:1], 0x58
	s_load_b32 s24, s[0:1], 0x0
	s_load_b256 s[4:11], s[0:1], 0x8
	s_load_u16 s33, s[0:1], 0x7e
	s_load_b128 s[12:15], s[0:1], 0x28
	s_load_b64 s[28:29], s[0:1], 0x38
	s_load_b128 s[16:19], s[0:1], 0x48
	s_bitcmp1_b32 s3, 0
	v_dual_mov_b32 v5, 0 :: v_dual_and_b32 v4, 0x3ff, v0
	v_bfe_u32 v6, v0, 10, 10
	s_cselect_b32 s3, -1, 0
	s_add_nc_u64 s[22:23], s[0:1], 0x70
	s_delay_alu instid0(VALU_DEP_2)
	v_lshlrev_b32_e32 v15, 4, v4
	s_mov_b32 s21, 0
	v_lshl_add_u32 v16, v6, 4, 0
	s_mov_b64 s[26:27], 1
	s_wait_kmcnt 0x0
	v_mad_co_u64_u32 v[0:1], null, s30, v4, 0
	s_cmp_eq_u32 s24, 0x71
	v_cmp_gt_i64_e64 s36, s[4:5], 0
	s_cselect_b32 s0, -1, 0
	s_and_b32 s1, ttmp7, 0xffff
	s_lshl_b32 s24, s33, 4
	v_mad_co_u64_u32 v[2:3], null, s1, s33, v[6:7]
	v_mov_b32_e32 v3, v5
	v_cmp_gt_i64_e64 s1, s[4:5], v[4:5]
	s_add_co_i32 s24, s24, 0
	v_cmp_gt_i64_e64 s38, s[4:5], 1
	v_add_nc_u32_e32 v17, s24, v15
	s_lshl_b64 s[14:15], s[14:15], 4
	v_mad_co_u64_u32 v[7:8], null, s31, v4, v[1:2]
	v_cmp_gt_i64_e32 vcc_lo, s[6:7], v[2:3]
	s_add_nc_u64 s[6:7], s[4:5], -1
	s_lshl_b64 s[18:19], s[18:19], 4
	s_and_b32 s37, vcc_lo, s1
	s_delay_alu instid0(VALU_DEP_2) | instskip(SKIP_1) | instid1(VALU_DEP_2)
	v_mov_b32_e32 v1, v7
	v_lshlrev_b64_e32 v[7:8], 4, v[2:3]
	v_lshlrev_b64_e32 v[9:10], 4, v[0:1]
	s_branch .LBB251_4
.LBB251_2:                              ;   in Loop: Header=BB251_4 Depth=1
	flat_store_b128 v[11:12], v[0:3]
.LBB251_3:                              ;   in Loop: Header=BB251_4 Depth=1
	s_or_b32 exec_lo, exec_lo, s39
	s_add_co_i32 s20, s20, 0x10000
	s_delay_alu instid0(SALU_CYCLE_1)
	s_cmp_lt_u32 s20, s2
	s_cbranch_scc0 .LBB251_19
.LBB251_4:                              ; =>This Loop Header: Depth=1
                                        ;     Child Loop BB251_9 Depth 2
                                        ;     Child Loop BB251_15 Depth 2
	s_lshl_b64 s[30:31], s[20:21], 3
	s_wait_alu 0xfffe
	s_add_nc_u64 s[34:35], s[12:13], s[30:31]
	s_add_nc_u64 s[30:31], s[16:17], s[30:31]
	global_load_b64 v[2:3], v5, s[34:35]
	s_wait_loadcnt 0x1
	global_load_b64 v[0:1], v5, s[30:31]
	s_wait_loadcnt 0x1
	v_add_co_u32 v13, vcc_lo, v2, s14
	s_wait_alu 0xfffd
	v_add_co_ci_u32_e64 v14, null, s15, v3, vcc_lo
	s_and_not1_b32 vcc_lo, exec_lo, s3
	s_wait_alu 0xfffe
	s_cbranch_vccz .LBB251_6
; %bb.5:                                ;   in Loop: Header=BB251_4 Depth=1
	s_and_saveexec_b32 s39, s37
	s_cbranch_execz .LBB251_3
	s_branch .LBB251_12
.LBB251_6:                              ;   in Loop: Header=BB251_4 Depth=1
	s_and_not1_b32 vcc_lo, exec_lo, s36
	s_wait_alu 0xfffe
	s_cbranch_vccnz .LBB251_11
; %bb.7:                                ;   in Loop: Header=BB251_4 Depth=1
	v_mad_co_u64_u32 v[2:3], null, s28, v4, 0
	s_mov_b32 s28, 0
	v_mad_co_u64_u32 v[11:12], null, s29, v4, v[3:4]
	s_delay_alu instid0(VALU_DEP_1) | instskip(NEXT) | instid1(VALU_DEP_1)
	v_mov_b32_e32 v3, v11
	v_lshlrev_b64_e32 v[2:3], 4, v[2:3]
	s_delay_alu instid0(VALU_DEP_1) | instskip(SKIP_1) | instid1(VALU_DEP_2)
	v_add_co_u32 v2, vcc_lo, v13, v2
	s_wait_alu 0xfffd
	v_add_co_ci_u32_e64 v3, null, v14, v3, vcc_lo
	s_branch .LBB251_9
.LBB251_8:                              ;   in Loop: Header=BB251_9 Depth=2
	s_wait_alu 0xfffe
	s_or_b32 exec_lo, exec_lo, s29
	s_add_co_i32 s28, s28, s33
	s_wait_alu 0xfffe
	s_ashr_i32 s29, s28, 31
	s_wait_alu 0xfffe
	v_cmp_le_i64_e64 s29, s[4:5], s[28:29]
	s_and_b32 vcc_lo, exec_lo, s29
	s_wait_alu 0xfffe
	s_cbranch_vccnz .LBB251_11
.LBB251_9:                              ;   Parent Loop BB251_4 Depth=1
                                        ; =>  This Inner Loop Header: Depth=2
	s_wait_alu 0xfffe
	v_add_nc_u32_e32 v11, s28, v6
	s_delay_alu instid0(VALU_DEP_1)
	v_cmp_gt_i32_e32 vcc_lo, v4, v11
	s_and_b32 s30, s1, vcc_lo
	s_wait_alu 0xfffe
	s_and_saveexec_b32 s29, s30
	s_cbranch_execz .LBB251_8
; %bb.10:                               ;   in Loop: Header=BB251_9 Depth=2
	v_ashrrev_i32_e32 v14, 31, v11
	v_mul_lo_u32 v18, s27, v11
	v_mad_co_u64_u32 v[12:13], null, s26, v11, 0
	s_load_b32 s30, s[22:23], 0xc
	v_mul_lo_u32 v14, s26, v14
	s_delay_alu instid0(VALU_DEP_1) | instskip(NEXT) | instid1(VALU_DEP_1)
	v_add3_u32 v13, v13, v14, v18
	v_lshlrev_b64_e32 v[12:13], 4, v[12:13]
	s_wait_kmcnt 0x0
	s_and_b32 s30, s30, 0xffff
	s_delay_alu instid0(VALU_DEP_1) | instskip(SKIP_1) | instid1(VALU_DEP_2)
	v_add_co_u32 v12, vcc_lo, v2, v12
	s_wait_alu 0xfffd
	v_add_co_ci_u32_e64 v13, null, v3, v13, vcc_lo
	s_wait_alu 0xfffe
	v_mul_lo_u32 v11, v11, s30
	flat_load_b128 v[18:21], v[12:13]
	v_lshl_add_u32 v11, v11, 4, v17
	s_wait_loadcnt_dscnt 0x0
	ds_store_2addr_b64 v11, v[18:19], v[20:21] offset1:1
	s_branch .LBB251_8
.LBB251_11:                             ;   in Loop: Header=BB251_4 Depth=1
	s_load_b32 s26, s[22:23], 0xc
	v_dual_mov_b32 v13, s24 :: v_dual_mov_b32 v14, s25
	s_mov_b32 s27, s21
	s_mov_b64 s[28:29], 1
	s_wait_kmcnt 0x0
	s_and_b32 s26, s26, 0xffff
	s_and_saveexec_b32 s39, s37
	s_cbranch_execz .LBB251_3
.LBB251_12:                             ;   in Loop: Header=BB251_4 Depth=1
	s_wait_loadcnt 0x0
	v_add_co_u32 v0, vcc_lo, v0, s18
	s_wait_alu 0xfffd
	v_add_co_ci_u32_e64 v1, null, s19, v1, vcc_lo
	s_delay_alu instid0(VALU_DEP_2) | instskip(SKIP_1) | instid1(VALU_DEP_2)
	v_add_co_u32 v0, vcc_lo, v0, v9
	s_wait_alu 0xfffd
	v_add_co_ci_u32_e64 v1, null, v1, v10, vcc_lo
	s_delay_alu instid0(VALU_DEP_2) | instskip(SKIP_1) | instid1(VALU_DEP_2)
	v_add_co_u32 v11, vcc_lo, v0, v7
	s_wait_alu 0xfffd
	v_add_co_ci_u32_e64 v12, null, v1, v8, vcc_lo
	s_and_not1_b32 vcc_lo, exec_lo, s38
	flat_load_b128 v[18:21], v[11:12]
	s_wait_loadcnt_dscnt 0x0
	v_mul_f64_e32 v[0:1], s[10:11], v[20:21]
	v_mul_f64_e32 v[2:3], s[8:9], v[20:21]
	s_delay_alu instid0(VALU_DEP_2) | instskip(NEXT) | instid1(VALU_DEP_2)
	v_fma_f64 v[0:1], s[8:9], v[18:19], -v[0:1]
	v_fma_f64 v[2:3], s[10:11], v[18:19], v[2:3]
	s_wait_alu 0xfffe
	s_cbranch_vccnz .LBB251_2
; %bb.13:                               ;   in Loop: Header=BB251_4 Depth=1
	v_mad_co_u64_u32 v[13:14], null, v15, s28, v[13:14]
	s_lshl_b64 s[30:31], s[26:27], 4
	s_mov_b64 s[34:35], 0
	v_mad_co_u64_u32 v[18:19], null, v15, s29, v[14:15]
	v_add_co_u32 v13, vcc_lo, v13, 8
	s_wait_alu 0xfffd
	s_delay_alu instid0(VALU_DEP_2)
	v_add_co_ci_u32_e64 v14, null, 0, v18, vcc_lo
	s_branch .LBB251_15
.LBB251_14:                             ;   in Loop: Header=BB251_15 Depth=2
	s_or_b32 exec_lo, exec_lo, s40
	s_wait_alu 0xfffe
	v_add_co_u32 v13, vcc_lo, v13, s30
	s_wait_alu 0xfffd
	v_add_co_ci_u32_e64 v14, null, s31, v14, vcc_lo
	s_add_nc_u64 s[34:35], s[34:35], 1
	s_wait_alu 0xfffe
	s_cmp_eq_u64 s[6:7], s[34:35]
	s_cbranch_scc1 .LBB251_2
.LBB251_15:                             ;   Parent Loop BB251_4 Depth=1
                                        ; =>  This Inner Loop Header: Depth=2
	s_mov_b32 s40, exec_lo
	s_barrier_signal -1
	s_barrier_wait -1
	global_inv scope:SCOPE_SE
	s_wait_alu 0xfffe
	v_cmpx_eq_u64_e64 s[34:35], v[4:5]
; %bb.16:                               ;   in Loop: Header=BB251_15 Depth=2
	ds_store_2addr_b64 v16, v[0:1], v[2:3] offset1:1
; %bb.17:                               ;   in Loop: Header=BB251_15 Depth=2
	s_or_b32 exec_lo, exec_lo, s40
	s_delay_alu instid0(SALU_CYCLE_1)
	s_mov_b32 s40, exec_lo
	s_wait_loadcnt_dscnt 0x0
	s_barrier_signal -1
	s_barrier_wait -1
	global_inv scope:SCOPE_SE
	v_cmpx_lt_u64_e64 s[34:35], v[4:5]
	s_cbranch_execz .LBB251_14
; %bb.18:                               ;   in Loop: Header=BB251_15 Depth=2
	flat_load_b128 v[18:21], v[13:14] offset:-8
	ds_load_2addr_b64 v[22:25], v16 offset1:1
	s_wait_loadcnt_dscnt 0x1
	v_xor_b32_e32 v26, 0x80000000, v21
	s_delay_alu instid0(VALU_DEP_1) | instskip(SKIP_1) | instid1(VALU_DEP_1)
	v_cndmask_b32_e64 v21, v21, v26, s0
	s_wait_dscnt 0x0
	v_mul_f64_e32 v[26:27], v[20:21], v[24:25]
	v_mul_f64_e32 v[24:25], v[18:19], v[24:25]
	s_delay_alu instid0(VALU_DEP_2) | instskip(NEXT) | instid1(VALU_DEP_2)
	v_fma_f64 v[18:19], v[18:19], v[22:23], -v[26:27]
	v_fma_f64 v[20:21], v[20:21], v[22:23], v[24:25]
	s_delay_alu instid0(VALU_DEP_2) | instskip(NEXT) | instid1(VALU_DEP_2)
	v_add_f64_e64 v[0:1], v[0:1], -v[18:19]
	v_add_f64_e64 v[2:3], v[2:3], -v[20:21]
	s_branch .LBB251_14
.LBB251_19:
	s_endpgm
	.section	.rodata,"a",@progbits
	.p2align	6, 0x0
	.amdhsa_kernel _ZL39rocblas_trsm_block_forward_substitutionI19rocblas_complex_numIdES1_PKPKS1_PKPS1_Lb1ELb1ELb1EEv18rocblas_operation_llT0_T1_lllT2_lllib
		.amdhsa_group_segment_fixed_size 0
		.amdhsa_private_segment_fixed_size 0
		.amdhsa_kernarg_size 368
		.amdhsa_user_sgpr_count 2
		.amdhsa_user_sgpr_dispatch_ptr 0
		.amdhsa_user_sgpr_queue_ptr 0
		.amdhsa_user_sgpr_kernarg_segment_ptr 1
		.amdhsa_user_sgpr_dispatch_id 0
		.amdhsa_user_sgpr_private_segment_size 0
		.amdhsa_wavefront_size32 1
		.amdhsa_uses_dynamic_stack 0
		.amdhsa_enable_private_segment 0
		.amdhsa_system_sgpr_workgroup_id_x 1
		.amdhsa_system_sgpr_workgroup_id_y 1
		.amdhsa_system_sgpr_workgroup_id_z 1
		.amdhsa_system_sgpr_workgroup_info 0
		.amdhsa_system_vgpr_workitem_id 1
		.amdhsa_next_free_vgpr 28
		.amdhsa_next_free_sgpr 41
		.amdhsa_reserve_vcc 1
		.amdhsa_float_round_mode_32 0
		.amdhsa_float_round_mode_16_64 0
		.amdhsa_float_denorm_mode_32 3
		.amdhsa_float_denorm_mode_16_64 3
		.amdhsa_fp16_overflow 0
		.amdhsa_workgroup_processor_mode 1
		.amdhsa_memory_ordered 1
		.amdhsa_forward_progress 1
		.amdhsa_inst_pref_size 9
		.amdhsa_round_robin_scheduling 0
		.amdhsa_exception_fp_ieee_invalid_op 0
		.amdhsa_exception_fp_denorm_src 0
		.amdhsa_exception_fp_ieee_div_zero 0
		.amdhsa_exception_fp_ieee_overflow 0
		.amdhsa_exception_fp_ieee_underflow 0
		.amdhsa_exception_fp_ieee_inexact 0
		.amdhsa_exception_int_div_zero 0
	.end_amdhsa_kernel
	.section	.text._ZL39rocblas_trsm_block_forward_substitutionI19rocblas_complex_numIdES1_PKPKS1_PKPS1_Lb1ELb1ELb1EEv18rocblas_operation_llT0_T1_lllT2_lllib,"axG",@progbits,_ZL39rocblas_trsm_block_forward_substitutionI19rocblas_complex_numIdES1_PKPKS1_PKPS1_Lb1ELb1ELb1EEv18rocblas_operation_llT0_T1_lllT2_lllib,comdat
.Lfunc_end251:
	.size	_ZL39rocblas_trsm_block_forward_substitutionI19rocblas_complex_numIdES1_PKPKS1_PKPS1_Lb1ELb1ELb1EEv18rocblas_operation_llT0_T1_lllT2_lllib, .Lfunc_end251-_ZL39rocblas_trsm_block_forward_substitutionI19rocblas_complex_numIdES1_PKPKS1_PKPS1_Lb1ELb1ELb1EEv18rocblas_operation_llT0_T1_lllT2_lllib
                                        ; -- End function
	.set _ZL39rocblas_trsm_block_forward_substitutionI19rocblas_complex_numIdES1_PKPKS1_PKPS1_Lb1ELb1ELb1EEv18rocblas_operation_llT0_T1_lllT2_lllib.num_vgpr, 28
	.set _ZL39rocblas_trsm_block_forward_substitutionI19rocblas_complex_numIdES1_PKPKS1_PKPS1_Lb1ELb1ELb1EEv18rocblas_operation_llT0_T1_lllT2_lllib.num_agpr, 0
	.set _ZL39rocblas_trsm_block_forward_substitutionI19rocblas_complex_numIdES1_PKPKS1_PKPS1_Lb1ELb1ELb1EEv18rocblas_operation_llT0_T1_lllT2_lllib.numbered_sgpr, 41
	.set _ZL39rocblas_trsm_block_forward_substitutionI19rocblas_complex_numIdES1_PKPKS1_PKPS1_Lb1ELb1ELb1EEv18rocblas_operation_llT0_T1_lllT2_lllib.num_named_barrier, 0
	.set _ZL39rocblas_trsm_block_forward_substitutionI19rocblas_complex_numIdES1_PKPKS1_PKPS1_Lb1ELb1ELb1EEv18rocblas_operation_llT0_T1_lllT2_lllib.private_seg_size, 0
	.set _ZL39rocblas_trsm_block_forward_substitutionI19rocblas_complex_numIdES1_PKPKS1_PKPS1_Lb1ELb1ELb1EEv18rocblas_operation_llT0_T1_lllT2_lllib.uses_vcc, 1
	.set _ZL39rocblas_trsm_block_forward_substitutionI19rocblas_complex_numIdES1_PKPKS1_PKPS1_Lb1ELb1ELb1EEv18rocblas_operation_llT0_T1_lllT2_lllib.uses_flat_scratch, 0
	.set _ZL39rocblas_trsm_block_forward_substitutionI19rocblas_complex_numIdES1_PKPKS1_PKPS1_Lb1ELb1ELb1EEv18rocblas_operation_llT0_T1_lllT2_lllib.has_dyn_sized_stack, 0
	.set _ZL39rocblas_trsm_block_forward_substitutionI19rocblas_complex_numIdES1_PKPKS1_PKPS1_Lb1ELb1ELb1EEv18rocblas_operation_llT0_T1_lllT2_lllib.has_recursion, 0
	.set _ZL39rocblas_trsm_block_forward_substitutionI19rocblas_complex_numIdES1_PKPKS1_PKPS1_Lb1ELb1ELb1EEv18rocblas_operation_llT0_T1_lllT2_lllib.has_indirect_call, 0
	.section	.AMDGPU.csdata,"",@progbits
; Kernel info:
; codeLenInByte = 1152
; TotalNumSgprs: 43
; NumVgprs: 28
; ScratchSize: 0
; MemoryBound: 0
; FloatMode: 240
; IeeeMode: 1
; LDSByteSize: 0 bytes/workgroup (compile time only)
; SGPRBlocks: 0
; VGPRBlocks: 3
; NumSGPRsForWavesPerEU: 43
; NumVGPRsForWavesPerEU: 28
; Occupancy: 16
; WaveLimiterHint : 1
; COMPUTE_PGM_RSRC2:SCRATCH_EN: 0
; COMPUTE_PGM_RSRC2:USER_SGPR: 2
; COMPUTE_PGM_RSRC2:TRAP_HANDLER: 0
; COMPUTE_PGM_RSRC2:TGID_X_EN: 1
; COMPUTE_PGM_RSRC2:TGID_Y_EN: 1
; COMPUTE_PGM_RSRC2:TGID_Z_EN: 1
; COMPUTE_PGM_RSRC2:TIDIG_COMP_CNT: 1
	.section	.text._ZL40rocblas_trsm_block_backward_substitutionI19rocblas_complex_numIdES1_PKPKS1_PKPS1_Lb1ELb1ELb1EEv18rocblas_operation_llT0_T1_lllT2_lllib,"axG",@progbits,_ZL40rocblas_trsm_block_backward_substitutionI19rocblas_complex_numIdES1_PKPKS1_PKPS1_Lb1ELb1ELb1EEv18rocblas_operation_llT0_T1_lllT2_lllib,comdat
	.globl	_ZL40rocblas_trsm_block_backward_substitutionI19rocblas_complex_numIdES1_PKPKS1_PKPS1_Lb1ELb1ELb1EEv18rocblas_operation_llT0_T1_lllT2_lllib ; -- Begin function _ZL40rocblas_trsm_block_backward_substitutionI19rocblas_complex_numIdES1_PKPKS1_PKPS1_Lb1ELb1ELb1EEv18rocblas_operation_llT0_T1_lllT2_lllib
	.p2align	8
	.type	_ZL40rocblas_trsm_block_backward_substitutionI19rocblas_complex_numIdES1_PKPKS1_PKPS1_Lb1ELb1ELb1EEv18rocblas_operation_llT0_T1_lllT2_lllib,@function
_ZL40rocblas_trsm_block_backward_substitutionI19rocblas_complex_numIdES1_PKPKS1_PKPS1_Lb1ELb1ELb1EEv18rocblas_operation_llT0_T1_lllT2_lllib: ; @_ZL40rocblas_trsm_block_backward_substitutionI19rocblas_complex_numIdES1_PKPKS1_PKPS1_Lb1ELb1ELb1EEv18rocblas_operation_llT0_T1_lllT2_lllib
; %bb.0:
	s_load_b64 s[20:21], s[0:1], 0x68
	s_lshr_b32 s22, ttmp7, 16
	s_wait_kmcnt 0x0
	s_cmp_ge_u32 s22, s20
	s_cbranch_scc1 .LBB252_19
; %bb.1:
	s_clause 0x2
	s_load_b32 s2, s[0:1], 0x0
	s_load_u16 s3, s[0:1], 0x7e
	s_load_b64 s[30:31], s[0:1], 0x58
	s_bitcmp1_b32 s21, 0
	v_bfe_u32 v4, v0, 10, 10
	s_cselect_b32 s21, -1, 0
	v_mov_b32_e32 v6, 0
	s_add_nc_u64 s[26:27], s[0:1], 0x70
	s_mov_b64 s[28:29], src_shared_base
	v_lshl_add_u32 v13, v4, 4, 0
	s_mov_b32 s23, 0
	s_wait_kmcnt 0x0
	s_cmp_eq_u32 s2, 0x71
	s_cselect_b32 s2, -1, 0
	s_and_b32 s4, ttmp7, 0xffff
	s_delay_alu instid0(SALU_CYCLE_1)
	v_mad_co_u64_u32 v[1:2], null, s4, s3, v[4:5]
	s_clause 0x3
	s_load_b256 s[4:11], s[0:1], 0x8
	s_load_b128 s[12:15], s[0:1], 0x48
	s_load_b128 s[16:19], s[0:1], 0x28
	s_load_b64 s[24:25], s[0:1], 0x38
	v_and_b32_e32 v5, 0x3ff, v0
	s_lshl_b32 s1, s3, 4
	s_delay_alu instid0(SALU_CYCLE_1) | instskip(SKIP_1) | instid1(VALU_DEP_2)
	s_add_co_i32 s28, s1, 0
	v_mad_co_u64_u32 v[7:8], null, s30, v1, 0
	v_lshlrev_b32_e32 v16, 4, v5
	v_dual_mov_b32 v2, v6 :: v_dual_lshlrev_b32 v3, 4, v5
	s_delay_alu instid0(VALU_DEP_1) | instskip(SKIP_3) | instid1(VALU_DEP_3)
	v_dual_mov_b32 v0, v8 :: v_dual_add_nc_u32 v15, s28, v3
	v_or_b32_e32 v14, 8, v3
	s_wait_kmcnt 0x0
	v_cmp_gt_i64_e64 s0, s[4:5], v[5:6]
	v_mad_co_u64_u32 v[8:9], null, s31, v1, v[0:1]
	v_cmp_gt_i64_e32 vcc_lo, s[6:7], v[1:2]
	v_cmp_gt_i64_e64 s33, s[4:5], 0
	v_cmp_gt_i64_e64 s39, s[4:5], 1
	s_add_nc_u64 s[30:31], s[4:5], -1
	s_lshl_b64 s[18:19], s[18:19], 4
	s_wait_alu 0xfffe
	s_lshl_b64 s[6:7], s[30:31], 4
	v_lshlrev_b64_e32 v[7:8], 4, v[7:8]
	s_and_b32 s38, vcc_lo, s0
	s_lshl_b64 s[14:15], s[14:15], 4
	s_branch .LBB252_4
.LBB252_2:                              ;   in Loop: Header=BB252_4 Depth=1
	flat_store_b128 v[9:10], v[0:3]
.LBB252_3:                              ;   in Loop: Header=BB252_4 Depth=1
	s_or_b32 exec_lo, exec_lo, s1
	s_add_co_i32 s22, s22, 0x10000
	s_delay_alu instid0(SALU_CYCLE_1)
	s_cmp_lt_u32 s22, s20
	s_cbranch_scc0 .LBB252_19
.LBB252_4:                              ; =>This Loop Header: Depth=1
                                        ;     Child Loop BB252_9 Depth 2
                                        ;     Child Loop BB252_15 Depth 2
	s_lshl_b64 s[34:35], s[22:23], 3
	s_wait_alu 0xfffe
	s_add_nc_u64 s[36:37], s[16:17], s[34:35]
	s_add_nc_u64 s[34:35], s[12:13], s[34:35]
	global_load_b64 v[2:3], v6, s[36:37]
	s_wait_loadcnt 0x1
	global_load_b64 v[0:1], v6, s[34:35]
	s_mov_b64 s[34:35], s[24:25]
	s_wait_loadcnt 0x1
	v_add_co_u32 v11, vcc_lo, v2, s18
	s_wait_alu 0xfffd
	v_add_co_ci_u32_e64 v12, null, s19, v3, vcc_lo
	s_and_not1_b32 vcc_lo, exec_lo, s21
	s_wait_alu 0xfffe
	s_cbranch_vccz .LBB252_6
; %bb.5:                                ;   in Loop: Header=BB252_4 Depth=1
	s_and_saveexec_b32 s1, s38
	s_cbranch_execz .LBB252_3
	s_branch .LBB252_12
.LBB252_6:                              ;   in Loop: Header=BB252_4 Depth=1
	s_and_not1_b32 vcc_lo, exec_lo, s33
	s_wait_alu 0xfffe
	s_cbranch_vccnz .LBB252_11
; %bb.7:                                ;   in Loop: Header=BB252_4 Depth=1
	v_add_co_u32 v9, vcc_lo, v11, v16
	s_wait_alu 0xfffd
	v_add_co_ci_u32_e64 v10, null, 0, v12, vcc_lo
	s_mov_b32 s34, 0
	s_branch .LBB252_9
.LBB252_8:                              ;   in Loop: Header=BB252_9 Depth=2
	s_or_b32 exec_lo, exec_lo, s1
	s_add_co_i32 s34, s34, s3
	s_wait_alu 0xfffe
	s_ashr_i32 s35, s34, 31
	s_wait_alu 0xfffe
	v_cmp_le_i64_e64 s1, s[4:5], s[34:35]
	s_and_b32 vcc_lo, exec_lo, s1
	s_wait_alu 0xfffe
	s_cbranch_vccnz .LBB252_11
.LBB252_9:                              ;   Parent Loop BB252_4 Depth=1
                                        ; =>  This Inner Loop Header: Depth=2
	s_wait_alu 0xfffe
	v_add_nc_u32_e32 v2, s34, v4
	s_delay_alu instid0(VALU_DEP_1) | instskip(SKIP_1) | instid1(VALU_DEP_2)
	v_ashrrev_i32_e32 v3, 31, v2
	v_cmp_lt_i32_e64 s1, v5, v2
	v_cmp_gt_i64_e32 vcc_lo, s[4:5], v[2:3]
	s_and_b32 s1, s1, vcc_lo
	s_delay_alu instid0(SALU_CYCLE_1)
	s_and_b32 s35, s0, s1
	s_wait_alu 0xfffe
	s_and_saveexec_b32 s1, s35
	s_cbranch_execz .LBB252_8
; %bb.10:                               ;   in Loop: Header=BB252_9 Depth=2
	v_mul_lo_u32 v17, s25, v2
	v_mul_lo_u32 v3, s24, v3
	v_mad_co_u64_u32 v[11:12], null, s24, v2, 0
	s_load_b32 s35, s[26:27], 0xc
	v_add3_u32 v12, v12, v3, v17
	s_delay_alu instid0(VALU_DEP_1) | instskip(NEXT) | instid1(VALU_DEP_1)
	v_lshlrev_b64_e32 v[11:12], 4, v[11:12]
	v_add_co_u32 v11, vcc_lo, v9, v11
	s_wait_alu 0xfffd
	s_delay_alu instid0(VALU_DEP_2)
	v_add_co_ci_u32_e64 v12, null, v10, v12, vcc_lo
	s_wait_kmcnt 0x0
	s_and_b32 s35, s35, 0xffff
	s_wait_alu 0xfffe
	v_mul_lo_u32 v2, v2, s35
	flat_load_b128 v[17:20], v[11:12]
	v_lshl_add_u32 v2, v2, 4, v15
	s_wait_loadcnt_dscnt 0x0
	ds_store_2addr_b64 v2, v[17:18], v[19:20] offset1:1
	s_branch .LBB252_8
.LBB252_11:                             ;   in Loop: Header=BB252_4 Depth=1
	s_load_b32 s1, s[26:27], 0xc
	v_dual_mov_b32 v11, s28 :: v_dual_mov_b32 v12, s29
	s_mov_b32 s35, s23
	s_wait_kmcnt 0x0
	s_and_b32 s34, s1, 0xffff
	s_and_saveexec_b32 s1, s38
	s_cbranch_execz .LBB252_3
.LBB252_12:                             ;   in Loop: Header=BB252_4 Depth=1
	s_wait_loadcnt 0x0
	v_add_co_u32 v0, vcc_lo, v0, s14
	s_wait_alu 0xfffd
	v_add_co_ci_u32_e64 v1, null, s15, v1, vcc_lo
	s_delay_alu instid0(VALU_DEP_2) | instskip(SKIP_1) | instid1(VALU_DEP_2)
	v_add_co_u32 v0, vcc_lo, v0, v7
	s_wait_alu 0xfffd
	v_add_co_ci_u32_e64 v1, null, v1, v8, vcc_lo
	s_delay_alu instid0(VALU_DEP_2) | instskip(SKIP_1) | instid1(VALU_DEP_2)
	v_add_co_u32 v9, vcc_lo, v0, v16
	s_wait_alu 0xfffd
	v_add_co_ci_u32_e64 v10, null, 0, v1, vcc_lo
	s_and_not1_b32 vcc_lo, exec_lo, s39
	flat_load_b128 v[17:20], v[9:10]
	s_wait_loadcnt_dscnt 0x0
	v_mul_f64_e32 v[0:1], s[10:11], v[19:20]
	v_mul_f64_e32 v[2:3], s[8:9], v[19:20]
	s_delay_alu instid0(VALU_DEP_2) | instskip(NEXT) | instid1(VALU_DEP_2)
	v_fma_f64 v[0:1], s[8:9], v[17:18], -v[0:1]
	v_fma_f64 v[2:3], s[10:11], v[17:18], v[2:3]
	s_wait_alu 0xfffe
	s_cbranch_vccnz .LBB252_2
; %bb.13:                               ;   in Loop: Header=BB252_4 Depth=1
	v_add_co_u32 v11, vcc_lo, v11, v14
	s_wait_alu 0xfffd
	v_add_co_ci_u32_e64 v12, null, 0, v12, vcc_lo
	s_mul_i32 s36, s7, s34
	s_mul_i32 s37, s6, s35
	v_mad_co_u64_u32 v[11:12], null, s6, s34, v[11:12]
	s_lshl_b64 s[34:35], s[34:35], 4
	s_wait_alu 0xfffe
	s_sub_nc_u64 s[34:35], 0, s[34:35]
	v_add3_u32 v12, s37, s36, v12
	s_mov_b64 s[36:37], s[30:31]
	s_branch .LBB252_15
.LBB252_14:                             ;   in Loop: Header=BB252_15 Depth=2
	s_wait_alu 0xfffe
	s_or_b32 exec_lo, exec_lo, s40
	s_add_nc_u64 s[40:41], s[36:37], 1
	v_add_co_u32 v11, vcc_lo, v11, s34
	s_wait_alu 0xfffe
	v_cmp_lt_u64_e64 s40, s[40:41], 3
	s_wait_alu 0xfffd
	v_add_co_ci_u32_e64 v12, null, s35, v12, vcc_lo
	s_add_nc_u64 s[36:37], s[36:37], -1
	s_and_b32 vcc_lo, exec_lo, s40
	s_wait_alu 0xfffe
	s_cbranch_vccnz .LBB252_2
.LBB252_15:                             ;   Parent Loop BB252_4 Depth=1
                                        ; =>  This Inner Loop Header: Depth=2
	s_mov_b32 s40, exec_lo
	s_barrier_signal -1
	s_barrier_wait -1
	global_inv scope:SCOPE_SE
	s_wait_alu 0xfffe
	v_cmpx_eq_u64_e64 s[36:37], v[5:6]
; %bb.16:                               ;   in Loop: Header=BB252_15 Depth=2
	ds_store_2addr_b64 v13, v[0:1], v[2:3] offset1:1
; %bb.17:                               ;   in Loop: Header=BB252_15 Depth=2
	s_or_b32 exec_lo, exec_lo, s40
	s_delay_alu instid0(SALU_CYCLE_1)
	s_mov_b32 s40, exec_lo
	s_wait_loadcnt_dscnt 0x0
	s_barrier_signal -1
	s_barrier_wait -1
	global_inv scope:SCOPE_SE
	v_cmpx_gt_i64_e64 s[36:37], v[5:6]
	s_cbranch_execz .LBB252_14
; %bb.18:                               ;   in Loop: Header=BB252_15 Depth=2
	flat_load_b128 v[17:20], v[11:12] offset:-8
	ds_load_2addr_b64 v[21:24], v13 offset1:1
	s_wait_loadcnt_dscnt 0x1
	v_xor_b32_e32 v25, 0x80000000, v20
	s_delay_alu instid0(VALU_DEP_1) | instskip(SKIP_1) | instid1(VALU_DEP_1)
	v_cndmask_b32_e64 v20, v20, v25, s2
	s_wait_dscnt 0x0
	v_mul_f64_e32 v[25:26], v[19:20], v[23:24]
	v_mul_f64_e32 v[23:24], v[17:18], v[23:24]
	s_delay_alu instid0(VALU_DEP_2) | instskip(NEXT) | instid1(VALU_DEP_2)
	v_fma_f64 v[17:18], v[17:18], v[21:22], -v[25:26]
	v_fma_f64 v[19:20], v[19:20], v[21:22], v[23:24]
	s_delay_alu instid0(VALU_DEP_2) | instskip(NEXT) | instid1(VALU_DEP_2)
	v_add_f64_e64 v[0:1], v[0:1], -v[17:18]
	v_add_f64_e64 v[2:3], v[2:3], -v[19:20]
	s_branch .LBB252_14
.LBB252_19:
	s_endpgm
	.section	.rodata,"a",@progbits
	.p2align	6, 0x0
	.amdhsa_kernel _ZL40rocblas_trsm_block_backward_substitutionI19rocblas_complex_numIdES1_PKPKS1_PKPS1_Lb1ELb1ELb1EEv18rocblas_operation_llT0_T1_lllT2_lllib
		.amdhsa_group_segment_fixed_size 0
		.amdhsa_private_segment_fixed_size 0
		.amdhsa_kernarg_size 368
		.amdhsa_user_sgpr_count 2
		.amdhsa_user_sgpr_dispatch_ptr 0
		.amdhsa_user_sgpr_queue_ptr 0
		.amdhsa_user_sgpr_kernarg_segment_ptr 1
		.amdhsa_user_sgpr_dispatch_id 0
		.amdhsa_user_sgpr_private_segment_size 0
		.amdhsa_wavefront_size32 1
		.amdhsa_uses_dynamic_stack 0
		.amdhsa_enable_private_segment 0
		.amdhsa_system_sgpr_workgroup_id_x 1
		.amdhsa_system_sgpr_workgroup_id_y 1
		.amdhsa_system_sgpr_workgroup_id_z 1
		.amdhsa_system_sgpr_workgroup_info 0
		.amdhsa_system_vgpr_workitem_id 1
		.amdhsa_next_free_vgpr 27
		.amdhsa_next_free_sgpr 42
		.amdhsa_reserve_vcc 1
		.amdhsa_float_round_mode_32 0
		.amdhsa_float_round_mode_16_64 0
		.amdhsa_float_denorm_mode_32 3
		.amdhsa_float_denorm_mode_16_64 3
		.amdhsa_fp16_overflow 0
		.amdhsa_workgroup_processor_mode 1
		.amdhsa_memory_ordered 1
		.amdhsa_forward_progress 1
		.amdhsa_inst_pref_size 10
		.amdhsa_round_robin_scheduling 0
		.amdhsa_exception_fp_ieee_invalid_op 0
		.amdhsa_exception_fp_denorm_src 0
		.amdhsa_exception_fp_ieee_div_zero 0
		.amdhsa_exception_fp_ieee_overflow 0
		.amdhsa_exception_fp_ieee_underflow 0
		.amdhsa_exception_fp_ieee_inexact 0
		.amdhsa_exception_int_div_zero 0
	.end_amdhsa_kernel
	.section	.text._ZL40rocblas_trsm_block_backward_substitutionI19rocblas_complex_numIdES1_PKPKS1_PKPS1_Lb1ELb1ELb1EEv18rocblas_operation_llT0_T1_lllT2_lllib,"axG",@progbits,_ZL40rocblas_trsm_block_backward_substitutionI19rocblas_complex_numIdES1_PKPKS1_PKPS1_Lb1ELb1ELb1EEv18rocblas_operation_llT0_T1_lllT2_lllib,comdat
.Lfunc_end252:
	.size	_ZL40rocblas_trsm_block_backward_substitutionI19rocblas_complex_numIdES1_PKPKS1_PKPS1_Lb1ELb1ELb1EEv18rocblas_operation_llT0_T1_lllT2_lllib, .Lfunc_end252-_ZL40rocblas_trsm_block_backward_substitutionI19rocblas_complex_numIdES1_PKPKS1_PKPS1_Lb1ELb1ELb1EEv18rocblas_operation_llT0_T1_lllT2_lllib
                                        ; -- End function
	.set _ZL40rocblas_trsm_block_backward_substitutionI19rocblas_complex_numIdES1_PKPKS1_PKPS1_Lb1ELb1ELb1EEv18rocblas_operation_llT0_T1_lllT2_lllib.num_vgpr, 27
	.set _ZL40rocblas_trsm_block_backward_substitutionI19rocblas_complex_numIdES1_PKPKS1_PKPS1_Lb1ELb1ELb1EEv18rocblas_operation_llT0_T1_lllT2_lllib.num_agpr, 0
	.set _ZL40rocblas_trsm_block_backward_substitutionI19rocblas_complex_numIdES1_PKPKS1_PKPS1_Lb1ELb1ELb1EEv18rocblas_operation_llT0_T1_lllT2_lllib.numbered_sgpr, 42
	.set _ZL40rocblas_trsm_block_backward_substitutionI19rocblas_complex_numIdES1_PKPKS1_PKPS1_Lb1ELb1ELb1EEv18rocblas_operation_llT0_T1_lllT2_lllib.num_named_barrier, 0
	.set _ZL40rocblas_trsm_block_backward_substitutionI19rocblas_complex_numIdES1_PKPKS1_PKPS1_Lb1ELb1ELb1EEv18rocblas_operation_llT0_T1_lllT2_lllib.private_seg_size, 0
	.set _ZL40rocblas_trsm_block_backward_substitutionI19rocblas_complex_numIdES1_PKPKS1_PKPS1_Lb1ELb1ELb1EEv18rocblas_operation_llT0_T1_lllT2_lllib.uses_vcc, 1
	.set _ZL40rocblas_trsm_block_backward_substitutionI19rocblas_complex_numIdES1_PKPKS1_PKPS1_Lb1ELb1ELb1EEv18rocblas_operation_llT0_T1_lllT2_lllib.uses_flat_scratch, 0
	.set _ZL40rocblas_trsm_block_backward_substitutionI19rocblas_complex_numIdES1_PKPKS1_PKPS1_Lb1ELb1ELb1EEv18rocblas_operation_llT0_T1_lllT2_lllib.has_dyn_sized_stack, 0
	.set _ZL40rocblas_trsm_block_backward_substitutionI19rocblas_complex_numIdES1_PKPKS1_PKPS1_Lb1ELb1ELb1EEv18rocblas_operation_llT0_T1_lllT2_lllib.has_recursion, 0
	.set _ZL40rocblas_trsm_block_backward_substitutionI19rocblas_complex_numIdES1_PKPKS1_PKPS1_Lb1ELb1ELb1EEv18rocblas_operation_llT0_T1_lllT2_lllib.has_indirect_call, 0
	.section	.AMDGPU.csdata,"",@progbits
; Kernel info:
; codeLenInByte = 1180
; TotalNumSgprs: 44
; NumVgprs: 27
; ScratchSize: 0
; MemoryBound: 0
; FloatMode: 240
; IeeeMode: 1
; LDSByteSize: 0 bytes/workgroup (compile time only)
; SGPRBlocks: 0
; VGPRBlocks: 3
; NumSGPRsForWavesPerEU: 44
; NumVGPRsForWavesPerEU: 27
; Occupancy: 16
; WaveLimiterHint : 1
; COMPUTE_PGM_RSRC2:SCRATCH_EN: 0
; COMPUTE_PGM_RSRC2:USER_SGPR: 2
; COMPUTE_PGM_RSRC2:TRAP_HANDLER: 0
; COMPUTE_PGM_RSRC2:TGID_X_EN: 1
; COMPUTE_PGM_RSRC2:TGID_Y_EN: 1
; COMPUTE_PGM_RSRC2:TGID_Z_EN: 1
; COMPUTE_PGM_RSRC2:TIDIG_COMP_CNT: 1
	.section	.text._ZL39rocblas_trsm_block_forward_substitutionI19rocblas_complex_numIdES1_PKPKS1_PKPS1_Lb1ELb0ELb0EEv18rocblas_operation_llT0_T1_lllT2_lllib,"axG",@progbits,_ZL39rocblas_trsm_block_forward_substitutionI19rocblas_complex_numIdES1_PKPKS1_PKPS1_Lb1ELb0ELb0EEv18rocblas_operation_llT0_T1_lllT2_lllib,comdat
	.globl	_ZL39rocblas_trsm_block_forward_substitutionI19rocblas_complex_numIdES1_PKPKS1_PKPS1_Lb1ELb0ELb0EEv18rocblas_operation_llT0_T1_lllT2_lllib ; -- Begin function _ZL39rocblas_trsm_block_forward_substitutionI19rocblas_complex_numIdES1_PKPKS1_PKPS1_Lb1ELb0ELb0EEv18rocblas_operation_llT0_T1_lllT2_lllib
	.p2align	8
	.type	_ZL39rocblas_trsm_block_forward_substitutionI19rocblas_complex_numIdES1_PKPKS1_PKPS1_Lb1ELb0ELb0EEv18rocblas_operation_llT0_T1_lllT2_lllib,@function
_ZL39rocblas_trsm_block_forward_substitutionI19rocblas_complex_numIdES1_PKPKS1_PKPS1_Lb1ELb0ELb0EEv18rocblas_operation_llT0_T1_lllT2_lllib: ; @_ZL39rocblas_trsm_block_forward_substitutionI19rocblas_complex_numIdES1_PKPKS1_PKPS1_Lb1ELb0ELb0EEv18rocblas_operation_llT0_T1_lllT2_lllib
; %bb.0:
	s_load_b64 s[20:21], s[0:1], 0x68
	s_lshr_b32 s22, ttmp7, 16
	s_wait_kmcnt 0x0
	s_cmp_ge_u32 s22, s20
	s_cbranch_scc1 .LBB253_41
; %bb.1:
	s_clause 0x2
	s_load_b32 s2, s[0:1], 0x0
	s_load_u16 s33, s[0:1], 0x7e
	s_load_b64 s[30:31], s[0:1], 0x58
	s_bitcmp1_b32 s21, 0
	v_bfe_u32 v6, v0, 10, 10
	s_cselect_b32 s3, -1, 0
	s_clause 0x1
	s_load_b256 s[4:11], s[0:1], 0x8
	s_load_b128 s[12:15], s[0:1], 0x48
	s_xor_b32 s21, s3, -1
	v_cndmask_b32_e64 v21, 0, 1, s3
	s_clause 0x1
	s_load_b128 s[16:19], s[0:1], 0x28
	s_load_b64 s[34:35], s[0:1], 0x38
	v_mov_b32_e32 v8, 0
	s_add_nc_u64 s[24:25], s[0:1], 0x70
	s_mov_b64 s[26:27], src_shared_base
	v_lshl_add_u32 v23, v6, 4, 0
	s_mov_b32 s23, 0
	s_mov_b64 s[28:29], 1
	s_wait_kmcnt 0x0
	s_cmp_eq_u32 s2, 0x71
	s_cselect_b32 s2, -1, 0
	s_and_b32 s3, ttmp7, 0xffff
	s_lshl_b32 s0, s33, 4
	s_wait_alu 0xfffe
	v_mad_co_u64_u32 v[1:2], null, s3, s33, v[6:7]
	v_dual_mov_b32 v2, v8 :: v_dual_and_b32 v7, 0x3ff, v0
	s_add_co_i32 s26, s0, 0
	v_cmp_gt_i64_e64 s38, s[4:5], 1
	v_cmp_gt_i64_e64 s39, s[4:5], 0
	s_delay_alu instid0(VALU_DEP_3)
	v_lshlrev_b32_e32 v22, 4, v7
	v_mad_co_u64_u32 v[3:4], null, s30, v1, 0
	v_cmp_le_i64_e32 vcc_lo, s[4:5], v[7:8]
	v_cmp_gt_i64_e64 s1, s[4:5], v[7:8]
	v_cmp_gt_i64_e64 s3, s[6:7], v[1:2]
	v_add_nc_u32_e32 v24, s26, v22
	s_lshl_b64 s[6:7], s[18:19], 4
	s_lshl_b64 s[14:15], s[14:15], 4
	v_mov_b32_e32 v0, v4
	s_xor_b32 s40, vcc_lo, -1
	s_and_b32 s3, s3, s1
	s_delay_alu instid0(VALU_DEP_1)
	v_mad_co_u64_u32 v[4:5], null, s31, v1, v[0:1]
	s_add_nc_u64 s[30:31], s[4:5], -1
	s_wait_alu 0xfffe
	v_cmp_eq_u64_e64 s0, s[30:31], v[7:8]
	v_lshlrev_b64_e32 v[9:10], 4, v[3:4]
	s_branch .LBB253_6
.LBB253_2:                              ;   in Loop: Header=BB253_6 Depth=1
	s_wait_alu 0xfffe
	s_or_b32 exec_lo, exec_lo, s19
.LBB253_3:                              ;   in Loop: Header=BB253_6 Depth=1
	s_wait_loadcnt_dscnt 0x0
	s_delay_alu instid0(VALU_DEP_1) | instskip(NEXT) | instid1(VALU_DEP_3)
	v_mul_f64_e32 v[15:16], v[13:14], v[4:5]
	v_mul_f64_e32 v[13:14], v[13:14], v[2:3]
	s_delay_alu instid0(VALU_DEP_2) | instskip(NEXT) | instid1(VALU_DEP_2)
	v_fma_f64 v[2:3], v[0:1], v[2:3], -v[15:16]
	v_fma_f64 v[13:14], v[0:1], v[4:5], v[13:14]
	s_delay_alu instid0(VALU_DEP_2)
	v_dual_mov_b32 v0, v2 :: v_dual_mov_b32 v1, v3
.LBB253_4:                              ;   in Loop: Header=BB253_6 Depth=1
	s_wait_alu 0xfffe
	s_or_b32 exec_lo, exec_lo, s18
	s_delay_alu instid0(VALU_DEP_1)
	v_dual_mov_b32 v2, v13 :: v_dual_mov_b32 v3, v14
	flat_store_b128 v[11:12], v[0:3]
.LBB253_5:                              ;   in Loop: Header=BB253_6 Depth=1
	s_wait_alu 0xfffe
	s_or_b32 exec_lo, exec_lo, s1
	s_add_co_i32 s22, s22, 0x10000
	s_delay_alu instid0(SALU_CYCLE_1)
	s_cmp_lt_u32 s22, s20
	s_cbranch_scc0 .LBB253_41
.LBB253_6:                              ; =>This Loop Header: Depth=1
                                        ;     Child Loop BB253_13 Depth 2
                                        ;     Child Loop BB253_25 Depth 2
	s_lshl_b64 s[18:19], s[22:23], 3
	v_cmp_ne_u32_e32 vcc_lo, 1, v21
	s_wait_alu 0xfffe
	s_add_nc_u64 s[36:37], s[16:17], s[18:19]
	s_add_nc_u64 s[18:19], s[12:13], s[18:19]
	global_load_b64 v[0:1], v8, s[36:37]
	s_wait_loadcnt 0x1
	global_load_b64 v[4:5], v8, s[18:19]
	s_wait_loadcnt 0x1
	v_add_co_u32 v15, s1, v0, s6
	s_wait_alu 0xf1ff
	v_add_co_ci_u32_e64 v16, null, s7, v1, s1
	s_cbranch_vccz .LBB253_8
; %bb.7:                                ;   in Loop: Header=BB253_6 Depth=1
	s_and_saveexec_b32 s1, s3
	s_cbranch_execz .LBB253_5
	s_branch .LBB253_22
.LBB253_8:                              ;   in Loop: Header=BB253_6 Depth=1
	s_and_not1_b32 vcc_lo, exec_lo, s39
	s_wait_alu 0xfffe
	s_cbranch_vccnz .LBB253_21
; %bb.9:                                ;   in Loop: Header=BB253_6 Depth=1
	v_mad_co_u64_u32 v[0:1], null, s34, v7, 0
	v_mul_hi_u32_u24_e32 v3, s28, v7
	v_mov_b32_e32 v19, v6
	s_mov_b32 s18, s33
	s_delay_alu instid0(VALU_DEP_3) | instskip(SKIP_1) | instid1(VALU_DEP_1)
	v_mad_co_u64_u32 v[1:2], null, s35, v7, v[1:2]
	v_mul_u32_u24_e32 v2, s28, v7
	v_lshlrev_b64_e32 v[2:3], 4, v[2:3]
	s_delay_alu instid0(VALU_DEP_3) | instskip(NEXT) | instid1(VALU_DEP_1)
	v_lshlrev_b64_e32 v[0:1], 4, v[0:1]
	v_add_co_u32 v17, vcc_lo, v15, v0
	s_wait_alu 0xfffd
	s_delay_alu instid0(VALU_DEP_2) | instskip(NEXT) | instid1(VALU_DEP_2)
	v_add_co_ci_u32_e64 v18, null, v16, v1, vcc_lo
	v_add_co_u32 v11, vcc_lo, v17, v2
	s_wait_alu 0xfffd
	s_delay_alu instid0(VALU_DEP_2)
	v_add_co_ci_u32_e64 v12, null, v18, v3, vcc_lo
	s_branch .LBB253_13
.LBB253_10:                             ;   in Loop: Header=BB253_13 Depth=2
	s_wait_alu 0xfffe
	s_or_b32 exec_lo, exec_lo, s34
	s_load_b32 s34, s[24:25], 0xc
	s_wait_kmcnt 0x0
	s_and_b32 s34, s34, 0xffff
	s_wait_alu 0xfffe
	v_mul_u32_u24_e32 v0, s34, v7
	s_delay_alu instid0(VALU_DEP_1)
	v_lshl_add_u32 v0, v0, 4, v24
	ds_store_2addr_b64 v0, v[13:14], v[15:16] offset1:1
.LBB253_11:                             ;   in Loop: Header=BB253_13 Depth=2
	s_wait_alu 0xfffe
	s_or_b32 exec_lo, exec_lo, s19
.LBB253_12:                             ;   in Loop: Header=BB253_13 Depth=2
	s_wait_alu 0xfffe
	s_or_b32 exec_lo, exec_lo, s1
	s_ashr_i32 s19, s18, 31
	v_add_nc_u32_e32 v19, s33, v19
	s_wait_alu 0xfffe
	v_cmp_le_i64_e64 s1, s[4:5], s[18:19]
	s_add_co_i32 s18, s18, s33
	s_and_b32 vcc_lo, exec_lo, s1
	s_wait_alu 0xfffe
	s_cbranch_vccnz .LBB253_21
.LBB253_13:                             ;   Parent Loop BB253_6 Depth=1
                                        ; =>  This Inner Loop Header: Depth=2
	v_cmp_gt_i32_e32 vcc_lo, v7, v19
	s_and_b32 s1, s40, vcc_lo
	s_wait_alu 0xfffe
	s_and_saveexec_b32 s19, s1
	s_wait_alu 0xfffe
	s_xor_b32 s1, exec_lo, s19
	s_cbranch_execz .LBB253_15
; %bb.14:                               ;   in Loop: Header=BB253_13 Depth=2
	v_ashrrev_i32_e32 v2, 31, v19
	v_mul_lo_u32 v3, s29, v19
	v_mad_co_u64_u32 v[0:1], null, s28, v19, 0
	s_load_b32 s19, s[24:25], 0xc
	v_mul_lo_u32 v2, s28, v2
	s_delay_alu instid0(VALU_DEP_1) | instskip(NEXT) | instid1(VALU_DEP_1)
	v_add3_u32 v1, v1, v2, v3
	v_lshlrev_b64_e32 v[0:1], 4, v[0:1]
	s_wait_kmcnt 0x0
	s_and_b32 s19, s19, 0xffff
	s_delay_alu instid0(VALU_DEP_1) | instskip(SKIP_1) | instid1(VALU_DEP_2)
	v_add_co_u32 v0, vcc_lo, v17, v0
	s_wait_alu 0xfffd
	v_add_co_ci_u32_e64 v1, null, v18, v1, vcc_lo
	s_wait_alu 0xfffe
	v_mul_lo_u32 v13, v19, s19
	flat_load_b128 v[0:3], v[0:1]
	v_lshl_add_u32 v13, v13, 4, v24
	s_wait_loadcnt_dscnt 0x0
	ds_store_2addr_b64 v13, v[0:1], v[2:3] offset1:1
.LBB253_15:                             ;   in Loop: Header=BB253_13 Depth=2
	s_wait_alu 0xfffe
	s_and_not1_saveexec_b32 s1, s1
	s_cbranch_execz .LBB253_12
; %bb.16:                               ;   in Loop: Header=BB253_13 Depth=2
	v_cmp_eq_u32_e32 vcc_lo, v7, v19
	s_and_b32 s34, s40, vcc_lo
	s_wait_alu 0xfffe
	s_and_saveexec_b32 s19, s34
	s_cbranch_execz .LBB253_11
; %bb.17:                               ;   in Loop: Header=BB253_13 Depth=2
	flat_load_b128 v[0:3], v[11:12]
                                        ; implicit-def: $vgpr13_vgpr14
	s_wait_loadcnt_dscnt 0x0
	v_cmp_ngt_f64_e64 s34, |v[0:1]|, |v[2:3]|
	s_and_saveexec_b32 s35, s34
	s_wait_alu 0xfffe
	s_xor_b32 s34, exec_lo, s35
                                        ; implicit-def: $vgpr15_vgpr16
	s_cbranch_execz .LBB253_19
; %bb.18:                               ;   in Loop: Header=BB253_13 Depth=2
	v_div_scale_f64 v[13:14], null, v[2:3], v[2:3], v[0:1]
	v_div_scale_f64 v[27:28], vcc_lo, v[0:1], v[2:3], v[0:1]
	s_delay_alu instid0(VALU_DEP_2) | instskip(NEXT) | instid1(TRANS32_DEP_1)
	v_rcp_f64_e32 v[15:16], v[13:14]
	v_fma_f64 v[25:26], -v[13:14], v[15:16], 1.0
	s_delay_alu instid0(VALU_DEP_1) | instskip(NEXT) | instid1(VALU_DEP_1)
	v_fma_f64 v[15:16], v[15:16], v[25:26], v[15:16]
	v_fma_f64 v[25:26], -v[13:14], v[15:16], 1.0
	s_delay_alu instid0(VALU_DEP_1) | instskip(NEXT) | instid1(VALU_DEP_1)
	v_fma_f64 v[15:16], v[15:16], v[25:26], v[15:16]
	v_mul_f64_e32 v[25:26], v[27:28], v[15:16]
	s_delay_alu instid0(VALU_DEP_1) | instskip(SKIP_1) | instid1(VALU_DEP_1)
	v_fma_f64 v[13:14], -v[13:14], v[25:26], v[27:28]
	s_wait_alu 0xfffd
	v_div_fmas_f64 v[13:14], v[13:14], v[15:16], v[25:26]
	s_delay_alu instid0(VALU_DEP_1) | instskip(NEXT) | instid1(VALU_DEP_1)
	v_div_fixup_f64 v[13:14], v[13:14], v[2:3], v[0:1]
	v_fma_f64 v[0:1], v[0:1], v[13:14], v[2:3]
	s_delay_alu instid0(VALU_DEP_1) | instskip(NEXT) | instid1(VALU_DEP_1)
	v_div_scale_f64 v[2:3], null, v[0:1], v[0:1], 1.0
	v_rcp_f64_e32 v[15:16], v[2:3]
	s_delay_alu instid0(TRANS32_DEP_1) | instskip(NEXT) | instid1(VALU_DEP_1)
	v_fma_f64 v[25:26], -v[2:3], v[15:16], 1.0
	v_fma_f64 v[15:16], v[15:16], v[25:26], v[15:16]
	s_delay_alu instid0(VALU_DEP_1) | instskip(NEXT) | instid1(VALU_DEP_1)
	v_fma_f64 v[25:26], -v[2:3], v[15:16], 1.0
	v_fma_f64 v[15:16], v[15:16], v[25:26], v[15:16]
	v_div_scale_f64 v[25:26], vcc_lo, 1.0, v[0:1], 1.0
	s_delay_alu instid0(VALU_DEP_1) | instskip(NEXT) | instid1(VALU_DEP_1)
	v_mul_f64_e32 v[27:28], v[25:26], v[15:16]
	v_fma_f64 v[2:3], -v[2:3], v[27:28], v[25:26]
	s_wait_alu 0xfffd
	s_delay_alu instid0(VALU_DEP_1) | instskip(NEXT) | instid1(VALU_DEP_1)
	v_div_fmas_f64 v[2:3], v[2:3], v[15:16], v[27:28]
	v_div_fixup_f64 v[15:16], v[2:3], v[0:1], 1.0
                                        ; implicit-def: $vgpr0_vgpr1
	s_delay_alu instid0(VALU_DEP_1)
	v_mul_f64_e32 v[13:14], v[13:14], v[15:16]
	v_xor_b32_e32 v16, 0x80000000, v16
.LBB253_19:                             ;   in Loop: Header=BB253_13 Depth=2
	s_wait_alu 0xfffe
	s_and_not1_saveexec_b32 s34, s34
	s_cbranch_execz .LBB253_10
; %bb.20:                               ;   in Loop: Header=BB253_13 Depth=2
	v_div_scale_f64 v[13:14], null, v[0:1], v[0:1], v[2:3]
	v_div_scale_f64 v[27:28], vcc_lo, v[2:3], v[0:1], v[2:3]
	s_delay_alu instid0(VALU_DEP_2) | instskip(NEXT) | instid1(TRANS32_DEP_1)
	v_rcp_f64_e32 v[15:16], v[13:14]
	v_fma_f64 v[25:26], -v[13:14], v[15:16], 1.0
	s_delay_alu instid0(VALU_DEP_1) | instskip(NEXT) | instid1(VALU_DEP_1)
	v_fma_f64 v[15:16], v[15:16], v[25:26], v[15:16]
	v_fma_f64 v[25:26], -v[13:14], v[15:16], 1.0
	s_delay_alu instid0(VALU_DEP_1) | instskip(NEXT) | instid1(VALU_DEP_1)
	v_fma_f64 v[15:16], v[15:16], v[25:26], v[15:16]
	v_mul_f64_e32 v[25:26], v[27:28], v[15:16]
	s_delay_alu instid0(VALU_DEP_1) | instskip(SKIP_1) | instid1(VALU_DEP_1)
	v_fma_f64 v[13:14], -v[13:14], v[25:26], v[27:28]
	s_wait_alu 0xfffd
	v_div_fmas_f64 v[13:14], v[13:14], v[15:16], v[25:26]
	s_delay_alu instid0(VALU_DEP_1) | instskip(NEXT) | instid1(VALU_DEP_1)
	v_div_fixup_f64 v[15:16], v[13:14], v[0:1], v[2:3]
	v_fma_f64 v[0:1], v[2:3], v[15:16], v[0:1]
	s_delay_alu instid0(VALU_DEP_1) | instskip(NEXT) | instid1(VALU_DEP_1)
	v_div_scale_f64 v[2:3], null, v[0:1], v[0:1], 1.0
	v_rcp_f64_e32 v[13:14], v[2:3]
	s_delay_alu instid0(TRANS32_DEP_1) | instskip(NEXT) | instid1(VALU_DEP_1)
	v_fma_f64 v[25:26], -v[2:3], v[13:14], 1.0
	v_fma_f64 v[13:14], v[13:14], v[25:26], v[13:14]
	s_delay_alu instid0(VALU_DEP_1) | instskip(NEXT) | instid1(VALU_DEP_1)
	v_fma_f64 v[25:26], -v[2:3], v[13:14], 1.0
	v_fma_f64 v[13:14], v[13:14], v[25:26], v[13:14]
	v_div_scale_f64 v[25:26], vcc_lo, 1.0, v[0:1], 1.0
	s_delay_alu instid0(VALU_DEP_1) | instskip(NEXT) | instid1(VALU_DEP_1)
	v_mul_f64_e32 v[27:28], v[25:26], v[13:14]
	v_fma_f64 v[2:3], -v[2:3], v[27:28], v[25:26]
	s_wait_alu 0xfffd
	s_delay_alu instid0(VALU_DEP_1) | instskip(NEXT) | instid1(VALU_DEP_1)
	v_div_fmas_f64 v[2:3], v[2:3], v[13:14], v[27:28]
	v_div_fixup_f64 v[13:14], v[2:3], v[0:1], 1.0
	s_delay_alu instid0(VALU_DEP_1)
	v_mul_f64_e64 v[15:16], v[15:16], -v[13:14]
	s_branch .LBB253_10
.LBB253_21:                             ;   in Loop: Header=BB253_6 Depth=1
	s_load_b32 s1, s[24:25], 0xc
	v_dual_mov_b32 v15, s26 :: v_dual_mov_b32 v16, s27
	s_mov_b32 s29, s23
	s_mov_b64 s[34:35], 1
	s_wait_kmcnt 0x0
	s_and_b32 s28, s1, 0xffff
	s_and_saveexec_b32 s1, s3
	s_cbranch_execz .LBB253_5
.LBB253_22:                             ;   in Loop: Header=BB253_6 Depth=1
	s_wait_loadcnt 0x0
	v_add_co_u32 v0, vcc_lo, v4, s14
	s_wait_alu 0xfffd
	v_add_co_ci_u32_e64 v1, null, s15, v5, vcc_lo
	v_lshlrev_b32_e32 v2, 4, v7
	s_delay_alu instid0(VALU_DEP_3) | instskip(SKIP_1) | instid1(VALU_DEP_3)
	v_add_co_u32 v0, vcc_lo, v0, v9
	s_wait_alu 0xfffd
	v_add_co_ci_u32_e64 v1, null, v1, v10, vcc_lo
	s_delay_alu instid0(VALU_DEP_2) | instskip(SKIP_1) | instid1(VALU_DEP_2)
	v_add_co_u32 v11, vcc_lo, v0, v2
	s_wait_alu 0xfffd
	v_add_co_ci_u32_e64 v12, null, 0, v1, vcc_lo
	s_and_not1_b32 vcc_lo, exec_lo, s38
	flat_load_b128 v[2:5], v[11:12]
	s_wait_loadcnt_dscnt 0x0
	v_mul_f64_e32 v[0:1], s[10:11], v[4:5]
	v_mul_f64_e32 v[4:5], s[8:9], v[4:5]
	s_delay_alu instid0(VALU_DEP_2) | instskip(NEXT) | instid1(VALU_DEP_2)
	v_fma_f64 v[0:1], s[8:9], v[2:3], -v[0:1]
	v_fma_f64 v[13:14], s[10:11], v[2:3], v[4:5]
	s_wait_alu 0xfffe
	s_cbranch_vccnz .LBB253_35
; %bb.23:                               ;   in Loop: Header=BB253_6 Depth=1
	s_add_nc_u64 s[18:19], s[28:29], s[34:35]
	s_mov_b64 s[36:37], 0
	s_wait_alu 0xfffe
	v_mad_co_u64_u32 v[2:3], null, s18, v7, 0
	s_delay_alu instid0(VALU_DEP_1) | instskip(SKIP_4) | instid1(VALU_DEP_2)
	v_mad_co_u64_u32 v[3:4], null, s19, v7, v[3:4]
	v_mad_co_u64_u32 v[4:5], null, v22, s34, v[15:16]
	s_lshl_b64 s[18:19], s[28:29], 4
	v_lshlrev_b64_e32 v[2:3], 4, v[2:3]
	v_mad_co_u64_u32 v[25:26], null, v22, s35, v[5:6]
	v_add_co_u32 v17, vcc_lo, v15, v2
	s_wait_alu 0xfffd
	s_delay_alu instid0(VALU_DEP_3) | instskip(SKIP_2) | instid1(VALU_DEP_4)
	v_add_co_ci_u32_e64 v18, null, v16, v3, vcc_lo
	v_add_co_u32 v19, vcc_lo, v4, 8
	s_wait_alu 0xfffd
	v_add_co_ci_u32_e64 v20, null, 0, v25, vcc_lo
	s_branch .LBB253_25
.LBB253_24:                             ;   in Loop: Header=BB253_25 Depth=2
	s_or_b32 exec_lo, exec_lo, s41
	s_wait_alu 0xfffe
	v_add_co_u32 v19, vcc_lo, v19, s18
	s_wait_alu 0xfffd
	v_add_co_ci_u32_e64 v20, null, s19, v20, vcc_lo
	s_add_nc_u64 s[36:37], s[36:37], 1
	s_wait_alu 0xfffe
	s_cmp_eq_u64 s[30:31], s[36:37]
	s_cbranch_scc1 .LBB253_35
.LBB253_25:                             ;   Parent Loop BB253_6 Depth=1
                                        ; =>  This Inner Loop Header: Depth=2
	s_mov_b32 s41, exec_lo
	s_barrier_signal -1
	s_barrier_wait -1
	global_inv scope:SCOPE_SE
	v_cmpx_eq_u64_e64 s[36:37], v[7:8]
	s_cbranch_execz .LBB253_33
; %bb.26:                               ;   in Loop: Header=BB253_25 Depth=2
	flat_load_b128 v[2:5], v[17:18]
	s_and_not1_b32 vcc_lo, exec_lo, s21
	s_wait_alu 0xfffe
	s_cbranch_vccnz .LBB253_32
; %bb.27:                               ;   in Loop: Header=BB253_25 Depth=2
	s_wait_loadcnt_dscnt 0x0
	v_cmp_ngt_f64_e64 s42, |v[2:3]|, |v[4:5]|
	s_and_saveexec_b32 s43, s42
	s_delay_alu instid0(SALU_CYCLE_1)
	s_xor_b32 s42, exec_lo, s43
	s_cbranch_execz .LBB253_29
; %bb.28:                               ;   in Loop: Header=BB253_25 Depth=2
	v_div_scale_f64 v[25:26], null, v[4:5], v[4:5], v[2:3]
	v_div_scale_f64 v[31:32], vcc_lo, v[2:3], v[4:5], v[2:3]
	s_delay_alu instid0(VALU_DEP_2) | instskip(NEXT) | instid1(TRANS32_DEP_1)
	v_rcp_f64_e32 v[27:28], v[25:26]
	v_fma_f64 v[29:30], -v[25:26], v[27:28], 1.0
	s_delay_alu instid0(VALU_DEP_1) | instskip(NEXT) | instid1(VALU_DEP_1)
	v_fma_f64 v[27:28], v[27:28], v[29:30], v[27:28]
	v_fma_f64 v[29:30], -v[25:26], v[27:28], 1.0
	s_delay_alu instid0(VALU_DEP_1) | instskip(NEXT) | instid1(VALU_DEP_1)
	v_fma_f64 v[27:28], v[27:28], v[29:30], v[27:28]
	v_mul_f64_e32 v[29:30], v[31:32], v[27:28]
	s_delay_alu instid0(VALU_DEP_1) | instskip(SKIP_1) | instid1(VALU_DEP_1)
	v_fma_f64 v[25:26], -v[25:26], v[29:30], v[31:32]
	s_wait_alu 0xfffd
	v_div_fmas_f64 v[25:26], v[25:26], v[27:28], v[29:30]
	s_delay_alu instid0(VALU_DEP_1) | instskip(NEXT) | instid1(VALU_DEP_1)
	v_div_fixup_f64 v[25:26], v[25:26], v[4:5], v[2:3]
	v_fma_f64 v[2:3], v[2:3], v[25:26], v[4:5]
	s_delay_alu instid0(VALU_DEP_1) | instskip(NEXT) | instid1(VALU_DEP_1)
	v_div_scale_f64 v[4:5], null, v[2:3], v[2:3], 1.0
	v_rcp_f64_e32 v[27:28], v[4:5]
	s_delay_alu instid0(TRANS32_DEP_1) | instskip(NEXT) | instid1(VALU_DEP_1)
	v_fma_f64 v[29:30], -v[4:5], v[27:28], 1.0
	v_fma_f64 v[27:28], v[27:28], v[29:30], v[27:28]
	s_delay_alu instid0(VALU_DEP_1) | instskip(NEXT) | instid1(VALU_DEP_1)
	v_fma_f64 v[29:30], -v[4:5], v[27:28], 1.0
	v_fma_f64 v[27:28], v[27:28], v[29:30], v[27:28]
	v_div_scale_f64 v[29:30], vcc_lo, 1.0, v[2:3], 1.0
	s_delay_alu instid0(VALU_DEP_1) | instskip(NEXT) | instid1(VALU_DEP_1)
	v_mul_f64_e32 v[31:32], v[29:30], v[27:28]
	v_fma_f64 v[4:5], -v[4:5], v[31:32], v[29:30]
	s_wait_alu 0xfffd
	s_delay_alu instid0(VALU_DEP_1) | instskip(NEXT) | instid1(VALU_DEP_1)
	v_div_fmas_f64 v[4:5], v[4:5], v[27:28], v[31:32]
	v_div_fixup_f64 v[4:5], v[4:5], v[2:3], 1.0
	s_delay_alu instid0(VALU_DEP_1)
	v_mul_f64_e32 v[2:3], v[25:26], v[4:5]
	v_xor_b32_e32 v5, 0x80000000, v5
.LBB253_29:                             ;   in Loop: Header=BB253_25 Depth=2
	s_and_not1_saveexec_b32 s42, s42
	s_cbranch_execz .LBB253_31
; %bb.30:                               ;   in Loop: Header=BB253_25 Depth=2
	s_delay_alu instid0(VALU_DEP_1) | instskip(SKIP_1) | instid1(VALU_DEP_2)
	v_div_scale_f64 v[25:26], null, v[2:3], v[2:3], v[4:5]
	v_div_scale_f64 v[31:32], vcc_lo, v[4:5], v[2:3], v[4:5]
	v_rcp_f64_e32 v[27:28], v[25:26]
	s_delay_alu instid0(TRANS32_DEP_1) | instskip(NEXT) | instid1(VALU_DEP_1)
	v_fma_f64 v[29:30], -v[25:26], v[27:28], 1.0
	v_fma_f64 v[27:28], v[27:28], v[29:30], v[27:28]
	s_delay_alu instid0(VALU_DEP_1) | instskip(NEXT) | instid1(VALU_DEP_1)
	v_fma_f64 v[29:30], -v[25:26], v[27:28], 1.0
	v_fma_f64 v[27:28], v[27:28], v[29:30], v[27:28]
	s_delay_alu instid0(VALU_DEP_1) | instskip(NEXT) | instid1(VALU_DEP_1)
	v_mul_f64_e32 v[29:30], v[31:32], v[27:28]
	v_fma_f64 v[25:26], -v[25:26], v[29:30], v[31:32]
	s_wait_alu 0xfffd
	s_delay_alu instid0(VALU_DEP_1) | instskip(NEXT) | instid1(VALU_DEP_1)
	v_div_fmas_f64 v[25:26], v[25:26], v[27:28], v[29:30]
	v_div_fixup_f64 v[25:26], v[25:26], v[2:3], v[4:5]
	s_delay_alu instid0(VALU_DEP_1) | instskip(NEXT) | instid1(VALU_DEP_1)
	v_fma_f64 v[2:3], v[4:5], v[25:26], v[2:3]
	v_div_scale_f64 v[4:5], null, v[2:3], v[2:3], 1.0
	s_delay_alu instid0(VALU_DEP_1) | instskip(NEXT) | instid1(TRANS32_DEP_1)
	v_rcp_f64_e32 v[27:28], v[4:5]
	v_fma_f64 v[29:30], -v[4:5], v[27:28], 1.0
	s_delay_alu instid0(VALU_DEP_1) | instskip(NEXT) | instid1(VALU_DEP_1)
	v_fma_f64 v[27:28], v[27:28], v[29:30], v[27:28]
	v_fma_f64 v[29:30], -v[4:5], v[27:28], 1.0
	s_delay_alu instid0(VALU_DEP_1) | instskip(SKIP_1) | instid1(VALU_DEP_1)
	v_fma_f64 v[27:28], v[27:28], v[29:30], v[27:28]
	v_div_scale_f64 v[29:30], vcc_lo, 1.0, v[2:3], 1.0
	v_mul_f64_e32 v[31:32], v[29:30], v[27:28]
	s_delay_alu instid0(VALU_DEP_1) | instskip(SKIP_1) | instid1(VALU_DEP_1)
	v_fma_f64 v[4:5], -v[4:5], v[31:32], v[29:30]
	s_wait_alu 0xfffd
	v_div_fmas_f64 v[4:5], v[4:5], v[27:28], v[31:32]
	s_delay_alu instid0(VALU_DEP_1) | instskip(NEXT) | instid1(VALU_DEP_1)
	v_div_fixup_f64 v[2:3], v[4:5], v[2:3], 1.0
	v_mul_f64_e64 v[4:5], v[25:26], -v[2:3]
.LBB253_31:                             ;   in Loop: Header=BB253_25 Depth=2
	s_or_b32 exec_lo, exec_lo, s42
.LBB253_32:                             ;   in Loop: Header=BB253_25 Depth=2
	s_wait_loadcnt_dscnt 0x0
	s_delay_alu instid0(VALU_DEP_1) | instskip(SKIP_1) | instid1(VALU_DEP_2)
	v_mul_f64_e32 v[25:26], v[13:14], v[4:5]
	v_mul_f64_e32 v[4:5], v[0:1], v[4:5]
	v_fma_f64 v[25:26], v[0:1], v[2:3], -v[25:26]
	s_delay_alu instid0(VALU_DEP_2) | instskip(NEXT) | instid1(VALU_DEP_2)
	v_fma_f64 v[13:14], v[13:14], v[2:3], v[4:5]
	v_dual_mov_b32 v0, v25 :: v_dual_mov_b32 v1, v26
	ds_store_2addr_b64 v23, v[25:26], v[13:14] offset1:1
.LBB253_33:                             ;   in Loop: Header=BB253_25 Depth=2
	s_or_b32 exec_lo, exec_lo, s41
	s_delay_alu instid0(SALU_CYCLE_1)
	s_mov_b32 s41, exec_lo
	s_wait_loadcnt_dscnt 0x0
	s_barrier_signal -1
	s_barrier_wait -1
	global_inv scope:SCOPE_SE
	v_cmpx_lt_u64_e64 s[36:37], v[7:8]
	s_cbranch_execz .LBB253_24
; %bb.34:                               ;   in Loop: Header=BB253_25 Depth=2
	flat_load_b128 v[2:5], v[19:20] offset:-8
	ds_load_2addr_b64 v[25:28], v23 offset1:1
	s_wait_loadcnt_dscnt 0x1
	v_xor_b32_e32 v29, 0x80000000, v5
	s_delay_alu instid0(VALU_DEP_1) | instskip(SKIP_1) | instid1(VALU_DEP_1)
	v_cndmask_b32_e64 v5, v5, v29, s2
	s_wait_dscnt 0x0
	v_mul_f64_e32 v[29:30], v[4:5], v[27:28]
	v_mul_f64_e32 v[27:28], v[2:3], v[27:28]
	s_delay_alu instid0(VALU_DEP_2) | instskip(NEXT) | instid1(VALU_DEP_2)
	v_fma_f64 v[2:3], v[2:3], v[25:26], -v[29:30]
	v_fma_f64 v[4:5], v[4:5], v[25:26], v[27:28]
	s_delay_alu instid0(VALU_DEP_2) | instskip(NEXT) | instid1(VALU_DEP_2)
	v_add_f64_e64 v[0:1], v[0:1], -v[2:3]
	v_add_f64_e64 v[13:14], v[13:14], -v[4:5]
	s_branch .LBB253_24
.LBB253_35:                             ;   in Loop: Header=BB253_6 Depth=1
	s_and_saveexec_b32 s18, s0
	s_cbranch_execz .LBB253_4
; %bb.36:                               ;   in Loop: Header=BB253_6 Depth=1
	s_add_nc_u64 s[36:37], s[28:29], s[34:35]
	s_wait_alu 0xfffe
	v_mad_co_u64_u32 v[2:3], null, s36, v7, 0
	s_delay_alu instid0(VALU_DEP_1) | instskip(NEXT) | instid1(VALU_DEP_1)
	v_mad_co_u64_u32 v[3:4], null, s37, v7, v[3:4]
	v_lshlrev_b64_e32 v[2:3], 4, v[2:3]
	s_delay_alu instid0(VALU_DEP_1) | instskip(SKIP_1) | instid1(VALU_DEP_2)
	v_add_co_u32 v2, vcc_lo, v15, v2
	s_wait_alu 0xfffd
	v_add_co_ci_u32_e64 v3, null, v16, v3, vcc_lo
	s_and_not1_b32 vcc_lo, exec_lo, s21
	flat_load_b128 v[2:5], v[2:3]
	s_wait_alu 0xfffe
	s_cbranch_vccnz .LBB253_3
; %bb.37:                               ;   in Loop: Header=BB253_6 Depth=1
	s_wait_loadcnt_dscnt 0x0
	v_cmp_ngt_f64_e64 s19, |v[2:3]|, |v[4:5]|
	s_and_saveexec_b32 s36, s19
	s_wait_alu 0xfffe
	s_xor_b32 s19, exec_lo, s36
	s_cbranch_execz .LBB253_39
; %bb.38:                               ;   in Loop: Header=BB253_6 Depth=1
	v_div_scale_f64 v[15:16], null, v[4:5], v[4:5], v[2:3]
	v_div_scale_f64 v[25:26], vcc_lo, v[2:3], v[4:5], v[2:3]
	s_delay_alu instid0(VALU_DEP_2) | instskip(NEXT) | instid1(TRANS32_DEP_1)
	v_rcp_f64_e32 v[17:18], v[15:16]
	v_fma_f64 v[19:20], -v[15:16], v[17:18], 1.0
	s_delay_alu instid0(VALU_DEP_1) | instskip(NEXT) | instid1(VALU_DEP_1)
	v_fma_f64 v[17:18], v[17:18], v[19:20], v[17:18]
	v_fma_f64 v[19:20], -v[15:16], v[17:18], 1.0
	s_delay_alu instid0(VALU_DEP_1) | instskip(NEXT) | instid1(VALU_DEP_1)
	v_fma_f64 v[17:18], v[17:18], v[19:20], v[17:18]
	v_mul_f64_e32 v[19:20], v[25:26], v[17:18]
	s_delay_alu instid0(VALU_DEP_1) | instskip(SKIP_1) | instid1(VALU_DEP_1)
	v_fma_f64 v[15:16], -v[15:16], v[19:20], v[25:26]
	s_wait_alu 0xfffd
	v_div_fmas_f64 v[15:16], v[15:16], v[17:18], v[19:20]
	s_delay_alu instid0(VALU_DEP_1) | instskip(NEXT) | instid1(VALU_DEP_1)
	v_div_fixup_f64 v[15:16], v[15:16], v[4:5], v[2:3]
	v_fma_f64 v[2:3], v[2:3], v[15:16], v[4:5]
	s_delay_alu instid0(VALU_DEP_1) | instskip(NEXT) | instid1(VALU_DEP_1)
	v_div_scale_f64 v[4:5], null, v[2:3], v[2:3], 1.0
	v_rcp_f64_e32 v[17:18], v[4:5]
	s_delay_alu instid0(TRANS32_DEP_1) | instskip(NEXT) | instid1(VALU_DEP_1)
	v_fma_f64 v[19:20], -v[4:5], v[17:18], 1.0
	v_fma_f64 v[17:18], v[17:18], v[19:20], v[17:18]
	s_delay_alu instid0(VALU_DEP_1) | instskip(NEXT) | instid1(VALU_DEP_1)
	v_fma_f64 v[19:20], -v[4:5], v[17:18], 1.0
	v_fma_f64 v[17:18], v[17:18], v[19:20], v[17:18]
	v_div_scale_f64 v[19:20], vcc_lo, 1.0, v[2:3], 1.0
	s_delay_alu instid0(VALU_DEP_1) | instskip(NEXT) | instid1(VALU_DEP_1)
	v_mul_f64_e32 v[25:26], v[19:20], v[17:18]
	v_fma_f64 v[4:5], -v[4:5], v[25:26], v[19:20]
	s_wait_alu 0xfffd
	s_delay_alu instid0(VALU_DEP_1) | instskip(NEXT) | instid1(VALU_DEP_1)
	v_div_fmas_f64 v[4:5], v[4:5], v[17:18], v[25:26]
	v_div_fixup_f64 v[4:5], v[4:5], v[2:3], 1.0
	s_delay_alu instid0(VALU_DEP_1)
	v_mul_f64_e32 v[2:3], v[15:16], v[4:5]
	v_xor_b32_e32 v5, 0x80000000, v5
.LBB253_39:                             ;   in Loop: Header=BB253_6 Depth=1
	s_wait_alu 0xfffe
	s_and_not1_saveexec_b32 s19, s19
	s_cbranch_execz .LBB253_2
; %bb.40:                               ;   in Loop: Header=BB253_6 Depth=1
	s_delay_alu instid0(VALU_DEP_1) | instskip(SKIP_1) | instid1(VALU_DEP_2)
	v_div_scale_f64 v[15:16], null, v[2:3], v[2:3], v[4:5]
	v_div_scale_f64 v[25:26], vcc_lo, v[4:5], v[2:3], v[4:5]
	v_rcp_f64_e32 v[17:18], v[15:16]
	s_delay_alu instid0(TRANS32_DEP_1) | instskip(NEXT) | instid1(VALU_DEP_1)
	v_fma_f64 v[19:20], -v[15:16], v[17:18], 1.0
	v_fma_f64 v[17:18], v[17:18], v[19:20], v[17:18]
	s_delay_alu instid0(VALU_DEP_1) | instskip(NEXT) | instid1(VALU_DEP_1)
	v_fma_f64 v[19:20], -v[15:16], v[17:18], 1.0
	v_fma_f64 v[17:18], v[17:18], v[19:20], v[17:18]
	s_delay_alu instid0(VALU_DEP_1) | instskip(NEXT) | instid1(VALU_DEP_1)
	v_mul_f64_e32 v[19:20], v[25:26], v[17:18]
	v_fma_f64 v[15:16], -v[15:16], v[19:20], v[25:26]
	s_wait_alu 0xfffd
	s_delay_alu instid0(VALU_DEP_1) | instskip(NEXT) | instid1(VALU_DEP_1)
	v_div_fmas_f64 v[15:16], v[15:16], v[17:18], v[19:20]
	v_div_fixup_f64 v[15:16], v[15:16], v[2:3], v[4:5]
	s_delay_alu instid0(VALU_DEP_1) | instskip(NEXT) | instid1(VALU_DEP_1)
	v_fma_f64 v[2:3], v[4:5], v[15:16], v[2:3]
	v_div_scale_f64 v[4:5], null, v[2:3], v[2:3], 1.0
	s_delay_alu instid0(VALU_DEP_1) | instskip(NEXT) | instid1(TRANS32_DEP_1)
	v_rcp_f64_e32 v[17:18], v[4:5]
	v_fma_f64 v[19:20], -v[4:5], v[17:18], 1.0
	s_delay_alu instid0(VALU_DEP_1) | instskip(NEXT) | instid1(VALU_DEP_1)
	v_fma_f64 v[17:18], v[17:18], v[19:20], v[17:18]
	v_fma_f64 v[19:20], -v[4:5], v[17:18], 1.0
	s_delay_alu instid0(VALU_DEP_1) | instskip(SKIP_1) | instid1(VALU_DEP_1)
	v_fma_f64 v[17:18], v[17:18], v[19:20], v[17:18]
	v_div_scale_f64 v[19:20], vcc_lo, 1.0, v[2:3], 1.0
	v_mul_f64_e32 v[25:26], v[19:20], v[17:18]
	s_delay_alu instid0(VALU_DEP_1) | instskip(SKIP_1) | instid1(VALU_DEP_1)
	v_fma_f64 v[4:5], -v[4:5], v[25:26], v[19:20]
	s_wait_alu 0xfffd
	v_div_fmas_f64 v[4:5], v[4:5], v[17:18], v[25:26]
	s_delay_alu instid0(VALU_DEP_1) | instskip(NEXT) | instid1(VALU_DEP_1)
	v_div_fixup_f64 v[2:3], v[4:5], v[2:3], 1.0
	v_mul_f64_e64 v[4:5], v[15:16], -v[2:3]
	s_branch .LBB253_2
.LBB253_41:
	s_endpgm
	.section	.rodata,"a",@progbits
	.p2align	6, 0x0
	.amdhsa_kernel _ZL39rocblas_trsm_block_forward_substitutionI19rocblas_complex_numIdES1_PKPKS1_PKPS1_Lb1ELb0ELb0EEv18rocblas_operation_llT0_T1_lllT2_lllib
		.amdhsa_group_segment_fixed_size 0
		.amdhsa_private_segment_fixed_size 0
		.amdhsa_kernarg_size 368
		.amdhsa_user_sgpr_count 2
		.amdhsa_user_sgpr_dispatch_ptr 0
		.amdhsa_user_sgpr_queue_ptr 0
		.amdhsa_user_sgpr_kernarg_segment_ptr 1
		.amdhsa_user_sgpr_dispatch_id 0
		.amdhsa_user_sgpr_private_segment_size 0
		.amdhsa_wavefront_size32 1
		.amdhsa_uses_dynamic_stack 0
		.amdhsa_enable_private_segment 0
		.amdhsa_system_sgpr_workgroup_id_x 1
		.amdhsa_system_sgpr_workgroup_id_y 1
		.amdhsa_system_sgpr_workgroup_id_z 1
		.amdhsa_system_sgpr_workgroup_info 0
		.amdhsa_system_vgpr_workitem_id 1
		.amdhsa_next_free_vgpr 33
		.amdhsa_next_free_sgpr 44
		.amdhsa_reserve_vcc 1
		.amdhsa_float_round_mode_32 0
		.amdhsa_float_round_mode_16_64 0
		.amdhsa_float_denorm_mode_32 3
		.amdhsa_float_denorm_mode_16_64 3
		.amdhsa_fp16_overflow 0
		.amdhsa_workgroup_processor_mode 1
		.amdhsa_memory_ordered 1
		.amdhsa_forward_progress 1
		.amdhsa_inst_pref_size 25
		.amdhsa_round_robin_scheduling 0
		.amdhsa_exception_fp_ieee_invalid_op 0
		.amdhsa_exception_fp_denorm_src 0
		.amdhsa_exception_fp_ieee_div_zero 0
		.amdhsa_exception_fp_ieee_overflow 0
		.amdhsa_exception_fp_ieee_underflow 0
		.amdhsa_exception_fp_ieee_inexact 0
		.amdhsa_exception_int_div_zero 0
	.end_amdhsa_kernel
	.section	.text._ZL39rocblas_trsm_block_forward_substitutionI19rocblas_complex_numIdES1_PKPKS1_PKPS1_Lb1ELb0ELb0EEv18rocblas_operation_llT0_T1_lllT2_lllib,"axG",@progbits,_ZL39rocblas_trsm_block_forward_substitutionI19rocblas_complex_numIdES1_PKPKS1_PKPS1_Lb1ELb0ELb0EEv18rocblas_operation_llT0_T1_lllT2_lllib,comdat
.Lfunc_end253:
	.size	_ZL39rocblas_trsm_block_forward_substitutionI19rocblas_complex_numIdES1_PKPKS1_PKPS1_Lb1ELb0ELb0EEv18rocblas_operation_llT0_T1_lllT2_lllib, .Lfunc_end253-_ZL39rocblas_trsm_block_forward_substitutionI19rocblas_complex_numIdES1_PKPKS1_PKPS1_Lb1ELb0ELb0EEv18rocblas_operation_llT0_T1_lllT2_lllib
                                        ; -- End function
	.set _ZL39rocblas_trsm_block_forward_substitutionI19rocblas_complex_numIdES1_PKPKS1_PKPS1_Lb1ELb0ELb0EEv18rocblas_operation_llT0_T1_lllT2_lllib.num_vgpr, 33
	.set _ZL39rocblas_trsm_block_forward_substitutionI19rocblas_complex_numIdES1_PKPKS1_PKPS1_Lb1ELb0ELb0EEv18rocblas_operation_llT0_T1_lllT2_lllib.num_agpr, 0
	.set _ZL39rocblas_trsm_block_forward_substitutionI19rocblas_complex_numIdES1_PKPKS1_PKPS1_Lb1ELb0ELb0EEv18rocblas_operation_llT0_T1_lllT2_lllib.numbered_sgpr, 44
	.set _ZL39rocblas_trsm_block_forward_substitutionI19rocblas_complex_numIdES1_PKPKS1_PKPS1_Lb1ELb0ELb0EEv18rocblas_operation_llT0_T1_lllT2_lllib.num_named_barrier, 0
	.set _ZL39rocblas_trsm_block_forward_substitutionI19rocblas_complex_numIdES1_PKPKS1_PKPS1_Lb1ELb0ELb0EEv18rocblas_operation_llT0_T1_lllT2_lllib.private_seg_size, 0
	.set _ZL39rocblas_trsm_block_forward_substitutionI19rocblas_complex_numIdES1_PKPKS1_PKPS1_Lb1ELb0ELb0EEv18rocblas_operation_llT0_T1_lllT2_lllib.uses_vcc, 1
	.set _ZL39rocblas_trsm_block_forward_substitutionI19rocblas_complex_numIdES1_PKPKS1_PKPS1_Lb1ELb0ELb0EEv18rocblas_operation_llT0_T1_lllT2_lllib.uses_flat_scratch, 0
	.set _ZL39rocblas_trsm_block_forward_substitutionI19rocblas_complex_numIdES1_PKPKS1_PKPS1_Lb1ELb0ELb0EEv18rocblas_operation_llT0_T1_lllT2_lllib.has_dyn_sized_stack, 0
	.set _ZL39rocblas_trsm_block_forward_substitutionI19rocblas_complex_numIdES1_PKPKS1_PKPS1_Lb1ELb0ELb0EEv18rocblas_operation_llT0_T1_lllT2_lllib.has_recursion, 0
	.set _ZL39rocblas_trsm_block_forward_substitutionI19rocblas_complex_numIdES1_PKPKS1_PKPS1_Lb1ELb0ELb0EEv18rocblas_operation_llT0_T1_lllT2_lllib.has_indirect_call, 0
	.section	.AMDGPU.csdata,"",@progbits
; Kernel info:
; codeLenInByte = 3132
; TotalNumSgprs: 46
; NumVgprs: 33
; ScratchSize: 0
; MemoryBound: 1
; FloatMode: 240
; IeeeMode: 1
; LDSByteSize: 0 bytes/workgroup (compile time only)
; SGPRBlocks: 0
; VGPRBlocks: 4
; NumSGPRsForWavesPerEU: 46
; NumVGPRsForWavesPerEU: 33
; Occupancy: 16
; WaveLimiterHint : 1
; COMPUTE_PGM_RSRC2:SCRATCH_EN: 0
; COMPUTE_PGM_RSRC2:USER_SGPR: 2
; COMPUTE_PGM_RSRC2:TRAP_HANDLER: 0
; COMPUTE_PGM_RSRC2:TGID_X_EN: 1
; COMPUTE_PGM_RSRC2:TGID_Y_EN: 1
; COMPUTE_PGM_RSRC2:TGID_Z_EN: 1
; COMPUTE_PGM_RSRC2:TIDIG_COMP_CNT: 1
	.section	.text._ZL40rocblas_trsm_block_backward_substitutionI19rocblas_complex_numIdES1_PKPKS1_PKPS1_Lb1ELb0ELb0EEv18rocblas_operation_llT0_T1_lllT2_lllib,"axG",@progbits,_ZL40rocblas_trsm_block_backward_substitutionI19rocblas_complex_numIdES1_PKPKS1_PKPS1_Lb1ELb0ELb0EEv18rocblas_operation_llT0_T1_lllT2_lllib,comdat
	.globl	_ZL40rocblas_trsm_block_backward_substitutionI19rocblas_complex_numIdES1_PKPKS1_PKPS1_Lb1ELb0ELb0EEv18rocblas_operation_llT0_T1_lllT2_lllib ; -- Begin function _ZL40rocblas_trsm_block_backward_substitutionI19rocblas_complex_numIdES1_PKPKS1_PKPS1_Lb1ELb0ELb0EEv18rocblas_operation_llT0_T1_lllT2_lllib
	.p2align	8
	.type	_ZL40rocblas_trsm_block_backward_substitutionI19rocblas_complex_numIdES1_PKPKS1_PKPS1_Lb1ELb0ELb0EEv18rocblas_operation_llT0_T1_lllT2_lllib,@function
_ZL40rocblas_trsm_block_backward_substitutionI19rocblas_complex_numIdES1_PKPKS1_PKPS1_Lb1ELb0ELb0EEv18rocblas_operation_llT0_T1_lllT2_lllib: ; @_ZL40rocblas_trsm_block_backward_substitutionI19rocblas_complex_numIdES1_PKPKS1_PKPS1_Lb1ELb0ELb0EEv18rocblas_operation_llT0_T1_lllT2_lllib
; %bb.0:
	s_load_b64 s[20:21], s[0:1], 0x68
	s_lshr_b32 s22, ttmp7, 16
	s_wait_kmcnt 0x0
	s_cmp_ge_u32 s22, s20
	s_cbranch_scc1 .LBB254_42
; %bb.1:
	s_mov_b64 s[28:29], src_shared_base
	s_clause 0x6
	s_load_b64 s[2:3], s[0:1], 0x58
	s_load_b32 s28, s[0:1], 0x0
	s_load_b64 s[24:25], s[0:1], 0x38
	s_load_b256 s[4:11], s[0:1], 0x8
	s_load_b128 s[12:15], s[0:1], 0x28
	s_load_b128 s[16:19], s[0:1], 0x48
	s_load_u16 s33, s[0:1], 0x7e
	s_bitcmp1_b32 s21, 0
	s_add_nc_u64 s[26:27], s[0:1], 0x70
	s_cselect_b32 s0, -1, 0
	v_dual_mov_b32 v8, 0 :: v_dual_and_b32 v7, 0x3ff, v0
	v_bfe_u32 v6, v0, 10, 10
	s_xor_b32 s21, s0, -1
	v_cndmask_b32_e64 v25, 0, 1, s0
	s_mov_b32 s23, 0
	v_lshlrev_b32_e32 v12, 4, v7
	v_lshl_add_u32 v27, v6, 4, 0
	v_lshlrev_b32_e32 v29, 4, v7
	s_wait_kmcnt 0x0
	v_mad_co_u64_u32 v[0:1], null, s2, v7, 0
	s_cmp_eq_u32 s28, 0x71
	v_mad_co_u64_u32 v[2:3], null, s24, v7, 0
	s_cselect_b32 s0, -1, 0
	s_wait_alu 0xfffe
	s_and_b32 s1, ttmp7, 0xffff
	s_lshl_b32 s2, s33, 4
	s_wait_alu 0xfffe
	v_mad_co_u64_u32 v[4:5], null, s1, s33, v[6:7]
	s_add_co_i32 s28, s2, 0
	v_mad_co_u64_u32 v[9:10], null, s3, v7, v[1:2]
	v_dual_mov_b32 v5, v8 :: v_dual_add_nc_u32 v26, s28, v12
	v_cmp_le_i64_e64 s40, s[4:5], v[7:8]
	v_mad_co_u64_u32 v[10:11], null, s25, v7, v[3:4]
	v_cmp_gt_i64_e64 s1, s[4:5], v[7:8]
	v_mov_b32_e32 v1, v9
	v_cmp_gt_i64_e32 vcc_lo, s[6:7], v[4:5]
	v_cmp_gt_i64_e64 s41, s[4:5], 1
	v_or_b32_e32 v28, 8, v12
	v_cmp_gt_i64_e64 s43, s[4:5], 0
	v_mov_b32_e32 v3, v10
	v_lshlrev_b64_e32 v[11:12], 4, v[0:1]
	v_lshlrev_b64_e32 v[13:14], 4, v[4:5]
	v_cmp_eq_u32_e64 s2, 0, v7
	s_add_nc_u64 s[6:7], s[4:5], -1
	v_lshlrev_b64_e32 v[9:10], 4, v[2:3]
	s_and_b32 s42, vcc_lo, s1
	s_wait_alu 0xfffe
	s_lshl_b64 s[30:31], s[6:7], 4
	s_lshl_b64 s[14:15], s[14:15], 4
	s_xor_b32 s44, s40, -1
	s_lshl_b64 s[18:19], s[18:19], 4
	s_branch .LBB254_6
.LBB254_2:                              ;   in Loop: Header=BB254_6 Depth=1
	s_wait_alu 0xfffe
	s_or_b32 exec_lo, exec_lo, s34
.LBB254_3:                              ;   in Loop: Header=BB254_6 Depth=1
	s_wait_loadcnt_dscnt 0x0
	s_delay_alu instid0(VALU_DEP_1) | instskip(NEXT) | instid1(VALU_DEP_3)
	v_mul_f64_e32 v[19:20], v[17:18], v[4:5]
	v_mul_f64_e32 v[17:18], v[17:18], v[2:3]
	s_delay_alu instid0(VALU_DEP_2) | instskip(NEXT) | instid1(VALU_DEP_2)
	v_fma_f64 v[2:3], v[0:1], v[2:3], -v[19:20]
	v_fma_f64 v[17:18], v[0:1], v[4:5], v[17:18]
	s_delay_alu instid0(VALU_DEP_2)
	v_dual_mov_b32 v0, v2 :: v_dual_mov_b32 v1, v3
.LBB254_4:                              ;   in Loop: Header=BB254_6 Depth=1
	s_wait_alu 0xfffe
	s_or_b32 exec_lo, exec_lo, s36
	s_delay_alu instid0(VALU_DEP_1)
	v_dual_mov_b32 v2, v17 :: v_dual_mov_b32 v3, v18
	flat_store_b128 v[15:16], v[0:3]
.LBB254_5:                              ;   in Loop: Header=BB254_6 Depth=1
	s_wait_alu 0xfffe
	s_or_b32 exec_lo, exec_lo, s3
	s_add_co_i32 s22, s22, 0x10000
	s_delay_alu instid0(SALU_CYCLE_1)
	s_cmp_lt_u32 s22, s20
	s_cbranch_scc0 .LBB254_42
.LBB254_6:                              ; =>This Loop Header: Depth=1
                                        ;     Child Loop BB254_12 Depth 2
                                        ;     Child Loop BB254_26 Depth 2
	s_lshl_b64 s[34:35], s[22:23], 3
	v_cmp_ne_u32_e32 vcc_lo, 1, v25
	s_wait_alu 0xfffe
	s_add_nc_u64 s[36:37], s[12:13], s[34:35]
	s_add_nc_u64 s[34:35], s[16:17], s[34:35]
	global_load_b64 v[0:1], v8, s[36:37]
	s_wait_loadcnt 0x1
	global_load_b64 v[4:5], v8, s[34:35]
	s_and_b32 vcc_lo, exec_lo, vcc_lo
	s_mov_b64 s[34:35], s[24:25]
	s_wait_loadcnt 0x1
	v_add_co_u32 v19, s3, v0, s14
	s_wait_alu 0xf1ff
	v_add_co_ci_u32_e64 v20, null, s15, v1, s3
	s_wait_alu 0xfffe
	s_cbranch_vccz .LBB254_8
; %bb.7:                                ;   in Loop: Header=BB254_6 Depth=1
	s_and_saveexec_b32 s3, s42
	s_cbranch_execz .LBB254_5
	s_branch .LBB254_23
.LBB254_8:                              ;   in Loop: Header=BB254_6 Depth=1
	s_and_not1_b32 vcc_lo, exec_lo, s43
	s_wait_alu 0xfffe
	s_cbranch_vccnz .LBB254_22
; %bb.9:                                ;   in Loop: Header=BB254_6 Depth=1
	v_add_co_u32 v22, vcc_lo, v19, v29
	s_wait_alu 0xfffd
	v_add_co_ci_u32_e64 v23, null, 0, v20, vcc_lo
	v_mov_b32_e32 v17, v6
	s_delay_alu instid0(VALU_DEP_3) | instskip(SKIP_1) | instid1(VALU_DEP_3)
	v_add_co_u32 v15, vcc_lo, v22, v9
	s_wait_alu 0xfffd
	v_add_co_ci_u32_e64 v16, null, v23, v10, vcc_lo
	s_mov_b32 s34, s33
	s_branch .LBB254_12
.LBB254_10:                             ;   in Loop: Header=BB254_12 Depth=2
	s_wait_alu 0xfffe
	s_or_b32 exec_lo, exec_lo, s35
	s_load_b32 s35, s[26:27], 0xc
	s_wait_kmcnt 0x0
	s_and_b32 s35, s35, 0xffff
	s_wait_alu 0xfffe
	v_mul_u32_u24_e32 v0, s35, v7
	s_delay_alu instid0(VALU_DEP_1)
	v_lshl_add_u32 v0, v0, 4, v26
	ds_store_2addr_b64 v0, v[18:19], v[20:21] offset1:1
.LBB254_11:                             ;   in Loop: Header=BB254_12 Depth=2
	s_wait_alu 0xfffe
	s_or_b32 exec_lo, exec_lo, s3
	s_ashr_i32 s35, s34, 31
	v_add_nc_u32_e32 v17, s33, v17
	s_wait_alu 0xfffe
	v_cmp_le_i64_e64 s3, s[4:5], s[34:35]
	s_add_co_i32 s34, s34, s33
	s_and_b32 vcc_lo, exec_lo, s3
	s_wait_alu 0xfffe
	s_cbranch_vccnz .LBB254_22
.LBB254_12:                             ;   Parent Loop BB254_6 Depth=1
                                        ; =>  This Inner Loop Header: Depth=2
	s_mov_b32 s36, s40
	s_and_saveexec_b32 s35, s1
	s_cbranch_execz .LBB254_16
; %bb.13:                               ;   in Loop: Header=BB254_12 Depth=2
	v_ashrrev_i32_e32 v18, 31, v17
	v_cmp_lt_i32_e64 s3, v7, v17
	s_mov_b32 s36, -1
	v_cmp_gt_i64_e32 vcc_lo, s[4:5], v[17:18]
	s_and_b32 s37, s3, vcc_lo
	s_wait_alu 0xfffe
	s_and_saveexec_b32 s3, s37
	s_cbranch_execz .LBB254_15
; %bb.14:                               ;   in Loop: Header=BB254_12 Depth=2
	v_mul_lo_u32 v2, s25, v17
	v_mul_lo_u32 v3, s24, v18
	v_mad_co_u64_u32 v[0:1], null, s24, v17, 0
	s_load_b32 s36, s[26:27], 0xc
	v_add3_u32 v1, v1, v3, v2
	s_delay_alu instid0(VALU_DEP_1) | instskip(NEXT) | instid1(VALU_DEP_1)
	v_lshlrev_b64_e32 v[0:1], 4, v[0:1]
	v_add_co_u32 v0, vcc_lo, v22, v0
	s_wait_alu 0xfffd
	s_delay_alu instid0(VALU_DEP_2)
	v_add_co_ci_u32_e64 v1, null, v23, v1, vcc_lo
	s_wait_kmcnt 0x0
	s_and_b32 s36, s36, 0xffff
	s_wait_alu 0xfffe
	v_mul_lo_u32 v18, v17, s36
	flat_load_b128 v[0:3], v[0:1]
	s_xor_b32 s36, exec_lo, -1
	v_lshl_add_u32 v18, v18, 4, v26
	s_wait_loadcnt_dscnt 0x0
	ds_store_2addr_b64 v18, v[0:1], v[2:3] offset1:1
.LBB254_15:                             ;   in Loop: Header=BB254_12 Depth=2
	s_wait_alu 0xfffe
	s_or_b32 exec_lo, exec_lo, s3
	s_delay_alu instid0(SALU_CYCLE_1)
	s_and_not1_b32 s3, s40, exec_lo
	s_and_b32 s36, s36, exec_lo
	s_wait_alu 0xfffe
	s_or_b32 s36, s3, s36
.LBB254_16:                             ;   in Loop: Header=BB254_12 Depth=2
	s_wait_alu 0xfffe
	s_or_b32 exec_lo, exec_lo, s35
	s_and_saveexec_b32 s3, s36
	s_cbranch_execz .LBB254_11
; %bb.17:                               ;   in Loop: Header=BB254_12 Depth=2
	v_cmp_eq_u32_e32 vcc_lo, v7, v17
	s_and_b32 s35, s44, vcc_lo
	s_wait_alu 0xfffe
	s_and_b32 exec_lo, exec_lo, s35
	s_cbranch_execz .LBB254_11
; %bb.18:                               ;   in Loop: Header=BB254_12 Depth=2
	flat_load_b128 v[0:3], v[15:16]
                                        ; implicit-def: $vgpr18_vgpr19
	s_wait_loadcnt_dscnt 0x0
	v_cmp_ngt_f64_e64 s35, |v[0:1]|, |v[2:3]|
	s_and_saveexec_b32 s36, s35
	s_wait_alu 0xfffe
	s_xor_b32 s35, exec_lo, s36
                                        ; implicit-def: $vgpr20_vgpr21
	s_cbranch_execz .LBB254_20
; %bb.19:                               ;   in Loop: Header=BB254_12 Depth=2
	v_div_scale_f64 v[18:19], null, v[2:3], v[2:3], v[0:1]
	v_div_scale_f64 v[32:33], vcc_lo, v[0:1], v[2:3], v[0:1]
	s_delay_alu instid0(VALU_DEP_2) | instskip(NEXT) | instid1(TRANS32_DEP_1)
	v_rcp_f64_e32 v[20:21], v[18:19]
	v_fma_f64 v[30:31], -v[18:19], v[20:21], 1.0
	s_delay_alu instid0(VALU_DEP_1) | instskip(NEXT) | instid1(VALU_DEP_1)
	v_fma_f64 v[20:21], v[20:21], v[30:31], v[20:21]
	v_fma_f64 v[30:31], -v[18:19], v[20:21], 1.0
	s_delay_alu instid0(VALU_DEP_1) | instskip(NEXT) | instid1(VALU_DEP_1)
	v_fma_f64 v[20:21], v[20:21], v[30:31], v[20:21]
	v_mul_f64_e32 v[30:31], v[32:33], v[20:21]
	s_delay_alu instid0(VALU_DEP_1) | instskip(SKIP_1) | instid1(VALU_DEP_1)
	v_fma_f64 v[18:19], -v[18:19], v[30:31], v[32:33]
	s_wait_alu 0xfffd
	v_div_fmas_f64 v[18:19], v[18:19], v[20:21], v[30:31]
	s_delay_alu instid0(VALU_DEP_1) | instskip(NEXT) | instid1(VALU_DEP_1)
	v_div_fixup_f64 v[18:19], v[18:19], v[2:3], v[0:1]
	v_fma_f64 v[0:1], v[0:1], v[18:19], v[2:3]
	s_delay_alu instid0(VALU_DEP_1) | instskip(NEXT) | instid1(VALU_DEP_1)
	v_div_scale_f64 v[2:3], null, v[0:1], v[0:1], 1.0
	v_rcp_f64_e32 v[20:21], v[2:3]
	s_delay_alu instid0(TRANS32_DEP_1) | instskip(NEXT) | instid1(VALU_DEP_1)
	v_fma_f64 v[30:31], -v[2:3], v[20:21], 1.0
	v_fma_f64 v[20:21], v[20:21], v[30:31], v[20:21]
	s_delay_alu instid0(VALU_DEP_1) | instskip(NEXT) | instid1(VALU_DEP_1)
	v_fma_f64 v[30:31], -v[2:3], v[20:21], 1.0
	v_fma_f64 v[20:21], v[20:21], v[30:31], v[20:21]
	v_div_scale_f64 v[30:31], vcc_lo, 1.0, v[0:1], 1.0
	s_delay_alu instid0(VALU_DEP_1) | instskip(NEXT) | instid1(VALU_DEP_1)
	v_mul_f64_e32 v[32:33], v[30:31], v[20:21]
	v_fma_f64 v[2:3], -v[2:3], v[32:33], v[30:31]
	s_wait_alu 0xfffd
	s_delay_alu instid0(VALU_DEP_1) | instskip(NEXT) | instid1(VALU_DEP_1)
	v_div_fmas_f64 v[2:3], v[2:3], v[20:21], v[32:33]
	v_div_fixup_f64 v[20:21], v[2:3], v[0:1], 1.0
                                        ; implicit-def: $vgpr0_vgpr1
	s_delay_alu instid0(VALU_DEP_1)
	v_mul_f64_e32 v[18:19], v[18:19], v[20:21]
	v_xor_b32_e32 v21, 0x80000000, v21
.LBB254_20:                             ;   in Loop: Header=BB254_12 Depth=2
	s_wait_alu 0xfffe
	s_and_not1_saveexec_b32 s35, s35
	s_cbranch_execz .LBB254_10
; %bb.21:                               ;   in Loop: Header=BB254_12 Depth=2
	v_div_scale_f64 v[18:19], null, v[0:1], v[0:1], v[2:3]
	v_div_scale_f64 v[32:33], vcc_lo, v[2:3], v[0:1], v[2:3]
	s_delay_alu instid0(VALU_DEP_2) | instskip(NEXT) | instid1(TRANS32_DEP_1)
	v_rcp_f64_e32 v[20:21], v[18:19]
	v_fma_f64 v[30:31], -v[18:19], v[20:21], 1.0
	s_delay_alu instid0(VALU_DEP_1) | instskip(NEXT) | instid1(VALU_DEP_1)
	v_fma_f64 v[20:21], v[20:21], v[30:31], v[20:21]
	v_fma_f64 v[30:31], -v[18:19], v[20:21], 1.0
	s_delay_alu instid0(VALU_DEP_1) | instskip(NEXT) | instid1(VALU_DEP_1)
	v_fma_f64 v[20:21], v[20:21], v[30:31], v[20:21]
	v_mul_f64_e32 v[30:31], v[32:33], v[20:21]
	s_delay_alu instid0(VALU_DEP_1) | instskip(SKIP_1) | instid1(VALU_DEP_1)
	v_fma_f64 v[18:19], -v[18:19], v[30:31], v[32:33]
	s_wait_alu 0xfffd
	v_div_fmas_f64 v[18:19], v[18:19], v[20:21], v[30:31]
	s_delay_alu instid0(VALU_DEP_1) | instskip(NEXT) | instid1(VALU_DEP_1)
	v_div_fixup_f64 v[20:21], v[18:19], v[0:1], v[2:3]
	v_fma_f64 v[0:1], v[2:3], v[20:21], v[0:1]
	s_delay_alu instid0(VALU_DEP_1) | instskip(NEXT) | instid1(VALU_DEP_1)
	v_div_scale_f64 v[2:3], null, v[0:1], v[0:1], 1.0
	v_rcp_f64_e32 v[18:19], v[2:3]
	s_delay_alu instid0(TRANS32_DEP_1) | instskip(NEXT) | instid1(VALU_DEP_1)
	v_fma_f64 v[30:31], -v[2:3], v[18:19], 1.0
	v_fma_f64 v[18:19], v[18:19], v[30:31], v[18:19]
	s_delay_alu instid0(VALU_DEP_1) | instskip(NEXT) | instid1(VALU_DEP_1)
	v_fma_f64 v[30:31], -v[2:3], v[18:19], 1.0
	v_fma_f64 v[18:19], v[18:19], v[30:31], v[18:19]
	v_div_scale_f64 v[30:31], vcc_lo, 1.0, v[0:1], 1.0
	s_delay_alu instid0(VALU_DEP_1) | instskip(NEXT) | instid1(VALU_DEP_1)
	v_mul_f64_e32 v[32:33], v[30:31], v[18:19]
	v_fma_f64 v[2:3], -v[2:3], v[32:33], v[30:31]
	s_wait_alu 0xfffd
	s_delay_alu instid0(VALU_DEP_1) | instskip(NEXT) | instid1(VALU_DEP_1)
	v_div_fmas_f64 v[2:3], v[2:3], v[18:19], v[32:33]
	v_div_fixup_f64 v[18:19], v[2:3], v[0:1], 1.0
	s_delay_alu instid0(VALU_DEP_1)
	v_mul_f64_e64 v[20:21], v[20:21], -v[18:19]
	s_branch .LBB254_10
.LBB254_22:                             ;   in Loop: Header=BB254_6 Depth=1
	s_load_b32 s3, s[26:27], 0xc
	v_dual_mov_b32 v19, s28 :: v_dual_mov_b32 v20, s29
	s_mov_b32 s35, s23
	s_wait_kmcnt 0x0
	s_and_b32 s34, s3, 0xffff
	s_and_saveexec_b32 s3, s42
	s_cbranch_execz .LBB254_5
.LBB254_23:                             ;   in Loop: Header=BB254_6 Depth=1
	s_wait_loadcnt 0x0
	v_add_co_u32 v0, vcc_lo, v4, s18
	s_wait_alu 0xfffd
	v_add_co_ci_u32_e64 v1, null, s19, v5, vcc_lo
	s_delay_alu instid0(VALU_DEP_2) | instskip(SKIP_1) | instid1(VALU_DEP_2)
	v_add_co_u32 v0, vcc_lo, v0, v11
	s_wait_alu 0xfffd
	v_add_co_ci_u32_e64 v1, null, v1, v12, vcc_lo
	s_delay_alu instid0(VALU_DEP_2) | instskip(SKIP_1) | instid1(VALU_DEP_2)
	v_add_co_u32 v15, vcc_lo, v0, v13
	s_wait_alu 0xfffd
	v_add_co_ci_u32_e64 v16, null, v1, v14, vcc_lo
	s_and_not1_b32 vcc_lo, exec_lo, s41
	flat_load_b128 v[2:5], v[15:16]
	s_wait_loadcnt_dscnt 0x0
	v_mul_f64_e32 v[0:1], s[10:11], v[4:5]
	v_mul_f64_e32 v[4:5], s[8:9], v[4:5]
	s_delay_alu instid0(VALU_DEP_2) | instskip(NEXT) | instid1(VALU_DEP_2)
	v_fma_f64 v[0:1], s[8:9], v[2:3], -v[0:1]
	v_fma_f64 v[17:18], s[10:11], v[2:3], v[4:5]
	s_wait_alu 0xfffe
	s_cbranch_vccnz .LBB254_36
; %bb.24:                               ;   in Loop: Header=BB254_6 Depth=1
	v_mad_co_u64_u32 v[2:3], null, v7, s34, v[7:8]
	s_mul_i32 s36, s31, s34
	s_mul_i32 s37, s30, s35
	s_mov_b64 s[38:39], s[6:7]
	v_mad_co_u64_u32 v[3:4], null, v7, s35, v[3:4]
	v_add_co_u32 v4, vcc_lo, v19, v28
	s_wait_alu 0xfffd
	v_add_co_ci_u32_e64 v5, null, 0, v20, vcc_lo
	s_delay_alu instid0(VALU_DEP_3) | instskip(NEXT) | instid1(VALU_DEP_2)
	v_lshlrev_b64_e32 v[2:3], 4, v[2:3]
	v_mad_co_u64_u32 v[21:22], null, s30, s34, v[4:5]
	s_delay_alu instid0(VALU_DEP_2) | instskip(SKIP_1) | instid1(VALU_DEP_3)
	v_add_co_u32 v23, vcc_lo, v19, v2
	s_wait_alu 0xfffd
	v_add_co_ci_u32_e64 v24, null, v20, v3, vcc_lo
	s_wait_alu 0xfffe
	s_delay_alu instid0(VALU_DEP_3)
	v_add3_u32 v22, s37, s36, v22
	s_lshl_b64 s[36:37], s[34:35], 4
	s_wait_alu 0xfffe
	s_sub_nc_u64 s[36:37], 0, s[36:37]
	s_branch .LBB254_26
.LBB254_25:                             ;   in Loop: Header=BB254_26 Depth=2
	s_or_b32 exec_lo, exec_lo, s45
	s_add_nc_u64 s[46:47], s[38:39], 1
	s_wait_alu 0xfffe
	v_add_co_u32 v21, vcc_lo, v21, s36
	v_cmp_lt_u64_e64 s45, s[46:47], 3
	s_wait_alu 0xfffd
	v_add_co_ci_u32_e64 v22, null, s37, v22, vcc_lo
	s_add_nc_u64 s[38:39], s[38:39], -1
	s_and_b32 vcc_lo, exec_lo, s45
	s_wait_alu 0xfffe
	s_cbranch_vccnz .LBB254_36
.LBB254_26:                             ;   Parent Loop BB254_6 Depth=1
                                        ; =>  This Inner Loop Header: Depth=2
	s_mov_b32 s45, exec_lo
	s_barrier_signal -1
	s_barrier_wait -1
	global_inv scope:SCOPE_SE
	v_cmpx_eq_u64_e64 s[38:39], v[7:8]
	s_cbranch_execz .LBB254_34
; %bb.27:                               ;   in Loop: Header=BB254_26 Depth=2
	flat_load_b128 v[2:5], v[23:24]
	s_and_not1_b32 vcc_lo, exec_lo, s21
	s_wait_alu 0xfffe
	s_cbranch_vccnz .LBB254_33
; %bb.28:                               ;   in Loop: Header=BB254_26 Depth=2
	s_wait_loadcnt_dscnt 0x0
	v_cmp_ngt_f64_e64 s46, |v[2:3]|, |v[4:5]|
	s_and_saveexec_b32 s47, s46
	s_wait_alu 0xfffe
	s_xor_b32 s46, exec_lo, s47
	s_cbranch_execz .LBB254_30
; %bb.29:                               ;   in Loop: Header=BB254_26 Depth=2
	v_div_scale_f64 v[30:31], null, v[4:5], v[4:5], v[2:3]
	v_div_scale_f64 v[36:37], vcc_lo, v[2:3], v[4:5], v[2:3]
	s_delay_alu instid0(VALU_DEP_2) | instskip(NEXT) | instid1(TRANS32_DEP_1)
	v_rcp_f64_e32 v[32:33], v[30:31]
	v_fma_f64 v[34:35], -v[30:31], v[32:33], 1.0
	s_delay_alu instid0(VALU_DEP_1) | instskip(NEXT) | instid1(VALU_DEP_1)
	v_fma_f64 v[32:33], v[32:33], v[34:35], v[32:33]
	v_fma_f64 v[34:35], -v[30:31], v[32:33], 1.0
	s_delay_alu instid0(VALU_DEP_1) | instskip(NEXT) | instid1(VALU_DEP_1)
	v_fma_f64 v[32:33], v[32:33], v[34:35], v[32:33]
	v_mul_f64_e32 v[34:35], v[36:37], v[32:33]
	s_delay_alu instid0(VALU_DEP_1) | instskip(SKIP_1) | instid1(VALU_DEP_1)
	v_fma_f64 v[30:31], -v[30:31], v[34:35], v[36:37]
	s_wait_alu 0xfffd
	v_div_fmas_f64 v[30:31], v[30:31], v[32:33], v[34:35]
	s_delay_alu instid0(VALU_DEP_1) | instskip(NEXT) | instid1(VALU_DEP_1)
	v_div_fixup_f64 v[30:31], v[30:31], v[4:5], v[2:3]
	v_fma_f64 v[2:3], v[2:3], v[30:31], v[4:5]
	s_delay_alu instid0(VALU_DEP_1) | instskip(NEXT) | instid1(VALU_DEP_1)
	v_div_scale_f64 v[4:5], null, v[2:3], v[2:3], 1.0
	v_rcp_f64_e32 v[32:33], v[4:5]
	s_delay_alu instid0(TRANS32_DEP_1) | instskip(NEXT) | instid1(VALU_DEP_1)
	v_fma_f64 v[34:35], -v[4:5], v[32:33], 1.0
	v_fma_f64 v[32:33], v[32:33], v[34:35], v[32:33]
	s_delay_alu instid0(VALU_DEP_1) | instskip(NEXT) | instid1(VALU_DEP_1)
	v_fma_f64 v[34:35], -v[4:5], v[32:33], 1.0
	v_fma_f64 v[32:33], v[32:33], v[34:35], v[32:33]
	v_div_scale_f64 v[34:35], vcc_lo, 1.0, v[2:3], 1.0
	s_delay_alu instid0(VALU_DEP_1) | instskip(NEXT) | instid1(VALU_DEP_1)
	v_mul_f64_e32 v[36:37], v[34:35], v[32:33]
	v_fma_f64 v[4:5], -v[4:5], v[36:37], v[34:35]
	s_wait_alu 0xfffd
	s_delay_alu instid0(VALU_DEP_1) | instskip(NEXT) | instid1(VALU_DEP_1)
	v_div_fmas_f64 v[4:5], v[4:5], v[32:33], v[36:37]
	v_div_fixup_f64 v[4:5], v[4:5], v[2:3], 1.0
	s_delay_alu instid0(VALU_DEP_1)
	v_mul_f64_e32 v[2:3], v[30:31], v[4:5]
	v_xor_b32_e32 v5, 0x80000000, v5
.LBB254_30:                             ;   in Loop: Header=BB254_26 Depth=2
	s_wait_alu 0xfffe
	s_and_not1_saveexec_b32 s46, s46
	s_cbranch_execz .LBB254_32
; %bb.31:                               ;   in Loop: Header=BB254_26 Depth=2
	s_delay_alu instid0(VALU_DEP_1) | instskip(SKIP_1) | instid1(VALU_DEP_2)
	v_div_scale_f64 v[30:31], null, v[2:3], v[2:3], v[4:5]
	v_div_scale_f64 v[36:37], vcc_lo, v[4:5], v[2:3], v[4:5]
	v_rcp_f64_e32 v[32:33], v[30:31]
	s_delay_alu instid0(TRANS32_DEP_1) | instskip(NEXT) | instid1(VALU_DEP_1)
	v_fma_f64 v[34:35], -v[30:31], v[32:33], 1.0
	v_fma_f64 v[32:33], v[32:33], v[34:35], v[32:33]
	s_delay_alu instid0(VALU_DEP_1) | instskip(NEXT) | instid1(VALU_DEP_1)
	v_fma_f64 v[34:35], -v[30:31], v[32:33], 1.0
	v_fma_f64 v[32:33], v[32:33], v[34:35], v[32:33]
	s_delay_alu instid0(VALU_DEP_1) | instskip(NEXT) | instid1(VALU_DEP_1)
	v_mul_f64_e32 v[34:35], v[36:37], v[32:33]
	v_fma_f64 v[30:31], -v[30:31], v[34:35], v[36:37]
	s_wait_alu 0xfffd
	s_delay_alu instid0(VALU_DEP_1) | instskip(NEXT) | instid1(VALU_DEP_1)
	v_div_fmas_f64 v[30:31], v[30:31], v[32:33], v[34:35]
	v_div_fixup_f64 v[30:31], v[30:31], v[2:3], v[4:5]
	s_delay_alu instid0(VALU_DEP_1) | instskip(NEXT) | instid1(VALU_DEP_1)
	v_fma_f64 v[2:3], v[4:5], v[30:31], v[2:3]
	v_div_scale_f64 v[4:5], null, v[2:3], v[2:3], 1.0
	s_delay_alu instid0(VALU_DEP_1) | instskip(NEXT) | instid1(TRANS32_DEP_1)
	v_rcp_f64_e32 v[32:33], v[4:5]
	v_fma_f64 v[34:35], -v[4:5], v[32:33], 1.0
	s_delay_alu instid0(VALU_DEP_1) | instskip(NEXT) | instid1(VALU_DEP_1)
	v_fma_f64 v[32:33], v[32:33], v[34:35], v[32:33]
	v_fma_f64 v[34:35], -v[4:5], v[32:33], 1.0
	s_delay_alu instid0(VALU_DEP_1) | instskip(SKIP_1) | instid1(VALU_DEP_1)
	v_fma_f64 v[32:33], v[32:33], v[34:35], v[32:33]
	v_div_scale_f64 v[34:35], vcc_lo, 1.0, v[2:3], 1.0
	v_mul_f64_e32 v[36:37], v[34:35], v[32:33]
	s_delay_alu instid0(VALU_DEP_1) | instskip(SKIP_1) | instid1(VALU_DEP_1)
	v_fma_f64 v[4:5], -v[4:5], v[36:37], v[34:35]
	s_wait_alu 0xfffd
	v_div_fmas_f64 v[4:5], v[4:5], v[32:33], v[36:37]
	s_delay_alu instid0(VALU_DEP_1) | instskip(NEXT) | instid1(VALU_DEP_1)
	v_div_fixup_f64 v[2:3], v[4:5], v[2:3], 1.0
	v_mul_f64_e64 v[4:5], v[30:31], -v[2:3]
.LBB254_32:                             ;   in Loop: Header=BB254_26 Depth=2
	s_wait_alu 0xfffe
	s_or_b32 exec_lo, exec_lo, s46
.LBB254_33:                             ;   in Loop: Header=BB254_26 Depth=2
	s_wait_loadcnt_dscnt 0x0
	s_delay_alu instid0(VALU_DEP_1) | instskip(SKIP_1) | instid1(VALU_DEP_2)
	v_mul_f64_e32 v[30:31], v[17:18], v[4:5]
	v_mul_f64_e32 v[4:5], v[0:1], v[4:5]
	v_fma_f64 v[30:31], v[0:1], v[2:3], -v[30:31]
	s_delay_alu instid0(VALU_DEP_2) | instskip(NEXT) | instid1(VALU_DEP_2)
	v_fma_f64 v[17:18], v[17:18], v[2:3], v[4:5]
	v_dual_mov_b32 v0, v30 :: v_dual_mov_b32 v1, v31
	ds_store_2addr_b64 v27, v[30:31], v[17:18] offset1:1
.LBB254_34:                             ;   in Loop: Header=BB254_26 Depth=2
	s_or_b32 exec_lo, exec_lo, s45
	s_delay_alu instid0(SALU_CYCLE_1)
	s_mov_b32 s45, exec_lo
	s_wait_loadcnt_dscnt 0x0
	s_barrier_signal -1
	s_barrier_wait -1
	global_inv scope:SCOPE_SE
	v_cmpx_gt_i64_e64 s[38:39], v[7:8]
	s_cbranch_execz .LBB254_25
; %bb.35:                               ;   in Loop: Header=BB254_26 Depth=2
	flat_load_b128 v[2:5], v[21:22] offset:-8
	ds_load_2addr_b64 v[30:33], v27 offset1:1
	s_wait_loadcnt_dscnt 0x1
	v_xor_b32_e32 v34, 0x80000000, v5
	s_delay_alu instid0(VALU_DEP_1) | instskip(SKIP_1) | instid1(VALU_DEP_1)
	v_cndmask_b32_e64 v5, v5, v34, s0
	s_wait_dscnt 0x0
	v_mul_f64_e32 v[34:35], v[4:5], v[32:33]
	v_mul_f64_e32 v[32:33], v[2:3], v[32:33]
	s_delay_alu instid0(VALU_DEP_2) | instskip(NEXT) | instid1(VALU_DEP_2)
	v_fma_f64 v[2:3], v[2:3], v[30:31], -v[34:35]
	v_fma_f64 v[4:5], v[4:5], v[30:31], v[32:33]
	s_delay_alu instid0(VALU_DEP_2) | instskip(NEXT) | instid1(VALU_DEP_2)
	v_add_f64_e64 v[0:1], v[0:1], -v[2:3]
	v_add_f64_e64 v[17:18], v[17:18], -v[4:5]
	s_branch .LBB254_25
.LBB254_36:                             ;   in Loop: Header=BB254_6 Depth=1
	s_and_saveexec_b32 s36, s2
	s_cbranch_execz .LBB254_4
; %bb.37:                               ;   in Loop: Header=BB254_6 Depth=1
	v_mad_co_u64_u32 v[2:3], null, v7, s34, v[7:8]
	s_delay_alu instid0(VALU_DEP_1) | instskip(NEXT) | instid1(VALU_DEP_1)
	v_mad_co_u64_u32 v[3:4], null, v7, s35, v[3:4]
	v_lshlrev_b64_e32 v[2:3], 4, v[2:3]
	s_delay_alu instid0(VALU_DEP_1) | instskip(SKIP_1) | instid1(VALU_DEP_2)
	v_add_co_u32 v2, vcc_lo, v19, v2
	s_wait_alu 0xfffd
	v_add_co_ci_u32_e64 v3, null, v20, v3, vcc_lo
	s_and_not1_b32 vcc_lo, exec_lo, s21
	flat_load_b128 v[2:5], v[2:3]
	s_wait_alu 0xfffe
	s_cbranch_vccnz .LBB254_3
; %bb.38:                               ;   in Loop: Header=BB254_6 Depth=1
	s_wait_loadcnt_dscnt 0x0
	v_cmp_ngt_f64_e64 s34, |v[2:3]|, |v[4:5]|
	s_and_saveexec_b32 s35, s34
	s_wait_alu 0xfffe
	s_xor_b32 s34, exec_lo, s35
	s_cbranch_execz .LBB254_40
; %bb.39:                               ;   in Loop: Header=BB254_6 Depth=1
	v_div_scale_f64 v[19:20], null, v[4:5], v[4:5], v[2:3]
	v_div_scale_f64 v[30:31], vcc_lo, v[2:3], v[4:5], v[2:3]
	s_delay_alu instid0(VALU_DEP_2) | instskip(NEXT) | instid1(TRANS32_DEP_1)
	v_rcp_f64_e32 v[21:22], v[19:20]
	v_fma_f64 v[23:24], -v[19:20], v[21:22], 1.0
	s_delay_alu instid0(VALU_DEP_1) | instskip(NEXT) | instid1(VALU_DEP_1)
	v_fma_f64 v[21:22], v[21:22], v[23:24], v[21:22]
	v_fma_f64 v[23:24], -v[19:20], v[21:22], 1.0
	s_delay_alu instid0(VALU_DEP_1) | instskip(NEXT) | instid1(VALU_DEP_1)
	v_fma_f64 v[21:22], v[21:22], v[23:24], v[21:22]
	v_mul_f64_e32 v[23:24], v[30:31], v[21:22]
	s_delay_alu instid0(VALU_DEP_1) | instskip(SKIP_1) | instid1(VALU_DEP_1)
	v_fma_f64 v[19:20], -v[19:20], v[23:24], v[30:31]
	s_wait_alu 0xfffd
	v_div_fmas_f64 v[19:20], v[19:20], v[21:22], v[23:24]
	s_delay_alu instid0(VALU_DEP_1) | instskip(NEXT) | instid1(VALU_DEP_1)
	v_div_fixup_f64 v[19:20], v[19:20], v[4:5], v[2:3]
	v_fma_f64 v[2:3], v[2:3], v[19:20], v[4:5]
	s_delay_alu instid0(VALU_DEP_1) | instskip(NEXT) | instid1(VALU_DEP_1)
	v_div_scale_f64 v[4:5], null, v[2:3], v[2:3], 1.0
	v_rcp_f64_e32 v[21:22], v[4:5]
	s_delay_alu instid0(TRANS32_DEP_1) | instskip(NEXT) | instid1(VALU_DEP_1)
	v_fma_f64 v[23:24], -v[4:5], v[21:22], 1.0
	v_fma_f64 v[21:22], v[21:22], v[23:24], v[21:22]
	s_delay_alu instid0(VALU_DEP_1) | instskip(NEXT) | instid1(VALU_DEP_1)
	v_fma_f64 v[23:24], -v[4:5], v[21:22], 1.0
	v_fma_f64 v[21:22], v[21:22], v[23:24], v[21:22]
	v_div_scale_f64 v[23:24], vcc_lo, 1.0, v[2:3], 1.0
	s_delay_alu instid0(VALU_DEP_1) | instskip(NEXT) | instid1(VALU_DEP_1)
	v_mul_f64_e32 v[30:31], v[23:24], v[21:22]
	v_fma_f64 v[4:5], -v[4:5], v[30:31], v[23:24]
	s_wait_alu 0xfffd
	s_delay_alu instid0(VALU_DEP_1) | instskip(NEXT) | instid1(VALU_DEP_1)
	v_div_fmas_f64 v[4:5], v[4:5], v[21:22], v[30:31]
	v_div_fixup_f64 v[4:5], v[4:5], v[2:3], 1.0
	s_delay_alu instid0(VALU_DEP_1)
	v_mul_f64_e32 v[2:3], v[19:20], v[4:5]
	v_xor_b32_e32 v5, 0x80000000, v5
.LBB254_40:                             ;   in Loop: Header=BB254_6 Depth=1
	s_wait_alu 0xfffe
	s_and_not1_saveexec_b32 s34, s34
	s_cbranch_execz .LBB254_2
; %bb.41:                               ;   in Loop: Header=BB254_6 Depth=1
	s_delay_alu instid0(VALU_DEP_1) | instskip(SKIP_1) | instid1(VALU_DEP_2)
	v_div_scale_f64 v[19:20], null, v[2:3], v[2:3], v[4:5]
	v_div_scale_f64 v[30:31], vcc_lo, v[4:5], v[2:3], v[4:5]
	v_rcp_f64_e32 v[21:22], v[19:20]
	s_delay_alu instid0(TRANS32_DEP_1) | instskip(NEXT) | instid1(VALU_DEP_1)
	v_fma_f64 v[23:24], -v[19:20], v[21:22], 1.0
	v_fma_f64 v[21:22], v[21:22], v[23:24], v[21:22]
	s_delay_alu instid0(VALU_DEP_1) | instskip(NEXT) | instid1(VALU_DEP_1)
	v_fma_f64 v[23:24], -v[19:20], v[21:22], 1.0
	v_fma_f64 v[21:22], v[21:22], v[23:24], v[21:22]
	s_delay_alu instid0(VALU_DEP_1) | instskip(NEXT) | instid1(VALU_DEP_1)
	v_mul_f64_e32 v[23:24], v[30:31], v[21:22]
	v_fma_f64 v[19:20], -v[19:20], v[23:24], v[30:31]
	s_wait_alu 0xfffd
	s_delay_alu instid0(VALU_DEP_1) | instskip(NEXT) | instid1(VALU_DEP_1)
	v_div_fmas_f64 v[19:20], v[19:20], v[21:22], v[23:24]
	v_div_fixup_f64 v[19:20], v[19:20], v[2:3], v[4:5]
	s_delay_alu instid0(VALU_DEP_1) | instskip(NEXT) | instid1(VALU_DEP_1)
	v_fma_f64 v[2:3], v[4:5], v[19:20], v[2:3]
	v_div_scale_f64 v[4:5], null, v[2:3], v[2:3], 1.0
	s_delay_alu instid0(VALU_DEP_1) | instskip(NEXT) | instid1(TRANS32_DEP_1)
	v_rcp_f64_e32 v[21:22], v[4:5]
	v_fma_f64 v[23:24], -v[4:5], v[21:22], 1.0
	s_delay_alu instid0(VALU_DEP_1) | instskip(NEXT) | instid1(VALU_DEP_1)
	v_fma_f64 v[21:22], v[21:22], v[23:24], v[21:22]
	v_fma_f64 v[23:24], -v[4:5], v[21:22], 1.0
	s_delay_alu instid0(VALU_DEP_1) | instskip(SKIP_1) | instid1(VALU_DEP_1)
	v_fma_f64 v[21:22], v[21:22], v[23:24], v[21:22]
	v_div_scale_f64 v[23:24], vcc_lo, 1.0, v[2:3], 1.0
	v_mul_f64_e32 v[30:31], v[23:24], v[21:22]
	s_delay_alu instid0(VALU_DEP_1) | instskip(SKIP_1) | instid1(VALU_DEP_1)
	v_fma_f64 v[4:5], -v[4:5], v[30:31], v[23:24]
	s_wait_alu 0xfffd
	v_div_fmas_f64 v[4:5], v[4:5], v[21:22], v[30:31]
	s_delay_alu instid0(VALU_DEP_1) | instskip(NEXT) | instid1(VALU_DEP_1)
	v_div_fixup_f64 v[2:3], v[4:5], v[2:3], 1.0
	v_mul_f64_e64 v[4:5], v[19:20], -v[2:3]
	s_branch .LBB254_2
.LBB254_42:
	s_endpgm
	.section	.rodata,"a",@progbits
	.p2align	6, 0x0
	.amdhsa_kernel _ZL40rocblas_trsm_block_backward_substitutionI19rocblas_complex_numIdES1_PKPKS1_PKPS1_Lb1ELb0ELb0EEv18rocblas_operation_llT0_T1_lllT2_lllib
		.amdhsa_group_segment_fixed_size 0
		.amdhsa_private_segment_fixed_size 0
		.amdhsa_kernarg_size 368
		.amdhsa_user_sgpr_count 2
		.amdhsa_user_sgpr_dispatch_ptr 0
		.amdhsa_user_sgpr_queue_ptr 0
		.amdhsa_user_sgpr_kernarg_segment_ptr 1
		.amdhsa_user_sgpr_dispatch_id 0
		.amdhsa_user_sgpr_private_segment_size 0
		.amdhsa_wavefront_size32 1
		.amdhsa_uses_dynamic_stack 0
		.amdhsa_enable_private_segment 0
		.amdhsa_system_sgpr_workgroup_id_x 1
		.amdhsa_system_sgpr_workgroup_id_y 1
		.amdhsa_system_sgpr_workgroup_id_z 1
		.amdhsa_system_sgpr_workgroup_info 0
		.amdhsa_system_vgpr_workitem_id 1
		.amdhsa_next_free_vgpr 38
		.amdhsa_next_free_sgpr 48
		.amdhsa_reserve_vcc 1
		.amdhsa_float_round_mode_32 0
		.amdhsa_float_round_mode_16_64 0
		.amdhsa_float_denorm_mode_32 3
		.amdhsa_float_denorm_mode_16_64 3
		.amdhsa_fp16_overflow 0
		.amdhsa_workgroup_processor_mode 1
		.amdhsa_memory_ordered 1
		.amdhsa_forward_progress 1
		.amdhsa_inst_pref_size 25
		.amdhsa_round_robin_scheduling 0
		.amdhsa_exception_fp_ieee_invalid_op 0
		.amdhsa_exception_fp_denorm_src 0
		.amdhsa_exception_fp_ieee_div_zero 0
		.amdhsa_exception_fp_ieee_overflow 0
		.amdhsa_exception_fp_ieee_underflow 0
		.amdhsa_exception_fp_ieee_inexact 0
		.amdhsa_exception_int_div_zero 0
	.end_amdhsa_kernel
	.section	.text._ZL40rocblas_trsm_block_backward_substitutionI19rocblas_complex_numIdES1_PKPKS1_PKPS1_Lb1ELb0ELb0EEv18rocblas_operation_llT0_T1_lllT2_lllib,"axG",@progbits,_ZL40rocblas_trsm_block_backward_substitutionI19rocblas_complex_numIdES1_PKPKS1_PKPS1_Lb1ELb0ELb0EEv18rocblas_operation_llT0_T1_lllT2_lllib,comdat
.Lfunc_end254:
	.size	_ZL40rocblas_trsm_block_backward_substitutionI19rocblas_complex_numIdES1_PKPKS1_PKPS1_Lb1ELb0ELb0EEv18rocblas_operation_llT0_T1_lllT2_lllib, .Lfunc_end254-_ZL40rocblas_trsm_block_backward_substitutionI19rocblas_complex_numIdES1_PKPKS1_PKPS1_Lb1ELb0ELb0EEv18rocblas_operation_llT0_T1_lllT2_lllib
                                        ; -- End function
	.set _ZL40rocblas_trsm_block_backward_substitutionI19rocblas_complex_numIdES1_PKPKS1_PKPS1_Lb1ELb0ELb0EEv18rocblas_operation_llT0_T1_lllT2_lllib.num_vgpr, 38
	.set _ZL40rocblas_trsm_block_backward_substitutionI19rocblas_complex_numIdES1_PKPKS1_PKPS1_Lb1ELb0ELb0EEv18rocblas_operation_llT0_T1_lllT2_lllib.num_agpr, 0
	.set _ZL40rocblas_trsm_block_backward_substitutionI19rocblas_complex_numIdES1_PKPKS1_PKPS1_Lb1ELb0ELb0EEv18rocblas_operation_llT0_T1_lllT2_lllib.numbered_sgpr, 48
	.set _ZL40rocblas_trsm_block_backward_substitutionI19rocblas_complex_numIdES1_PKPKS1_PKPS1_Lb1ELb0ELb0EEv18rocblas_operation_llT0_T1_lllT2_lllib.num_named_barrier, 0
	.set _ZL40rocblas_trsm_block_backward_substitutionI19rocblas_complex_numIdES1_PKPKS1_PKPS1_Lb1ELb0ELb0EEv18rocblas_operation_llT0_T1_lllT2_lllib.private_seg_size, 0
	.set _ZL40rocblas_trsm_block_backward_substitutionI19rocblas_complex_numIdES1_PKPKS1_PKPS1_Lb1ELb0ELb0EEv18rocblas_operation_llT0_T1_lllT2_lllib.uses_vcc, 1
	.set _ZL40rocblas_trsm_block_backward_substitutionI19rocblas_complex_numIdES1_PKPKS1_PKPS1_Lb1ELb0ELb0EEv18rocblas_operation_llT0_T1_lllT2_lllib.uses_flat_scratch, 0
	.set _ZL40rocblas_trsm_block_backward_substitutionI19rocblas_complex_numIdES1_PKPKS1_PKPS1_Lb1ELb0ELb0EEv18rocblas_operation_llT0_T1_lllT2_lllib.has_dyn_sized_stack, 0
	.set _ZL40rocblas_trsm_block_backward_substitutionI19rocblas_complex_numIdES1_PKPKS1_PKPS1_Lb1ELb0ELb0EEv18rocblas_operation_llT0_T1_lllT2_lllib.has_recursion, 0
	.set _ZL40rocblas_trsm_block_backward_substitutionI19rocblas_complex_numIdES1_PKPKS1_PKPS1_Lb1ELb0ELb0EEv18rocblas_operation_llT0_T1_lllT2_lllib.has_indirect_call, 0
	.section	.AMDGPU.csdata,"",@progbits
; Kernel info:
; codeLenInByte = 3188
; TotalNumSgprs: 50
; NumVgprs: 38
; ScratchSize: 0
; MemoryBound: 1
; FloatMode: 240
; IeeeMode: 1
; LDSByteSize: 0 bytes/workgroup (compile time only)
; SGPRBlocks: 0
; VGPRBlocks: 4
; NumSGPRsForWavesPerEU: 50
; NumVGPRsForWavesPerEU: 38
; Occupancy: 16
; WaveLimiterHint : 1
; COMPUTE_PGM_RSRC2:SCRATCH_EN: 0
; COMPUTE_PGM_RSRC2:USER_SGPR: 2
; COMPUTE_PGM_RSRC2:TRAP_HANDLER: 0
; COMPUTE_PGM_RSRC2:TGID_X_EN: 1
; COMPUTE_PGM_RSRC2:TGID_Y_EN: 1
; COMPUTE_PGM_RSRC2:TGID_Z_EN: 1
; COMPUTE_PGM_RSRC2:TIDIG_COMP_CNT: 1
	.section	.text._ZL39rocblas_trsm_block_forward_substitutionI19rocblas_complex_numIdES1_PKPKS1_PKPS1_Lb1ELb0ELb1EEv18rocblas_operation_llT0_T1_lllT2_lllib,"axG",@progbits,_ZL39rocblas_trsm_block_forward_substitutionI19rocblas_complex_numIdES1_PKPKS1_PKPS1_Lb1ELb0ELb1EEv18rocblas_operation_llT0_T1_lllT2_lllib,comdat
	.globl	_ZL39rocblas_trsm_block_forward_substitutionI19rocblas_complex_numIdES1_PKPKS1_PKPS1_Lb1ELb0ELb1EEv18rocblas_operation_llT0_T1_lllT2_lllib ; -- Begin function _ZL39rocblas_trsm_block_forward_substitutionI19rocblas_complex_numIdES1_PKPKS1_PKPS1_Lb1ELb0ELb1EEv18rocblas_operation_llT0_T1_lllT2_lllib
	.p2align	8
	.type	_ZL39rocblas_trsm_block_forward_substitutionI19rocblas_complex_numIdES1_PKPKS1_PKPS1_Lb1ELb0ELb1EEv18rocblas_operation_llT0_T1_lllT2_lllib,@function
_ZL39rocblas_trsm_block_forward_substitutionI19rocblas_complex_numIdES1_PKPKS1_PKPS1_Lb1ELb0ELb1EEv18rocblas_operation_llT0_T1_lllT2_lllib: ; @_ZL39rocblas_trsm_block_forward_substitutionI19rocblas_complex_numIdES1_PKPKS1_PKPS1_Lb1ELb0ELb1EEv18rocblas_operation_llT0_T1_lllT2_lllib
; %bb.0:
	s_load_b64 s[20:21], s[0:1], 0x68
	s_lshr_b32 s22, ttmp7, 16
	s_wait_kmcnt 0x0
	s_cmp_ge_u32 s22, s20
	s_cbranch_scc1 .LBB255_19
; %bb.1:
	s_clause 0x2
	s_load_b32 s2, s[0:1], 0x0
	s_load_u16 s3, s[0:1], 0x7e
	s_load_b64 s[34:35], s[0:1], 0x58
	s_bitcmp1_b32 s21, 0
	v_bfe_u32 v4, v0, 10, 10
	s_cselect_b32 s21, -1, 0
	v_mov_b32_e32 v6, 0
	s_add_nc_u64 s[24:25], s[0:1], 0x70
	s_mov_b64 s[26:27], src_shared_base
	v_lshl_add_u32 v14, v4, 4, 0
	s_mov_b32 s23, 0
	s_mov_b64 s[28:29], 1
	s_wait_kmcnt 0x0
	s_cmp_eq_u32 s2, 0x71
	s_cselect_b32 s2, -1, 0
	s_and_b32 s4, ttmp7, 0xffff
	s_delay_alu instid0(SALU_CYCLE_1)
	v_mad_co_u64_u32 v[1:2], null, s4, s3, v[4:5]
	s_clause 0x3
	s_load_b256 s[4:11], s[0:1], 0x8
	s_load_b128 s[12:15], s[0:1], 0x48
	s_load_b128 s[16:19], s[0:1], 0x28
	s_load_b64 s[30:31], s[0:1], 0x38
	v_and_b32_e32 v5, 0x3ff, v0
	s_lshl_b32 s1, s3, 4
	s_delay_alu instid0(SALU_CYCLE_1) | instskip(SKIP_1) | instid1(VALU_DEP_2)
	s_add_co_i32 s26, s1, 0
	v_mad_co_u64_u32 v[7:8], null, s34, v1, 0
	v_lshlrev_b32_e32 v16, 4, v5
	v_dual_mov_b32 v2, v6 :: v_dual_lshlrev_b32 v13, 4, v5
	s_delay_alu instid0(VALU_DEP_1) | instskip(SKIP_2) | instid1(VALU_DEP_2)
	v_dual_mov_b32 v0, v8 :: v_dual_add_nc_u32 v15, s26, v13
	s_wait_kmcnt 0x0
	v_cmp_gt_i64_e64 s0, s[4:5], v[5:6]
	v_mad_co_u64_u32 v[8:9], null, s35, v1, v[0:1]
	v_cmp_gt_i64_e32 vcc_lo, s[6:7], v[1:2]
	v_cmp_gt_i64_e64 s1, s[4:5], 0
	v_cmp_gt_i64_e64 s38, s[4:5], 1
	s_add_nc_u64 s[6:7], s[4:5], -1
	s_lshl_b64 s[18:19], s[18:19], 4
	s_lshl_b64 s[14:15], s[14:15], 4
	v_lshlrev_b64_e32 v[7:8], 4, v[7:8]
	s_and_b32 s33, vcc_lo, s0
	s_branch .LBB255_4
.LBB255_2:                              ;   in Loop: Header=BB255_4 Depth=1
	flat_store_b128 v[9:10], v[0:3]
.LBB255_3:                              ;   in Loop: Header=BB255_4 Depth=1
	s_or_b32 exec_lo, exec_lo, s39
	s_add_co_i32 s22, s22, 0x10000
	s_delay_alu instid0(SALU_CYCLE_1)
	s_cmp_lt_u32 s22, s20
	s_cbranch_scc0 .LBB255_19
.LBB255_4:                              ; =>This Loop Header: Depth=1
                                        ;     Child Loop BB255_9 Depth 2
                                        ;     Child Loop BB255_15 Depth 2
	s_lshl_b64 s[34:35], s[22:23], 3
	s_wait_alu 0xfffe
	s_add_nc_u64 s[36:37], s[16:17], s[34:35]
	s_add_nc_u64 s[34:35], s[12:13], s[34:35]
	global_load_b64 v[2:3], v6, s[36:37]
	s_wait_loadcnt 0x1
	global_load_b64 v[0:1], v6, s[34:35]
	s_wait_loadcnt 0x1
	v_add_co_u32 v11, vcc_lo, v2, s18
	s_wait_alu 0xfffd
	v_add_co_ci_u32_e64 v12, null, s19, v3, vcc_lo
	s_and_not1_b32 vcc_lo, exec_lo, s21
	s_wait_alu 0xfffe
	s_cbranch_vccz .LBB255_6
; %bb.5:                                ;   in Loop: Header=BB255_4 Depth=1
	s_and_saveexec_b32 s39, s33
	s_cbranch_execz .LBB255_3
	s_branch .LBB255_12
.LBB255_6:                              ;   in Loop: Header=BB255_4 Depth=1
	s_and_not1_b32 vcc_lo, exec_lo, s1
	s_wait_alu 0xfffe
	s_cbranch_vccnz .LBB255_11
; %bb.7:                                ;   in Loop: Header=BB255_4 Depth=1
	v_mad_co_u64_u32 v[2:3], null, s30, v5, 0
	s_mov_b32 s30, 0
	v_mad_co_u64_u32 v[9:10], null, s31, v5, v[3:4]
	s_delay_alu instid0(VALU_DEP_1) | instskip(NEXT) | instid1(VALU_DEP_1)
	v_mov_b32_e32 v3, v9
	v_lshlrev_b64_e32 v[2:3], 4, v[2:3]
	s_delay_alu instid0(VALU_DEP_1) | instskip(SKIP_1) | instid1(VALU_DEP_2)
	v_add_co_u32 v2, vcc_lo, v11, v2
	s_wait_alu 0xfffd
	v_add_co_ci_u32_e64 v3, null, v12, v3, vcc_lo
	s_branch .LBB255_9
.LBB255_8:                              ;   in Loop: Header=BB255_9 Depth=2
	s_wait_alu 0xfffe
	s_or_b32 exec_lo, exec_lo, s31
	s_add_co_i32 s30, s30, s3
	s_wait_alu 0xfffe
	s_ashr_i32 s31, s30, 31
	s_wait_alu 0xfffe
	v_cmp_le_i64_e64 s31, s[4:5], s[30:31]
	s_and_b32 vcc_lo, exec_lo, s31
	s_wait_alu 0xfffe
	s_cbranch_vccnz .LBB255_11
.LBB255_9:                              ;   Parent Loop BB255_4 Depth=1
                                        ; =>  This Inner Loop Header: Depth=2
	s_wait_alu 0xfffe
	v_add_nc_u32_e32 v9, s30, v4
	s_delay_alu instid0(VALU_DEP_1)
	v_cmp_gt_i32_e32 vcc_lo, v5, v9
	s_and_b32 s34, s0, vcc_lo
	s_wait_alu 0xfffe
	s_and_saveexec_b32 s31, s34
	s_cbranch_execz .LBB255_8
; %bb.10:                               ;   in Loop: Header=BB255_9 Depth=2
	v_ashrrev_i32_e32 v12, 31, v9
	v_mul_lo_u32 v17, s29, v9
	v_mad_co_u64_u32 v[10:11], null, s28, v9, 0
	s_load_b32 s34, s[24:25], 0xc
	v_mul_lo_u32 v12, s28, v12
	s_delay_alu instid0(VALU_DEP_1) | instskip(NEXT) | instid1(VALU_DEP_1)
	v_add3_u32 v11, v11, v12, v17
	v_lshlrev_b64_e32 v[10:11], 4, v[10:11]
	s_wait_kmcnt 0x0
	s_and_b32 s34, s34, 0xffff
	s_delay_alu instid0(VALU_DEP_1) | instskip(SKIP_1) | instid1(VALU_DEP_2)
	v_add_co_u32 v10, vcc_lo, v2, v10
	s_wait_alu 0xfffd
	v_add_co_ci_u32_e64 v11, null, v3, v11, vcc_lo
	s_wait_alu 0xfffe
	v_mul_lo_u32 v9, v9, s34
	flat_load_b128 v[17:20], v[10:11]
	v_lshl_add_u32 v9, v9, 4, v15
	s_wait_loadcnt_dscnt 0x0
	ds_store_2addr_b64 v9, v[17:18], v[19:20] offset1:1
	s_branch .LBB255_8
.LBB255_11:                             ;   in Loop: Header=BB255_4 Depth=1
	s_load_b32 s28, s[24:25], 0xc
	v_dual_mov_b32 v11, s26 :: v_dual_mov_b32 v12, s27
	s_mov_b32 s29, s23
	s_mov_b64 s[30:31], 1
	s_wait_kmcnt 0x0
	s_and_b32 s28, s28, 0xffff
	s_and_saveexec_b32 s39, s33
	s_cbranch_execz .LBB255_3
.LBB255_12:                             ;   in Loop: Header=BB255_4 Depth=1
	s_wait_loadcnt 0x0
	v_add_co_u32 v0, vcc_lo, v0, s14
	s_wait_alu 0xfffd
	v_add_co_ci_u32_e64 v1, null, s15, v1, vcc_lo
	s_delay_alu instid0(VALU_DEP_2) | instskip(SKIP_1) | instid1(VALU_DEP_2)
	v_add_co_u32 v0, vcc_lo, v0, v7
	s_wait_alu 0xfffd
	v_add_co_ci_u32_e64 v1, null, v1, v8, vcc_lo
	s_delay_alu instid0(VALU_DEP_2) | instskip(SKIP_1) | instid1(VALU_DEP_2)
	v_add_co_u32 v9, vcc_lo, v0, v16
	s_wait_alu 0xfffd
	v_add_co_ci_u32_e64 v10, null, 0, v1, vcc_lo
	s_and_not1_b32 vcc_lo, exec_lo, s38
	flat_load_b128 v[17:20], v[9:10]
	s_wait_loadcnt_dscnt 0x0
	v_mul_f64_e32 v[0:1], s[10:11], v[19:20]
	v_mul_f64_e32 v[2:3], s[8:9], v[19:20]
	s_delay_alu instid0(VALU_DEP_2) | instskip(NEXT) | instid1(VALU_DEP_2)
	v_fma_f64 v[0:1], s[8:9], v[17:18], -v[0:1]
	v_fma_f64 v[2:3], s[10:11], v[17:18], v[2:3]
	s_wait_alu 0xfffe
	s_cbranch_vccnz .LBB255_2
; %bb.13:                               ;   in Loop: Header=BB255_4 Depth=1
	v_mad_co_u64_u32 v[11:12], null, v13, s30, v[11:12]
	s_lshl_b64 s[34:35], s[28:29], 4
	s_mov_b64 s[36:37], 0
	v_mad_co_u64_u32 v[17:18], null, v13, s31, v[12:13]
	v_add_co_u32 v11, vcc_lo, v11, 8
	s_wait_alu 0xfffd
	s_delay_alu instid0(VALU_DEP_2)
	v_add_co_ci_u32_e64 v12, null, 0, v17, vcc_lo
	s_branch .LBB255_15
.LBB255_14:                             ;   in Loop: Header=BB255_15 Depth=2
	s_or_b32 exec_lo, exec_lo, s40
	s_wait_alu 0xfffe
	v_add_co_u32 v11, vcc_lo, v11, s34
	s_wait_alu 0xfffd
	v_add_co_ci_u32_e64 v12, null, s35, v12, vcc_lo
	s_add_nc_u64 s[36:37], s[36:37], 1
	s_wait_alu 0xfffe
	s_cmp_eq_u64 s[6:7], s[36:37]
	s_cbranch_scc1 .LBB255_2
.LBB255_15:                             ;   Parent Loop BB255_4 Depth=1
                                        ; =>  This Inner Loop Header: Depth=2
	s_mov_b32 s40, exec_lo
	s_barrier_signal -1
	s_barrier_wait -1
	global_inv scope:SCOPE_SE
	s_wait_alu 0xfffe
	v_cmpx_eq_u64_e64 s[36:37], v[5:6]
; %bb.16:                               ;   in Loop: Header=BB255_15 Depth=2
	ds_store_2addr_b64 v14, v[0:1], v[2:3] offset1:1
; %bb.17:                               ;   in Loop: Header=BB255_15 Depth=2
	s_or_b32 exec_lo, exec_lo, s40
	s_delay_alu instid0(SALU_CYCLE_1)
	s_mov_b32 s40, exec_lo
	s_wait_loadcnt_dscnt 0x0
	s_barrier_signal -1
	s_barrier_wait -1
	global_inv scope:SCOPE_SE
	v_cmpx_lt_u64_e64 s[36:37], v[5:6]
	s_cbranch_execz .LBB255_14
; %bb.18:                               ;   in Loop: Header=BB255_15 Depth=2
	flat_load_b128 v[17:20], v[11:12] offset:-8
	ds_load_2addr_b64 v[21:24], v14 offset1:1
	s_wait_loadcnt_dscnt 0x1
	v_xor_b32_e32 v25, 0x80000000, v20
	s_delay_alu instid0(VALU_DEP_1) | instskip(SKIP_1) | instid1(VALU_DEP_1)
	v_cndmask_b32_e64 v20, v20, v25, s2
	s_wait_dscnt 0x0
	v_mul_f64_e32 v[25:26], v[19:20], v[23:24]
	v_mul_f64_e32 v[23:24], v[17:18], v[23:24]
	s_delay_alu instid0(VALU_DEP_2) | instskip(NEXT) | instid1(VALU_DEP_2)
	v_fma_f64 v[17:18], v[17:18], v[21:22], -v[25:26]
	v_fma_f64 v[19:20], v[19:20], v[21:22], v[23:24]
	s_delay_alu instid0(VALU_DEP_2) | instskip(NEXT) | instid1(VALU_DEP_2)
	v_add_f64_e64 v[0:1], v[0:1], -v[17:18]
	v_add_f64_e64 v[2:3], v[2:3], -v[19:20]
	s_branch .LBB255_14
.LBB255_19:
	s_endpgm
	.section	.rodata,"a",@progbits
	.p2align	6, 0x0
	.amdhsa_kernel _ZL39rocblas_trsm_block_forward_substitutionI19rocblas_complex_numIdES1_PKPKS1_PKPS1_Lb1ELb0ELb1EEv18rocblas_operation_llT0_T1_lllT2_lllib
		.amdhsa_group_segment_fixed_size 0
		.amdhsa_private_segment_fixed_size 0
		.amdhsa_kernarg_size 368
		.amdhsa_user_sgpr_count 2
		.amdhsa_user_sgpr_dispatch_ptr 0
		.amdhsa_user_sgpr_queue_ptr 0
		.amdhsa_user_sgpr_kernarg_segment_ptr 1
		.amdhsa_user_sgpr_dispatch_id 0
		.amdhsa_user_sgpr_private_segment_size 0
		.amdhsa_wavefront_size32 1
		.amdhsa_uses_dynamic_stack 0
		.amdhsa_enable_private_segment 0
		.amdhsa_system_sgpr_workgroup_id_x 1
		.amdhsa_system_sgpr_workgroup_id_y 1
		.amdhsa_system_sgpr_workgroup_id_z 1
		.amdhsa_system_sgpr_workgroup_info 0
		.amdhsa_system_vgpr_workitem_id 1
		.amdhsa_next_free_vgpr 27
		.amdhsa_next_free_sgpr 41
		.amdhsa_reserve_vcc 1
		.amdhsa_float_round_mode_32 0
		.amdhsa_float_round_mode_16_64 0
		.amdhsa_float_denorm_mode_32 3
		.amdhsa_float_denorm_mode_16_64 3
		.amdhsa_fp16_overflow 0
		.amdhsa_workgroup_processor_mode 1
		.amdhsa_memory_ordered 1
		.amdhsa_forward_progress 1
		.amdhsa_inst_pref_size 10
		.amdhsa_round_robin_scheduling 0
		.amdhsa_exception_fp_ieee_invalid_op 0
		.amdhsa_exception_fp_denorm_src 0
		.amdhsa_exception_fp_ieee_div_zero 0
		.amdhsa_exception_fp_ieee_overflow 0
		.amdhsa_exception_fp_ieee_underflow 0
		.amdhsa_exception_fp_ieee_inexact 0
		.amdhsa_exception_int_div_zero 0
	.end_amdhsa_kernel
	.section	.text._ZL39rocblas_trsm_block_forward_substitutionI19rocblas_complex_numIdES1_PKPKS1_PKPS1_Lb1ELb0ELb1EEv18rocblas_operation_llT0_T1_lllT2_lllib,"axG",@progbits,_ZL39rocblas_trsm_block_forward_substitutionI19rocblas_complex_numIdES1_PKPKS1_PKPS1_Lb1ELb0ELb1EEv18rocblas_operation_llT0_T1_lllT2_lllib,comdat
.Lfunc_end255:
	.size	_ZL39rocblas_trsm_block_forward_substitutionI19rocblas_complex_numIdES1_PKPKS1_PKPS1_Lb1ELb0ELb1EEv18rocblas_operation_llT0_T1_lllT2_lllib, .Lfunc_end255-_ZL39rocblas_trsm_block_forward_substitutionI19rocblas_complex_numIdES1_PKPKS1_PKPS1_Lb1ELb0ELb1EEv18rocblas_operation_llT0_T1_lllT2_lllib
                                        ; -- End function
	.set _ZL39rocblas_trsm_block_forward_substitutionI19rocblas_complex_numIdES1_PKPKS1_PKPS1_Lb1ELb0ELb1EEv18rocblas_operation_llT0_T1_lllT2_lllib.num_vgpr, 27
	.set _ZL39rocblas_trsm_block_forward_substitutionI19rocblas_complex_numIdES1_PKPKS1_PKPS1_Lb1ELb0ELb1EEv18rocblas_operation_llT0_T1_lllT2_lllib.num_agpr, 0
	.set _ZL39rocblas_trsm_block_forward_substitutionI19rocblas_complex_numIdES1_PKPKS1_PKPS1_Lb1ELb0ELb1EEv18rocblas_operation_llT0_T1_lllT2_lllib.numbered_sgpr, 41
	.set _ZL39rocblas_trsm_block_forward_substitutionI19rocblas_complex_numIdES1_PKPKS1_PKPS1_Lb1ELb0ELb1EEv18rocblas_operation_llT0_T1_lllT2_lllib.num_named_barrier, 0
	.set _ZL39rocblas_trsm_block_forward_substitutionI19rocblas_complex_numIdES1_PKPKS1_PKPS1_Lb1ELb0ELb1EEv18rocblas_operation_llT0_T1_lllT2_lllib.private_seg_size, 0
	.set _ZL39rocblas_trsm_block_forward_substitutionI19rocblas_complex_numIdES1_PKPKS1_PKPS1_Lb1ELb0ELb1EEv18rocblas_operation_llT0_T1_lllT2_lllib.uses_vcc, 1
	.set _ZL39rocblas_trsm_block_forward_substitutionI19rocblas_complex_numIdES1_PKPKS1_PKPS1_Lb1ELb0ELb1EEv18rocblas_operation_llT0_T1_lllT2_lllib.uses_flat_scratch, 0
	.set _ZL39rocblas_trsm_block_forward_substitutionI19rocblas_complex_numIdES1_PKPKS1_PKPS1_Lb1ELb0ELb1EEv18rocblas_operation_llT0_T1_lllT2_lllib.has_dyn_sized_stack, 0
	.set _ZL39rocblas_trsm_block_forward_substitutionI19rocblas_complex_numIdES1_PKPKS1_PKPS1_Lb1ELb0ELb1EEv18rocblas_operation_llT0_T1_lllT2_lllib.has_recursion, 0
	.set _ZL39rocblas_trsm_block_forward_substitutionI19rocblas_complex_numIdES1_PKPKS1_PKPS1_Lb1ELb0ELb1EEv18rocblas_operation_llT0_T1_lllT2_lllib.has_indirect_call, 0
	.section	.AMDGPU.csdata,"",@progbits
; Kernel info:
; codeLenInByte = 1164
; TotalNumSgprs: 43
; NumVgprs: 27
; ScratchSize: 0
; MemoryBound: 0
; FloatMode: 240
; IeeeMode: 1
; LDSByteSize: 0 bytes/workgroup (compile time only)
; SGPRBlocks: 0
; VGPRBlocks: 3
; NumSGPRsForWavesPerEU: 43
; NumVGPRsForWavesPerEU: 27
; Occupancy: 16
; WaveLimiterHint : 1
; COMPUTE_PGM_RSRC2:SCRATCH_EN: 0
; COMPUTE_PGM_RSRC2:USER_SGPR: 2
; COMPUTE_PGM_RSRC2:TRAP_HANDLER: 0
; COMPUTE_PGM_RSRC2:TGID_X_EN: 1
; COMPUTE_PGM_RSRC2:TGID_Y_EN: 1
; COMPUTE_PGM_RSRC2:TGID_Z_EN: 1
; COMPUTE_PGM_RSRC2:TIDIG_COMP_CNT: 1
	.section	.text._ZL40rocblas_trsm_block_backward_substitutionI19rocblas_complex_numIdES1_PKPKS1_PKPS1_Lb1ELb0ELb1EEv18rocblas_operation_llT0_T1_lllT2_lllib,"axG",@progbits,_ZL40rocblas_trsm_block_backward_substitutionI19rocblas_complex_numIdES1_PKPKS1_PKPS1_Lb1ELb0ELb1EEv18rocblas_operation_llT0_T1_lllT2_lllib,comdat
	.globl	_ZL40rocblas_trsm_block_backward_substitutionI19rocblas_complex_numIdES1_PKPKS1_PKPS1_Lb1ELb0ELb1EEv18rocblas_operation_llT0_T1_lllT2_lllib ; -- Begin function _ZL40rocblas_trsm_block_backward_substitutionI19rocblas_complex_numIdES1_PKPKS1_PKPS1_Lb1ELb0ELb1EEv18rocblas_operation_llT0_T1_lllT2_lllib
	.p2align	8
	.type	_ZL40rocblas_trsm_block_backward_substitutionI19rocblas_complex_numIdES1_PKPKS1_PKPS1_Lb1ELb0ELb1EEv18rocblas_operation_llT0_T1_lllT2_lllib,@function
_ZL40rocblas_trsm_block_backward_substitutionI19rocblas_complex_numIdES1_PKPKS1_PKPS1_Lb1ELb0ELb1EEv18rocblas_operation_llT0_T1_lllT2_lllib: ; @_ZL40rocblas_trsm_block_backward_substitutionI19rocblas_complex_numIdES1_PKPKS1_PKPS1_Lb1ELb0ELb1EEv18rocblas_operation_llT0_T1_lllT2_lllib
; %bb.0:
	s_load_b64 s[20:21], s[0:1], 0x68
	s_lshr_b32 s22, ttmp7, 16
	s_wait_kmcnt 0x0
	s_cmp_ge_u32 s22, s20
	s_cbranch_scc1 .LBB256_19
; %bb.1:
	s_mov_b64 s[28:29], src_shared_base
	s_clause 0x6
	s_load_b64 s[2:3], s[0:1], 0x58
	s_load_b32 s28, s[0:1], 0x0
	s_load_b256 s[4:11], s[0:1], 0x8
	s_load_b128 s[12:15], s[0:1], 0x28
	s_load_b64 s[24:25], s[0:1], 0x38
	s_load_u16 s33, s[0:1], 0x7e
	s_load_b128 s[16:19], s[0:1], 0x48
	s_bitcmp1_b32 s21, 0
	v_bfe_u32 v4, v0, 10, 10
	v_dual_mov_b32 v6, 0 :: v_dual_and_b32 v5, 0x3ff, v0
	s_cselect_b32 s21, -1, 0
	s_add_nc_u64 s[26:27], s[0:1], 0x70
	s_delay_alu instid0(VALU_DEP_2) | instskip(NEXT) | instid1(VALU_DEP_2)
	v_lshl_add_u32 v15, v4, 4, 0
	v_lshlrev_b32_e32 v9, 4, v5
	s_mov_b32 s23, 0
	v_lshlrev_b32_e32 v18, 4, v5
	s_delay_alu instid0(VALU_DEP_2)
	v_or_b32_e32 v16, 8, v9
	s_wait_kmcnt 0x0
	v_mad_co_u64_u32 v[0:1], null, s2, v5, 0
	s_cmp_eq_u32 s28, 0x71
	v_cmp_gt_i64_e64 s36, s[4:5], 0
	s_cselect_b32 s0, -1, 0
	s_and_b32 s1, ttmp7, 0xffff
	s_lshl_b32 s2, s33, 4
	v_mad_co_u64_u32 v[2:3], null, s1, s33, v[4:5]
	v_mov_b32_e32 v3, v6
	v_cmp_gt_i64_e64 s1, s[4:5], v[5:6]
	s_wait_alu 0xfffe
	s_add_co_i32 s28, s2, 0
	v_cmp_gt_i64_e64 s38, s[4:5], 1
	v_add_nc_u32_e32 v17, s28, v9
	s_add_nc_u64 s[30:31], s[4:5], -1
	v_mad_co_u64_u32 v[7:8], null, s3, v5, v[1:2]
	v_cmp_gt_i64_e32 vcc_lo, s[6:7], v[2:3]
	s_lshl_b64 s[6:7], s[30:31], 4
	s_lshl_b64 s[14:15], s[14:15], 4
	;; [unrolled: 1-line block ×3, first 2 shown]
	s_delay_alu instid0(VALU_DEP_2) | instskip(SKIP_2) | instid1(VALU_DEP_2)
	v_mov_b32_e32 v1, v7
	v_lshlrev_b64_e32 v[7:8], 4, v[2:3]
	s_and_b32 s37, vcc_lo, s1
	v_lshlrev_b64_e32 v[9:10], 4, v[0:1]
	s_branch .LBB256_4
.LBB256_2:                              ;   in Loop: Header=BB256_4 Depth=1
	flat_store_b128 v[11:12], v[0:3]
.LBB256_3:                              ;   in Loop: Header=BB256_4 Depth=1
	s_or_b32 exec_lo, exec_lo, s39
	s_add_co_i32 s22, s22, 0x10000
	s_delay_alu instid0(SALU_CYCLE_1)
	s_cmp_lt_u32 s22, s20
	s_cbranch_scc0 .LBB256_19
.LBB256_4:                              ; =>This Loop Header: Depth=1
                                        ;     Child Loop BB256_9 Depth 2
                                        ;     Child Loop BB256_15 Depth 2
	s_lshl_b64 s[2:3], s[22:23], 3
	s_wait_alu 0xfffe
	s_add_nc_u64 s[34:35], s[12:13], s[2:3]
	s_add_nc_u64 s[2:3], s[16:17], s[2:3]
	global_load_b64 v[2:3], v6, s[34:35]
	s_wait_loadcnt 0x1
	global_load_b64 v[0:1], v6, s[2:3]
	s_mov_b64 s[2:3], s[24:25]
	s_wait_loadcnt 0x1
	v_add_co_u32 v13, vcc_lo, v2, s14
	s_wait_alu 0xfffd
	v_add_co_ci_u32_e64 v14, null, s15, v3, vcc_lo
	s_and_not1_b32 vcc_lo, exec_lo, s21
	s_wait_alu 0xfffe
	s_cbranch_vccz .LBB256_6
; %bb.5:                                ;   in Loop: Header=BB256_4 Depth=1
	s_and_saveexec_b32 s39, s37
	s_cbranch_execz .LBB256_3
	s_branch .LBB256_12
.LBB256_6:                              ;   in Loop: Header=BB256_4 Depth=1
	s_and_not1_b32 vcc_lo, exec_lo, s36
	s_wait_alu 0xfffe
	s_cbranch_vccnz .LBB256_11
; %bb.7:                                ;   in Loop: Header=BB256_4 Depth=1
	v_add_co_u32 v11, vcc_lo, v13, v18
	s_wait_alu 0xfffd
	v_add_co_ci_u32_e64 v12, null, 0, v14, vcc_lo
	s_mov_b32 s34, 0
	s_branch .LBB256_9
.LBB256_8:                              ;   in Loop: Header=BB256_9 Depth=2
	s_wait_alu 0xfffe
	s_or_b32 exec_lo, exec_lo, s2
	s_add_co_i32 s34, s34, s33
	s_wait_alu 0xfffe
	s_ashr_i32 s35, s34, 31
	s_wait_alu 0xfffe
	v_cmp_le_i64_e64 s2, s[4:5], s[34:35]
	s_and_b32 vcc_lo, exec_lo, s2
	s_wait_alu 0xfffe
	s_cbranch_vccnz .LBB256_11
.LBB256_9:                              ;   Parent Loop BB256_4 Depth=1
                                        ; =>  This Inner Loop Header: Depth=2
	s_wait_alu 0xfffe
	v_add_nc_u32_e32 v2, s34, v4
	s_delay_alu instid0(VALU_DEP_1) | instskip(SKIP_1) | instid1(VALU_DEP_2)
	v_ashrrev_i32_e32 v3, 31, v2
	v_cmp_lt_i32_e64 s2, v5, v2
	v_cmp_gt_i64_e32 vcc_lo, s[4:5], v[2:3]
	s_and_b32 s2, s2, vcc_lo
	s_wait_alu 0xfffe
	s_and_b32 s3, s1, s2
	s_wait_alu 0xfffe
	s_and_saveexec_b32 s2, s3
	s_cbranch_execz .LBB256_8
; %bb.10:                               ;   in Loop: Header=BB256_9 Depth=2
	v_mul_lo_u32 v19, s25, v2
	v_mul_lo_u32 v3, s24, v3
	v_mad_co_u64_u32 v[13:14], null, s24, v2, 0
	s_load_b32 s3, s[26:27], 0xc
	v_add3_u32 v14, v14, v3, v19
	s_delay_alu instid0(VALU_DEP_1) | instskip(NEXT) | instid1(VALU_DEP_1)
	v_lshlrev_b64_e32 v[13:14], 4, v[13:14]
	v_add_co_u32 v13, vcc_lo, v11, v13
	s_wait_alu 0xfffd
	s_delay_alu instid0(VALU_DEP_2)
	v_add_co_ci_u32_e64 v14, null, v12, v14, vcc_lo
	s_wait_kmcnt 0x0
	s_and_b32 s3, s3, 0xffff
	s_wait_alu 0xfffe
	v_mul_lo_u32 v2, v2, s3
	flat_load_b128 v[19:22], v[13:14]
	v_lshl_add_u32 v2, v2, 4, v17
	s_wait_loadcnt_dscnt 0x0
	ds_store_2addr_b64 v2, v[19:20], v[21:22] offset1:1
	s_branch .LBB256_8
.LBB256_11:                             ;   in Loop: Header=BB256_4 Depth=1
	s_load_b32 s2, s[26:27], 0xc
	v_dual_mov_b32 v13, s28 :: v_dual_mov_b32 v14, s29
	s_mov_b32 s3, s23
	s_wait_kmcnt 0x0
	s_and_b32 s2, s2, 0xffff
	s_and_saveexec_b32 s39, s37
	s_cbranch_execz .LBB256_3
.LBB256_12:                             ;   in Loop: Header=BB256_4 Depth=1
	s_wait_loadcnt 0x0
	v_add_co_u32 v0, vcc_lo, v0, s18
	s_wait_alu 0xfffd
	v_add_co_ci_u32_e64 v1, null, s19, v1, vcc_lo
	s_delay_alu instid0(VALU_DEP_2) | instskip(SKIP_1) | instid1(VALU_DEP_2)
	v_add_co_u32 v0, vcc_lo, v0, v9
	s_wait_alu 0xfffd
	v_add_co_ci_u32_e64 v1, null, v1, v10, vcc_lo
	s_delay_alu instid0(VALU_DEP_2) | instskip(SKIP_1) | instid1(VALU_DEP_2)
	v_add_co_u32 v11, vcc_lo, v0, v7
	s_wait_alu 0xfffd
	v_add_co_ci_u32_e64 v12, null, v1, v8, vcc_lo
	s_and_not1_b32 vcc_lo, exec_lo, s38
	flat_load_b128 v[19:22], v[11:12]
	s_wait_loadcnt_dscnt 0x0
	v_mul_f64_e32 v[0:1], s[10:11], v[21:22]
	v_mul_f64_e32 v[2:3], s[8:9], v[21:22]
	s_delay_alu instid0(VALU_DEP_2) | instskip(NEXT) | instid1(VALU_DEP_2)
	v_fma_f64 v[0:1], s[8:9], v[19:20], -v[0:1]
	v_fma_f64 v[2:3], s[10:11], v[19:20], v[2:3]
	s_wait_alu 0xfffe
	s_cbranch_vccnz .LBB256_2
; %bb.13:                               ;   in Loop: Header=BB256_4 Depth=1
	v_add_co_u32 v13, vcc_lo, v13, v16
	s_wait_alu 0xfffd
	v_add_co_ci_u32_e64 v14, null, 0, v14, vcc_lo
	s_mul_i32 s34, s7, s2
	s_mul_i32 s35, s6, s3
	v_mad_co_u64_u32 v[13:14], null, s6, s2, v[13:14]
	s_lshl_b64 s[2:3], s[2:3], 4
	s_wait_alu 0xfffe
	s_sub_nc_u64 s[2:3], 0, s[2:3]
	v_add3_u32 v14, s35, s34, v14
	s_mov_b64 s[34:35], s[30:31]
	s_branch .LBB256_15
.LBB256_14:                             ;   in Loop: Header=BB256_15 Depth=2
	s_wait_alu 0xfffe
	s_or_b32 exec_lo, exec_lo, s40
	s_add_nc_u64 s[40:41], s[34:35], 1
	v_add_co_u32 v13, vcc_lo, v13, s2
	s_wait_alu 0xfffe
	v_cmp_lt_u64_e64 s40, s[40:41], 3
	s_wait_alu 0xfffd
	v_add_co_ci_u32_e64 v14, null, s3, v14, vcc_lo
	s_add_nc_u64 s[34:35], s[34:35], -1
	s_and_b32 vcc_lo, exec_lo, s40
	s_wait_alu 0xfffe
	s_cbranch_vccnz .LBB256_2
.LBB256_15:                             ;   Parent Loop BB256_4 Depth=1
                                        ; =>  This Inner Loop Header: Depth=2
	s_mov_b32 s40, exec_lo
	s_barrier_signal -1
	s_barrier_wait -1
	global_inv scope:SCOPE_SE
	s_wait_alu 0xfffe
	v_cmpx_eq_u64_e64 s[34:35], v[5:6]
; %bb.16:                               ;   in Loop: Header=BB256_15 Depth=2
	ds_store_2addr_b64 v15, v[0:1], v[2:3] offset1:1
; %bb.17:                               ;   in Loop: Header=BB256_15 Depth=2
	s_or_b32 exec_lo, exec_lo, s40
	s_delay_alu instid0(SALU_CYCLE_1)
	s_mov_b32 s40, exec_lo
	s_wait_loadcnt_dscnt 0x0
	s_barrier_signal -1
	s_barrier_wait -1
	global_inv scope:SCOPE_SE
	v_cmpx_gt_i64_e64 s[34:35], v[5:6]
	s_cbranch_execz .LBB256_14
; %bb.18:                               ;   in Loop: Header=BB256_15 Depth=2
	flat_load_b128 v[19:22], v[13:14] offset:-8
	ds_load_2addr_b64 v[23:26], v15 offset1:1
	s_wait_loadcnt_dscnt 0x1
	v_xor_b32_e32 v27, 0x80000000, v22
	s_delay_alu instid0(VALU_DEP_1) | instskip(SKIP_1) | instid1(VALU_DEP_1)
	v_cndmask_b32_e64 v22, v22, v27, s0
	s_wait_dscnt 0x0
	v_mul_f64_e32 v[27:28], v[21:22], v[25:26]
	v_mul_f64_e32 v[25:26], v[19:20], v[25:26]
	s_delay_alu instid0(VALU_DEP_2) | instskip(NEXT) | instid1(VALU_DEP_2)
	v_fma_f64 v[19:20], v[19:20], v[23:24], -v[27:28]
	v_fma_f64 v[21:22], v[21:22], v[23:24], v[25:26]
	s_delay_alu instid0(VALU_DEP_2) | instskip(NEXT) | instid1(VALU_DEP_2)
	v_add_f64_e64 v[0:1], v[0:1], -v[19:20]
	v_add_f64_e64 v[2:3], v[2:3], -v[21:22]
	s_branch .LBB256_14
.LBB256_19:
	s_endpgm
	.section	.rodata,"a",@progbits
	.p2align	6, 0x0
	.amdhsa_kernel _ZL40rocblas_trsm_block_backward_substitutionI19rocblas_complex_numIdES1_PKPKS1_PKPS1_Lb1ELb0ELb1EEv18rocblas_operation_llT0_T1_lllT2_lllib
		.amdhsa_group_segment_fixed_size 0
		.amdhsa_private_segment_fixed_size 0
		.amdhsa_kernarg_size 368
		.amdhsa_user_sgpr_count 2
		.amdhsa_user_sgpr_dispatch_ptr 0
		.amdhsa_user_sgpr_queue_ptr 0
		.amdhsa_user_sgpr_kernarg_segment_ptr 1
		.amdhsa_user_sgpr_dispatch_id 0
		.amdhsa_user_sgpr_private_segment_size 0
		.amdhsa_wavefront_size32 1
		.amdhsa_uses_dynamic_stack 0
		.amdhsa_enable_private_segment 0
		.amdhsa_system_sgpr_workgroup_id_x 1
		.amdhsa_system_sgpr_workgroup_id_y 1
		.amdhsa_system_sgpr_workgroup_id_z 1
		.amdhsa_system_sgpr_workgroup_info 0
		.amdhsa_system_vgpr_workitem_id 1
		.amdhsa_next_free_vgpr 29
		.amdhsa_next_free_sgpr 42
		.amdhsa_reserve_vcc 1
		.amdhsa_float_round_mode_32 0
		.amdhsa_float_round_mode_16_64 0
		.amdhsa_float_denorm_mode_32 3
		.amdhsa_float_denorm_mode_16_64 3
		.amdhsa_fp16_overflow 0
		.amdhsa_workgroup_processor_mode 1
		.amdhsa_memory_ordered 1
		.amdhsa_forward_progress 1
		.amdhsa_inst_pref_size 10
		.amdhsa_round_robin_scheduling 0
		.amdhsa_exception_fp_ieee_invalid_op 0
		.amdhsa_exception_fp_denorm_src 0
		.amdhsa_exception_fp_ieee_div_zero 0
		.amdhsa_exception_fp_ieee_overflow 0
		.amdhsa_exception_fp_ieee_underflow 0
		.amdhsa_exception_fp_ieee_inexact 0
		.amdhsa_exception_int_div_zero 0
	.end_amdhsa_kernel
	.section	.text._ZL40rocblas_trsm_block_backward_substitutionI19rocblas_complex_numIdES1_PKPKS1_PKPS1_Lb1ELb0ELb1EEv18rocblas_operation_llT0_T1_lllT2_lllib,"axG",@progbits,_ZL40rocblas_trsm_block_backward_substitutionI19rocblas_complex_numIdES1_PKPKS1_PKPS1_Lb1ELb0ELb1EEv18rocblas_operation_llT0_T1_lllT2_lllib,comdat
.Lfunc_end256:
	.size	_ZL40rocblas_trsm_block_backward_substitutionI19rocblas_complex_numIdES1_PKPKS1_PKPS1_Lb1ELb0ELb1EEv18rocblas_operation_llT0_T1_lllT2_lllib, .Lfunc_end256-_ZL40rocblas_trsm_block_backward_substitutionI19rocblas_complex_numIdES1_PKPKS1_PKPS1_Lb1ELb0ELb1EEv18rocblas_operation_llT0_T1_lllT2_lllib
                                        ; -- End function
	.set _ZL40rocblas_trsm_block_backward_substitutionI19rocblas_complex_numIdES1_PKPKS1_PKPS1_Lb1ELb0ELb1EEv18rocblas_operation_llT0_T1_lllT2_lllib.num_vgpr, 29
	.set _ZL40rocblas_trsm_block_backward_substitutionI19rocblas_complex_numIdES1_PKPKS1_PKPS1_Lb1ELb0ELb1EEv18rocblas_operation_llT0_T1_lllT2_lllib.num_agpr, 0
	.set _ZL40rocblas_trsm_block_backward_substitutionI19rocblas_complex_numIdES1_PKPKS1_PKPS1_Lb1ELb0ELb1EEv18rocblas_operation_llT0_T1_lllT2_lllib.numbered_sgpr, 42
	.set _ZL40rocblas_trsm_block_backward_substitutionI19rocblas_complex_numIdES1_PKPKS1_PKPS1_Lb1ELb0ELb1EEv18rocblas_operation_llT0_T1_lllT2_lllib.num_named_barrier, 0
	.set _ZL40rocblas_trsm_block_backward_substitutionI19rocblas_complex_numIdES1_PKPKS1_PKPS1_Lb1ELb0ELb1EEv18rocblas_operation_llT0_T1_lllT2_lllib.private_seg_size, 0
	.set _ZL40rocblas_trsm_block_backward_substitutionI19rocblas_complex_numIdES1_PKPKS1_PKPS1_Lb1ELb0ELb1EEv18rocblas_operation_llT0_T1_lllT2_lllib.uses_vcc, 1
	.set _ZL40rocblas_trsm_block_backward_substitutionI19rocblas_complex_numIdES1_PKPKS1_PKPS1_Lb1ELb0ELb1EEv18rocblas_operation_llT0_T1_lllT2_lllib.uses_flat_scratch, 0
	.set _ZL40rocblas_trsm_block_backward_substitutionI19rocblas_complex_numIdES1_PKPKS1_PKPS1_Lb1ELb0ELb1EEv18rocblas_operation_llT0_T1_lllT2_lllib.has_dyn_sized_stack, 0
	.set _ZL40rocblas_trsm_block_backward_substitutionI19rocblas_complex_numIdES1_PKPKS1_PKPS1_Lb1ELb0ELb1EEv18rocblas_operation_llT0_T1_lllT2_lllib.has_recursion, 0
	.set _ZL40rocblas_trsm_block_backward_substitutionI19rocblas_complex_numIdES1_PKPKS1_PKPS1_Lb1ELb0ELb1EEv18rocblas_operation_llT0_T1_lllT2_lllib.has_indirect_call, 0
	.section	.AMDGPU.csdata,"",@progbits
; Kernel info:
; codeLenInByte = 1180
; TotalNumSgprs: 44
; NumVgprs: 29
; ScratchSize: 0
; MemoryBound: 0
; FloatMode: 240
; IeeeMode: 1
; LDSByteSize: 0 bytes/workgroup (compile time only)
; SGPRBlocks: 0
; VGPRBlocks: 3
; NumSGPRsForWavesPerEU: 44
; NumVGPRsForWavesPerEU: 29
; Occupancy: 16
; WaveLimiterHint : 1
; COMPUTE_PGM_RSRC2:SCRATCH_EN: 0
; COMPUTE_PGM_RSRC2:USER_SGPR: 2
; COMPUTE_PGM_RSRC2:TRAP_HANDLER: 0
; COMPUTE_PGM_RSRC2:TGID_X_EN: 1
; COMPUTE_PGM_RSRC2:TGID_Y_EN: 1
; COMPUTE_PGM_RSRC2:TGID_Z_EN: 1
; COMPUTE_PGM_RSRC2:TIDIG_COMP_CNT: 1
	.section	.text._ZL26setup_batched_array_kernelILi128E19rocblas_complex_numIdEEvPT0_lPS3_,"axG",@progbits,_ZL26setup_batched_array_kernelILi128E19rocblas_complex_numIdEEvPT0_lPS3_,comdat
	.globl	_ZL26setup_batched_array_kernelILi128E19rocblas_complex_numIdEEvPT0_lPS3_ ; -- Begin function _ZL26setup_batched_array_kernelILi128E19rocblas_complex_numIdEEvPT0_lPS3_
	.p2align	8
	.type	_ZL26setup_batched_array_kernelILi128E19rocblas_complex_numIdEEvPT0_lPS3_,@function
_ZL26setup_batched_array_kernelILi128E19rocblas_complex_numIdEEvPT0_lPS3_: ; @_ZL26setup_batched_array_kernelILi128E19rocblas_complex_numIdEEvPT0_lPS3_
; %bb.0:
	s_clause 0x1
	s_load_b128 s[4:7], s[0:1], 0x0
	s_load_b64 s[0:1], s[0:1], 0x10
	s_mov_b32 s2, ttmp9
	s_mov_b32 s3, 0
	s_wait_kmcnt 0x0
	s_mul_u64 s[6:7], s[6:7], s[2:3]
	s_lshl_b64 s[2:3], s[2:3], 3
	s_lshl_b64 s[6:7], s[6:7], 4
	s_add_nc_u64 s[0:1], s[0:1], s[2:3]
	s_add_nc_u64 s[4:5], s[4:5], s[6:7]
	v_mov_b32_e32 v2, 0
	v_dual_mov_b32 v0, s4 :: v_dual_mov_b32 v1, s5
	global_store_b64 v2, v[0:1], s[0:1]
	s_endpgm
	.section	.rodata,"a",@progbits
	.p2align	6, 0x0
	.amdhsa_kernel _ZL26setup_batched_array_kernelILi128E19rocblas_complex_numIdEEvPT0_lPS3_
		.amdhsa_group_segment_fixed_size 0
		.amdhsa_private_segment_fixed_size 0
		.amdhsa_kernarg_size 24
		.amdhsa_user_sgpr_count 2
		.amdhsa_user_sgpr_dispatch_ptr 0
		.amdhsa_user_sgpr_queue_ptr 0
		.amdhsa_user_sgpr_kernarg_segment_ptr 1
		.amdhsa_user_sgpr_dispatch_id 0
		.amdhsa_user_sgpr_private_segment_size 0
		.amdhsa_wavefront_size32 1
		.amdhsa_uses_dynamic_stack 0
		.amdhsa_enable_private_segment 0
		.amdhsa_system_sgpr_workgroup_id_x 1
		.amdhsa_system_sgpr_workgroup_id_y 0
		.amdhsa_system_sgpr_workgroup_id_z 0
		.amdhsa_system_sgpr_workgroup_info 0
		.amdhsa_system_vgpr_workitem_id 0
		.amdhsa_next_free_vgpr 3
		.amdhsa_next_free_sgpr 8
		.amdhsa_reserve_vcc 0
		.amdhsa_float_round_mode_32 0
		.amdhsa_float_round_mode_16_64 0
		.amdhsa_float_denorm_mode_32 3
		.amdhsa_float_denorm_mode_16_64 3
		.amdhsa_fp16_overflow 0
		.amdhsa_workgroup_processor_mode 1
		.amdhsa_memory_ordered 1
		.amdhsa_forward_progress 1
		.amdhsa_inst_pref_size 1
		.amdhsa_round_robin_scheduling 0
		.amdhsa_exception_fp_ieee_invalid_op 0
		.amdhsa_exception_fp_denorm_src 0
		.amdhsa_exception_fp_ieee_div_zero 0
		.amdhsa_exception_fp_ieee_overflow 0
		.amdhsa_exception_fp_ieee_underflow 0
		.amdhsa_exception_fp_ieee_inexact 0
		.amdhsa_exception_int_div_zero 0
	.end_amdhsa_kernel
	.section	.text._ZL26setup_batched_array_kernelILi128E19rocblas_complex_numIdEEvPT0_lPS3_,"axG",@progbits,_ZL26setup_batched_array_kernelILi128E19rocblas_complex_numIdEEvPT0_lPS3_,comdat
.Lfunc_end257:
	.size	_ZL26setup_batched_array_kernelILi128E19rocblas_complex_numIdEEvPT0_lPS3_, .Lfunc_end257-_ZL26setup_batched_array_kernelILi128E19rocblas_complex_numIdEEvPT0_lPS3_
                                        ; -- End function
	.set _ZL26setup_batched_array_kernelILi128E19rocblas_complex_numIdEEvPT0_lPS3_.num_vgpr, 3
	.set _ZL26setup_batched_array_kernelILi128E19rocblas_complex_numIdEEvPT0_lPS3_.num_agpr, 0
	.set _ZL26setup_batched_array_kernelILi128E19rocblas_complex_numIdEEvPT0_lPS3_.numbered_sgpr, 8
	.set _ZL26setup_batched_array_kernelILi128E19rocblas_complex_numIdEEvPT0_lPS3_.num_named_barrier, 0
	.set _ZL26setup_batched_array_kernelILi128E19rocblas_complex_numIdEEvPT0_lPS3_.private_seg_size, 0
	.set _ZL26setup_batched_array_kernelILi128E19rocblas_complex_numIdEEvPT0_lPS3_.uses_vcc, 0
	.set _ZL26setup_batched_array_kernelILi128E19rocblas_complex_numIdEEvPT0_lPS3_.uses_flat_scratch, 0
	.set _ZL26setup_batched_array_kernelILi128E19rocblas_complex_numIdEEvPT0_lPS3_.has_dyn_sized_stack, 0
	.set _ZL26setup_batched_array_kernelILi128E19rocblas_complex_numIdEEvPT0_lPS3_.has_recursion, 0
	.set _ZL26setup_batched_array_kernelILi128E19rocblas_complex_numIdEEvPT0_lPS3_.has_indirect_call, 0
	.section	.AMDGPU.csdata,"",@progbits
; Kernel info:
; codeLenInByte = 80
; TotalNumSgprs: 8
; NumVgprs: 3
; ScratchSize: 0
; MemoryBound: 0
; FloatMode: 240
; IeeeMode: 1
; LDSByteSize: 0 bytes/workgroup (compile time only)
; SGPRBlocks: 0
; VGPRBlocks: 0
; NumSGPRsForWavesPerEU: 8
; NumVGPRsForWavesPerEU: 3
; Occupancy: 16
; WaveLimiterHint : 0
; COMPUTE_PGM_RSRC2:SCRATCH_EN: 0
; COMPUTE_PGM_RSRC2:USER_SGPR: 2
; COMPUTE_PGM_RSRC2:TRAP_HANDLER: 0
; COMPUTE_PGM_RSRC2:TGID_X_EN: 1
; COMPUTE_PGM_RSRC2:TGID_Y_EN: 0
; COMPUTE_PGM_RSRC2:TGID_Z_EN: 0
; COMPUTE_PGM_RSRC2:TIDIG_COMP_CNT: 0
	.section	.text._ZL25rocblas_trtri_trsm_kernelILi128ELi16ELi8E19rocblas_complex_numIdEPKPKS1_PKPS1_Ev13rocblas_fill_17rocblas_diagonal_T3_lilT4_lli,"axG",@progbits,_ZL25rocblas_trtri_trsm_kernelILi128ELi16ELi8E19rocblas_complex_numIdEPKPKS1_PKPS1_Ev13rocblas_fill_17rocblas_diagonal_T3_lilT4_lli,comdat
	.globl	_ZL25rocblas_trtri_trsm_kernelILi128ELi16ELi8E19rocblas_complex_numIdEPKPKS1_PKPS1_Ev13rocblas_fill_17rocblas_diagonal_T3_lilT4_lli ; -- Begin function _ZL25rocblas_trtri_trsm_kernelILi128ELi16ELi8E19rocblas_complex_numIdEPKPKS1_PKPS1_Ev13rocblas_fill_17rocblas_diagonal_T3_lilT4_lli
	.p2align	8
	.type	_ZL25rocblas_trtri_trsm_kernelILi128ELi16ELi8E19rocblas_complex_numIdEPKPKS1_PKPS1_Ev13rocblas_fill_17rocblas_diagonal_T3_lilT4_lli,@function
_ZL25rocblas_trtri_trsm_kernelILi128ELi16ELi8E19rocblas_complex_numIdEPKPKS1_PKPS1_Ev13rocblas_fill_17rocblas_diagonal_T3_lilT4_lli: ; @_ZL25rocblas_trtri_trsm_kernelILi128ELi16ELi8E19rocblas_complex_numIdEPKPKS1_PKPS1_Ev13rocblas_fill_17rocblas_diagonal_T3_lilT4_lli
; %bb.0:
	s_load_b32 s92, s[0:1], 0x40
	s_lshr_b32 s48, ttmp7, 16
	s_wait_kmcnt 0x0
	s_cmp_ge_u32 s48, s92
	s_cbranch_scc1 .LBB258_139
; %bb.1:
	s_clause 0x3
	s_load_b32 s4, s[0:1], 0x18
	s_load_b64 s[6:7], s[0:1], 0x0
	s_load_b128 s[40:43], s[0:1], 0x8
	s_load_b128 s[44:47], s[0:1], 0x28
	v_cmp_gt_u32_e64 s1, 32, v0
	v_cmp_gt_u32_e32 vcc_lo, 16, v0
	v_dual_mov_b32 v14, 0 :: v_dual_and_b32 v3, 15, v0
	s_lshl_b32 s50, ttmp9, 1
	v_cndmask_b32_e64 v1, 0, 0x3000, s1
	s_and_b32 s3, s50, 6
	v_cmp_lt_u32_e64 s0, 31, v0
	v_lshrrev_b32_e32 v4, 4, v0
	v_cmp_gt_u32_e64 s2, 48, v0
	v_cndmask_b32_e64 v12, v1, 0x2000, vcc_lo
	v_cndmask_b32_e64 v1, 0xffffffe0, -16, s1
	s_mul_i32 s49, s3, 0x810
	v_cmp_gt_u32_e64 s3, 0x100, v0
	v_xor_b32_e32 v6, 0xf0, v0
	v_lshl_or_b32 v24, v0, 4, 0x1000
	v_cndmask_b32_e64 v5, v1, 0, vcc_lo
	s_wait_kmcnt 0x0
	s_ashr_i32 s5, s4, 31
	v_lshlrev_b32_e32 v23, 4, v3
	s_lshl_b64 s[52:53], s[4:5], 4
	s_mov_b32 s51, 0
	v_add_nc_u32_e32 v13, v0, v5
	v_and_b32_e32 v5, 0xf0, v0
	v_xor_b32_e32 v0, 15, v3
	s_add_nc_u64 s[8:9], s[52:53], 16
	v_lshl_or_b32 v7, v4, 7, v3
	v_sub_nc_u32_e32 v8, 0xffffff10, v13
	v_sub_nc_u32_e32 v9, 0xffffff20, v13
	v_mad_i32_i24 v59, 0x110, v13, v12
	v_lshlrev_b32_e32 v25, 4, v13
	v_lshlrev_b32_e32 v0, 4, v0
	v_lshl_add_u32 v42, v8, 4, v12
	v_sub_nc_u32_e32 v8, 0xffffff30, v13
	v_lshl_add_u32 v43, v9, 4, v12
	v_sub_nc_u32_e32 v9, 0xffffff40, v13
	s_mul_u64 s[38:39], s[8:9], s[50:51]
	s_bfe_u32 s50, ttmp9, 0x1d0002
	v_lshl_add_u32 v44, v8, 4, v12
	v_sub_nc_u32_e32 v8, 0xffffff50, v13
	v_lshl_add_u32 v45, v9, 4, v12
	v_sub_nc_u32_e32 v9, 0xffffff60, v13
	v_cndmask_b32_e64 v2, s9, 0, vcc_lo
	v_cndmask_b32_e64 v1, s8, 0, vcc_lo
	v_lshl_add_u32 v46, v8, 4, v12
	v_sub_nc_u32_e32 v8, 0xffffff70, v13
	v_lshl_add_u32 v47, v9, 4, v12
	v_sub_nc_u32_e32 v9, 0xffffff80, v13
	v_sub_nc_u32_e32 v10, -16, v13
	v_sub_nc_u32_e32 v57, v12, v25
	v_lshl_add_u32 v48, v8, 4, v12
	v_sub_nc_u32_e32 v8, 0xffffff90, v13
	v_lshl_add_u32 v49, v9, 4, v12
	v_sub_nc_u32_e32 v9, 0xffffffa0, v13
	s_lshl_b64 s[66:67], s[50:51], 18
	s_cmp_lg_u32 s6, 0x7a
	v_lshl_add_u32 v50, v8, 4, v12
	v_sub_nc_u32_e32 v8, 0xffffffb0, v13
	v_lshl_add_u32 v51, v9, 4, v12
	v_sub_nc_u32_e32 v9, 0xffffffc0, v13
	s_cselect_b32 s93, -1, 0
	s_lshl_b64 s[70:71], s[4:5], 8
	v_lshl_add_u32 v52, v8, 4, v12
	v_sub_nc_u32_e32 v8, 0xffffffd0, v13
	v_lshl_add_u32 v53, v9, 4, v12
	v_sub_nc_u32_e32 v9, 0xffffffe0, v13
	s_lshl_b64 s[72:73], s[4:5], 7
	s_lshl_b64 s[80:81], s[4:5], 6
	v_lshl_add_u32 v54, v8, 4, v12
	v_mul_i32_i24_e32 v8, 0x110, v13
	v_lshl_add_u32 v55, v9, 4, v12
	v_lshlrev_b32_e32 v9, 8, v13
	s_lshl_b64 s[84:85], s[4:5], 5
	v_lshlrev_b64_e32 v[15:16], 4, v[13:14]
	v_lshlrev_b64_e32 v[17:18], 4, v[1:2]
	s_mul_u64 s[54:55], s[4:5], 0xf0
	v_sub_nc_u32_e32 v8, v8, v9
	v_sub_nc_u32_e32 v60, v59, v9
	v_lshlrev_b32_e32 v9, 8, v3
	s_mul_u64 s[56:57], s[4:5], 0xe0
	s_mul_u64 s[58:59], s[4:5], 0xd0
	v_add3_u32 v61, v8, v12, 0x100
	v_lshlrev_b32_e32 v8, 8, v4
	v_sub_nc_u32_e32 v0, v0, v9
	s_mul_u64 s[60:61], s[4:5], 0xc0
	s_mul_u64 s[62:63], s[4:5], 0xb0
	s_mul_u64 s[64:65], s[4:5], 0xa0
	v_or_b32_e32 v65, v8, v23
	s_mul_u64 s[68:69], s[4:5], 0x90
	s_mul_u64 s[74:75], s[4:5], 0x70
	;; [unrolled: 1-line block ×5, first 2 shown]
	s_cmp_lg_u32 s7, 0x84
	v_cndmask_b32_e64 v26, 0x810, 0, vcc_lo
	v_add_nc_u32_e32 v27, 0xf00, v25
	v_add_nc_u32_e32 v28, 0xe00, v25
	;; [unrolled: 1-line block ×15, first 2 shown]
	v_cmp_gt_u32_e64 s4, 16, v13
	v_cmp_gt_u32_e64 s5, 15, v13
	;; [unrolled: 1-line block ×15, first 2 shown]
	v_lshl_add_u32 v56, v10, 4, v12
	v_cmp_eq_u32_e64 s19, 0, v13
	v_cmp_ne_u32_e64 s20, 0, v13
	v_add_nc_u32_e32 v58, v12, v25
	v_cmp_lt_u32_e64 s21, 1, v13
	v_cmp_lt_u32_e64 s22, 2, v13
	;; [unrolled: 1-line block ×14, first 2 shown]
	v_cmp_gt_i32_e64 s36, 16, v13
	v_cmp_lt_i32_e64 s37, -1, v13
	v_or_b32_e32 v62, 16, v12
	v_add_nc_u32_e32 v63, 1, v4
	v_lshl_or_b32 v64, v6, 4, 0x30f0
	v_add_nc_u32_e32 v66, -1, v4
	v_or3_b32 v67, v8, v5, 0x2000
	v_add_nc_u32_e32 v68, -1, v3
	v_or_b32_e32 v69, 0x1000, v65
	v_add_nc_u32_e32 v70, 0x2f00, v0
	v_add_nc_u32_e32 v71, 1, v3
	v_or_b32_e32 v72, 0x1000, v8
	v_or_b32_e32 v73, 0x3000, v23
	v_add_nc_u32_e32 v74, 0xf0, v57
	v_add_nc_u32_e32 v75, 1, v13
	v_lshlrev_b32_e32 v76, 4, v7
	s_cselect_b32 s94, -1, 0
	s_sub_nc_u64 s[86:87], 0, s[52:53]
	s_lshl_b64 s[88:89], s[38:39], 4
	s_lshl_b64 s[42:43], s[42:43], 4
	s_lshl_b32 s95, s49, 4
	s_lshl_b64 s[46:47], s[46:47], 4
	s_branch .LBB258_3
.LBB258_2:                              ;   in Loop: Header=BB258_3 Depth=1
	s_wait_alu 0xfffe
	s_or_b32 exec_lo, exec_lo, s39
	s_add_co_i32 s48, s48, 0x10000
	s_wait_alu 0xfffe
	s_cmp_lt_u32 s48, s92
	s_cbranch_scc0 .LBB258_139
.LBB258_3:                              ; =>This Loop Header: Depth=1
                                        ;     Child Loop BB258_91 Depth 2
                                        ;       Child Loop BB258_96 Depth 3
                                        ;     Child Loop BB258_103 Depth 2
                                        ;     Child Loop BB258_109 Depth 2
	;; [unrolled: 1-line block ×6, first 2 shown]
	s_mov_b32 s49, s51
	s_wait_alu 0xfffe
	s_lshl_b64 s[38:39], s[48:49], 3
	s_wait_alu 0xfffe
	s_add_nc_u64 s[90:91], s[40:41], s[38:39]
	s_add_nc_u64 s[38:39], s[44:45], s[38:39]
	s_clause 0x1
	global_load_b64 v[0:1], v14, s[90:91]
	global_load_b64 v[19:20], v14, s[38:39]
	s_wait_loadcnt 0x1
	v_add_co_u32 v0, vcc_lo, v0, s88
	s_wait_alu 0xfffd
	v_add_co_ci_u32_e64 v1, null, s89, v1, vcc_lo
	s_delay_alu instid0(VALU_DEP_2) | instskip(SKIP_1) | instid1(VALU_DEP_2)
	v_add_co_u32 v0, vcc_lo, v0, s42
	s_wait_alu 0xfffd
	v_add_co_ci_u32_e64 v1, null, s43, v1, vcc_lo
	s_and_saveexec_b32 s38, s0
	s_wait_alu 0xfffe
	s_xor_b32 s38, exec_lo, s38
	s_cbranch_execz .LBB258_10
; %bb.4:                                ;   in Loop: Header=BB258_3 Depth=1
	s_and_saveexec_b32 s39, s2
	s_cbranch_execz .LBB258_9
; %bb.5:                                ;   in Loop: Header=BB258_3 Depth=1
	s_and_not1_b32 vcc_lo, exec_lo, s93
	s_mov_b32 s49, -1
	s_wait_alu 0xfffe
	s_cbranch_vccnz .LBB258_7
; %bb.6:                                ;   in Loop: Header=BB258_3 Depth=1
	v_add_co_u32 v2, vcc_lo, v0, s70
	s_wait_alu 0xfffd
	v_add_co_ci_u32_e64 v3, null, s71, v1, vcc_lo
	s_mov_b32 s49, 0
	v_add_co_u32 v6, vcc_lo, v2, v15
	s_wait_alu 0xfffd
	v_add_co_ci_u32_e64 v7, null, v3, v16, vcc_lo
	s_delay_alu instid0(VALU_DEP_2) | instskip(SKIP_1) | instid1(VALU_DEP_2)
	v_add_co_u32 v8, vcc_lo, v6, s54
	s_wait_alu 0xfffd
	v_add_co_ci_u32_e64 v9, null, s55, v7, vcc_lo
	flat_load_b128 v[2:5], v[8:9]
	v_add_co_u32 v8, vcc_lo, v8, s86
	s_wait_alu 0xfffd
	v_add_co_ci_u32_e64 v9, null, s87, v9, vcc_lo
	s_wait_loadcnt_dscnt 0x0
	ds_store_2addr_b64 v27, v[2:3], v[4:5] offset1:1
	flat_load_b128 v[2:5], v[8:9]
	v_add_co_u32 v8, vcc_lo, v8, s86
	s_wait_alu 0xfffd
	v_add_co_ci_u32_e64 v9, null, s87, v9, vcc_lo
	s_wait_loadcnt_dscnt 0x0
	ds_store_2addr_b64 v28, v[2:3], v[4:5] offset1:1
	;; [unrolled: 6-line block ×14, first 2 shown]
	flat_load_b128 v[2:5], v[8:9]
	s_wait_loadcnt_dscnt 0x0
	ds_store_2addr_b64 v41, v[2:3], v[4:5] offset1:1
	flat_load_b128 v[2:5], v[6:7]
	s_wait_loadcnt_dscnt 0x0
	ds_store_2addr_b64 v25, v[2:3], v[4:5] offset1:1
.LBB258_7:                              ;   in Loop: Header=BB258_3 Depth=1
	s_wait_alu 0xfffe
	s_and_not1_b32 vcc_lo, exec_lo, s49
	s_wait_alu 0xfffe
	s_cbranch_vccnz .LBB258_9
; %bb.8:                                ;   in Loop: Header=BB258_3 Depth=1
	v_add_co_u32 v4, vcc_lo, v0, v15
	s_wait_alu 0xfffd
	v_add_co_ci_u32_e64 v5, null, v1, v16, vcc_lo
	flat_load_b128 v[0:3], v[4:5] offset:256
	v_add_co_u32 v4, vcc_lo, v4, s52
	s_wait_alu 0xfffd
	v_add_co_ci_u32_e64 v5, null, s53, v5, vcc_lo
	s_wait_loadcnt_dscnt 0x0
	ds_store_2addr_b64 v25, v[0:1], v[2:3] offset1:1
	flat_load_b128 v[0:3], v[4:5] offset:256
	v_add_co_u32 v4, vcc_lo, v4, s52
	s_wait_alu 0xfffd
	v_add_co_ci_u32_e64 v5, null, s53, v5, vcc_lo
	s_wait_loadcnt_dscnt 0x0
	ds_store_2addr_b64 v41, v[0:1], v[2:3] offset1:1
	;; [unrolled: 6-line block ×15, first 2 shown]
	flat_load_b128 v[0:3], v[4:5] offset:256
	s_wait_loadcnt_dscnt 0x0
	ds_store_2addr_b64 v27, v[0:1], v[2:3] offset1:1
.LBB258_9:                              ;   in Loop: Header=BB258_3 Depth=1
	s_wait_alu 0xfffe
	s_or_b32 exec_lo, exec_lo, s39
                                        ; implicit-def: $vgpr0
                                        ; implicit-def: $vgpr1
.LBB258_10:                             ;   in Loop: Header=BB258_3 Depth=1
	s_wait_alu 0xfffe
	s_and_not1_saveexec_b32 s38, s38
	s_cbranch_execz .LBB258_77
; %bb.11:                               ;   in Loop: Header=BB258_3 Depth=1
	v_add_co_u32 v77, vcc_lo, v0, v17
	s_wait_alu 0xfffd
	v_add_co_ci_u32_e64 v78, null, v1, v18, vcc_lo
	s_and_not1_b32 vcc_lo, exec_lo, s93
	s_mov_b32 s39, -1
	s_wait_alu 0xfffe
	s_cbranch_vccnz .LBB258_45
; %bb.12:                               ;   in Loop: Header=BB258_3 Depth=1
	v_mov_b32_e32 v0, 0
	v_add_co_u32 v21, vcc_lo, v77, v15
	v_dual_mov_b32 v1, 0 :: v_dual_mov_b32 v4, 0
	v_dual_mov_b32 v6, 0 :: v_dual_mov_b32 v5, 0
	v_mov_b32_e32 v7, 0
	s_wait_alu 0xfffd
	v_add_co_ci_u32_e64 v22, null, v78, v16, vcc_lo
	s_and_saveexec_b32 s39, s4
	s_cbranch_execz .LBB258_14
; %bb.13:                               ;   in Loop: Header=BB258_3 Depth=1
	v_add_co_u32 v2, vcc_lo, v21, s54
	s_wait_alu 0xfffd
	v_add_co_ci_u32_e64 v3, null, s55, v22, vcc_lo
	flat_load_b128 v[4:7], v[2:3]
.LBB258_14:                             ;   in Loop: Header=BB258_3 Depth=1
	s_wait_alu 0xfffe
	s_or_b32 exec_lo, exec_lo, s39
	v_mov_b32_e32 v2, 0
	v_mov_b32_e32 v3, 0
	s_wait_loadcnt_dscnt 0x0
	ds_store_b128 v42, v[4:7] offset:4080
	s_and_saveexec_b32 s39, s5
	s_cbranch_execz .LBB258_16
; %bb.15:                               ;   in Loop: Header=BB258_3 Depth=1
	v_add_co_u32 v0, vcc_lo, v21, s56
	s_wait_alu 0xfffd
	v_add_co_ci_u32_e64 v1, null, s57, v22, vcc_lo
	flat_load_b128 v[0:3], v[0:1]
.LBB258_16:                             ;   in Loop: Header=BB258_3 Depth=1
	s_wait_alu 0xfffe
	s_or_b32 exec_lo, exec_lo, s39
	v_mov_b32_e32 v4, 0
	v_dual_mov_b32 v5, 0 :: v_dual_mov_b32 v8, 0
	v_dual_mov_b32 v10, 0 :: v_dual_mov_b32 v9, 0
	v_mov_b32_e32 v11, 0
	s_wait_loadcnt_dscnt 0x0
	ds_store_b128 v43, v[0:3] offset:4080
	s_and_saveexec_b32 s39, s6
	s_cbranch_execz .LBB258_18
; %bb.17:                               ;   in Loop: Header=BB258_3 Depth=1
	v_add_co_u32 v0, vcc_lo, v21, s58
	s_wait_alu 0xfffd
	v_add_co_ci_u32_e64 v1, null, s59, v22, vcc_lo
	flat_load_b128 v[8:11], v[0:1]
.LBB258_18:                             ;   in Loop: Header=BB258_3 Depth=1
	s_wait_alu 0xfffe
	s_or_b32 exec_lo, exec_lo, s39
	v_mov_b32_e32 v6, 0
	v_mov_b32_e32 v7, 0
	s_wait_loadcnt_dscnt 0x0
	ds_store_b128 v44, v[8:11] offset:4080
	s_and_saveexec_b32 s39, s7
	s_cbranch_execz .LBB258_20
; %bb.19:                               ;   in Loop: Header=BB258_3 Depth=1
	v_add_co_u32 v0, vcc_lo, v21, s60
	s_wait_alu 0xfffd
	v_add_co_ci_u32_e64 v1, null, s61, v22, vcc_lo
	flat_load_b128 v[4:7], v[0:1]
.LBB258_20:                             ;   in Loop: Header=BB258_3 Depth=1
	s_wait_alu 0xfffe
	s_or_b32 exec_lo, exec_lo, s39
	v_mov_b32_e32 v2, 0
	v_dual_mov_b32 v3, 0 :: v_dual_mov_b32 v8, 0
	v_dual_mov_b32 v10, 0 :: v_dual_mov_b32 v9, 0
	v_mov_b32_e32 v11, 0
	s_wait_loadcnt_dscnt 0x0
	ds_store_b128 v45, v[4:7] offset:4080
	;; [unrolled: 30-line block ×7, first 2 shown]
	s_and_saveexec_b32 s39, s18
	s_cbranch_execz .LBB258_42
; %bb.41:                               ;   in Loop: Header=BB258_3 Depth=1
	v_add_co_u32 v0, vcc_lo, v21, s52
	s_wait_alu 0xfffd
	v_add_co_ci_u32_e64 v1, null, s53, v22, vcc_lo
	flat_load_b128 v[8:11], v[0:1]
.LBB258_42:                             ;   in Loop: Header=BB258_3 Depth=1
	s_wait_alu 0xfffe
	s_or_b32 exec_lo, exec_lo, s39
	v_mov_b32_e32 v6, 0
	v_mov_b32_e32 v7, 0
	s_wait_loadcnt_dscnt 0x0
	ds_store_b128 v56, v[8:11] offset:4080
	s_and_saveexec_b32 s39, s19
	s_cbranch_execz .LBB258_44
; %bb.43:                               ;   in Loop: Header=BB258_3 Depth=1
	flat_load_b128 v[4:7], v[21:22]
.LBB258_44:                             ;   in Loop: Header=BB258_3 Depth=1
	s_wait_alu 0xfffe
	s_or_b32 exec_lo, exec_lo, s39
	s_mov_b32 s39, 0
	s_wait_loadcnt_dscnt 0x0
	ds_store_b128 v57, v[4:7] offset:4080
.LBB258_45:                             ;   in Loop: Header=BB258_3 Depth=1
	s_wait_alu 0xfffe
	s_and_b32 vcc_lo, exec_lo, s39
	s_wait_alu 0xfffe
	s_cbranch_vccz .LBB258_77
; %bb.46:                               ;   in Loop: Header=BB258_3 Depth=1
	v_add_co_u32 v21, vcc_lo, v77, v15
	s_wait_alu 0xfffd
	v_add_co_ci_u32_e64 v22, null, v78, v16, vcc_lo
	v_mov_b32_e32 v0, 0
	v_dual_mov_b32 v1, 0 :: v_dual_mov_b32 v4, 0
	flat_load_b128 v[8:11], v[21:22]
	v_dual_mov_b32 v6, 0 :: v_dual_mov_b32 v5, 0
	v_mov_b32_e32 v7, 0
	s_wait_loadcnt_dscnt 0x0
	ds_store_b128 v58, v[8:11]
	s_and_saveexec_b32 s39, s20
	s_cbranch_execz .LBB258_48
; %bb.47:                               ;   in Loop: Header=BB258_3 Depth=1
	v_add_co_u32 v2, vcc_lo, v21, s52
	s_wait_alu 0xfffd
	v_add_co_ci_u32_e64 v3, null, s53, v22, vcc_lo
	flat_load_b128 v[4:7], v[2:3]
.LBB258_48:                             ;   in Loop: Header=BB258_3 Depth=1
	s_wait_alu 0xfffe
	s_or_b32 exec_lo, exec_lo, s39
	v_mov_b32_e32 v2, 0
	v_mov_b32_e32 v3, 0
	s_wait_loadcnt_dscnt 0x0
	ds_store_b128 v58, v[4:7] offset:256
	s_and_saveexec_b32 s39, s21
	s_cbranch_execz .LBB258_50
; %bb.49:                               ;   in Loop: Header=BB258_3 Depth=1
	v_add_co_u32 v0, vcc_lo, v21, s84
	s_wait_alu 0xfffd
	v_add_co_ci_u32_e64 v1, null, s85, v22, vcc_lo
	flat_load_b128 v[0:3], v[0:1]
.LBB258_50:                             ;   in Loop: Header=BB258_3 Depth=1
	s_wait_alu 0xfffe
	s_or_b32 exec_lo, exec_lo, s39
	v_mov_b32_e32 v4, 0
	v_dual_mov_b32 v5, 0 :: v_dual_mov_b32 v8, 0
	v_dual_mov_b32 v10, 0 :: v_dual_mov_b32 v9, 0
	v_mov_b32_e32 v11, 0
	s_wait_loadcnt_dscnt 0x0
	ds_store_b128 v58, v[0:3] offset:512
	s_and_saveexec_b32 s39, s22
	s_cbranch_execz .LBB258_52
; %bb.51:                               ;   in Loop: Header=BB258_3 Depth=1
	v_add_co_u32 v0, vcc_lo, v21, s82
	s_wait_alu 0xfffd
	v_add_co_ci_u32_e64 v1, null, s83, v22, vcc_lo
	flat_load_b128 v[8:11], v[0:1]
.LBB258_52:                             ;   in Loop: Header=BB258_3 Depth=1
	s_wait_alu 0xfffe
	s_or_b32 exec_lo, exec_lo, s39
	v_mov_b32_e32 v6, 0
	v_mov_b32_e32 v7, 0
	s_wait_loadcnt_dscnt 0x0
	ds_store_b128 v58, v[8:11] offset:768
	s_and_saveexec_b32 s39, s23
	s_cbranch_execz .LBB258_54
; %bb.53:                               ;   in Loop: Header=BB258_3 Depth=1
	v_add_co_u32 v0, vcc_lo, v21, s80
	s_wait_alu 0xfffd
	v_add_co_ci_u32_e64 v1, null, s81, v22, vcc_lo
	flat_load_b128 v[4:7], v[0:1]
.LBB258_54:                             ;   in Loop: Header=BB258_3 Depth=1
	s_wait_alu 0xfffe
	s_or_b32 exec_lo, exec_lo, s39
	v_mov_b32_e32 v2, 0
	v_dual_mov_b32 v3, 0 :: v_dual_mov_b32 v8, 0
	v_dual_mov_b32 v10, 0 :: v_dual_mov_b32 v9, 0
	v_mov_b32_e32 v11, 0
	s_wait_loadcnt_dscnt 0x0
	ds_store_b128 v58, v[4:7] offset:1024
	;; [unrolled: 30-line block ×6, first 2 shown]
	s_and_saveexec_b32 s39, s33
	s_cbranch_execz .LBB258_72
; %bb.71:                               ;   in Loop: Header=BB258_3 Depth=1
	v_add_co_u32 v2, vcc_lo, v21, s58
	s_wait_alu 0xfffd
	v_add_co_ci_u32_e64 v3, null, s59, v22, vcc_lo
	flat_load_b128 v[6:9], v[2:3]
.LBB258_72:                             ;   in Loop: Header=BB258_3 Depth=1
	s_wait_alu 0xfffe
	s_or_b32 exec_lo, exec_lo, s39
	v_mov_b32_e32 v2, 0
	v_mov_b32_e32 v3, 0
	s_wait_loadcnt_dscnt 0x0
	ds_store_b128 v58, v[6:9] offset:3328
	s_and_saveexec_b32 s39, s34
	s_cbranch_execz .LBB258_74
; %bb.73:                               ;   in Loop: Header=BB258_3 Depth=1
	v_add_co_u32 v0, vcc_lo, v21, s56
	s_wait_alu 0xfffd
	v_add_co_ci_u32_e64 v1, null, s57, v22, vcc_lo
	flat_load_b128 v[0:3], v[0:1]
.LBB258_74:                             ;   in Loop: Header=BB258_3 Depth=1
	s_wait_alu 0xfffe
	s_or_b32 exec_lo, exec_lo, s39
	v_mov_b32_e32 v4, 0
	v_dual_mov_b32 v5, 0 :: v_dual_mov_b32 v6, 0
	v_mov_b32_e32 v7, 0
	s_wait_loadcnt_dscnt 0x0
	ds_store_b128 v58, v[0:3] offset:3584
	s_and_saveexec_b32 s39, s35
	s_cbranch_execz .LBB258_76
; %bb.75:                               ;   in Loop: Header=BB258_3 Depth=1
	v_add_co_u32 v0, vcc_lo, v21, s54
	s_wait_alu 0xfffd
	v_add_co_ci_u32_e64 v1, null, s55, v22, vcc_lo
	flat_load_b128 v[4:7], v[0:1]
.LBB258_76:                             ;   in Loop: Header=BB258_3 Depth=1
	s_wait_alu 0xfffe
	s_or_b32 exec_lo, exec_lo, s39
	s_wait_loadcnt_dscnt 0x0
	ds_store_b128 v58, v[4:7] offset:3840
.LBB258_77:                             ;   in Loop: Header=BB258_3 Depth=1
	s_wait_alu 0xfffe
	s_or_b32 exec_lo, exec_lo, s38
	s_wait_loadcnt_dscnt 0x0
	s_barrier_signal -1
	s_barrier_wait -1
	global_inv scope:SCOPE_SE
	s_and_saveexec_b32 s39, s1
	s_cbranch_execz .LBB258_88
; %bb.78:                               ;   in Loop: Header=BB258_3 Depth=1
	s_and_not1_b32 vcc_lo, exec_lo, s94
	s_wait_alu 0xfffe
	s_cbranch_vccnz .LBB258_86
; %bb.79:                               ;   in Loop: Header=BB258_3 Depth=1
	ds_load_b128 v[0:3], v59
	v_mov_b32_e32 v6, 0
	v_dual_mov_b32 v7, 0 :: v_dual_mov_b32 v4, 0
	v_mov_b32_e32 v5, 0x3ff00000
	s_wait_dscnt 0x0
	v_cmp_neq_f64_e32 vcc_lo, 0, v[0:1]
	v_cmp_neq_f64_e64 s38, 0, v[2:3]
	s_or_b32 s49, vcc_lo, s38
	s_wait_alu 0xfffe
	s_and_saveexec_b32 s38, s49
	s_cbranch_execz .LBB258_85
; %bb.80:                               ;   in Loop: Header=BB258_3 Depth=1
	v_cmp_ngt_f64_e64 s49, |v[0:1]|, |v[2:3]|
                                        ; implicit-def: $vgpr6_vgpr7
	s_and_saveexec_b32 s50, s49
	s_wait_alu 0xfffe
	s_xor_b32 s49, exec_lo, s50
	s_cbranch_execz .LBB258_82
; %bb.81:                               ;   in Loop: Header=BB258_3 Depth=1
	v_div_scale_f64 v[4:5], null, v[2:3], v[2:3], v[0:1]
	v_div_scale_f64 v[10:11], vcc_lo, v[0:1], v[2:3], v[0:1]
	s_delay_alu instid0(VALU_DEP_2) | instskip(NEXT) | instid1(TRANS32_DEP_1)
	v_rcp_f64_e32 v[6:7], v[4:5]
	v_fma_f64 v[8:9], -v[4:5], v[6:7], 1.0
	s_delay_alu instid0(VALU_DEP_1) | instskip(NEXT) | instid1(VALU_DEP_1)
	v_fma_f64 v[6:7], v[6:7], v[8:9], v[6:7]
	v_fma_f64 v[8:9], -v[4:5], v[6:7], 1.0
	s_delay_alu instid0(VALU_DEP_1) | instskip(NEXT) | instid1(VALU_DEP_1)
	v_fma_f64 v[6:7], v[6:7], v[8:9], v[6:7]
	v_mul_f64_e32 v[8:9], v[10:11], v[6:7]
	s_delay_alu instid0(VALU_DEP_1) | instskip(SKIP_1) | instid1(VALU_DEP_1)
	v_fma_f64 v[4:5], -v[4:5], v[8:9], v[10:11]
	s_wait_alu 0xfffd
	v_div_fmas_f64 v[4:5], v[4:5], v[6:7], v[8:9]
	s_delay_alu instid0(VALU_DEP_1) | instskip(NEXT) | instid1(VALU_DEP_1)
	v_div_fixup_f64 v[4:5], v[4:5], v[2:3], v[0:1]
	v_fma_f64 v[0:1], v[0:1], v[4:5], v[2:3]
	s_delay_alu instid0(VALU_DEP_1) | instskip(NEXT) | instid1(VALU_DEP_1)
	v_div_scale_f64 v[2:3], null, v[0:1], v[0:1], 1.0
	v_rcp_f64_e32 v[6:7], v[2:3]
	s_delay_alu instid0(TRANS32_DEP_1) | instskip(NEXT) | instid1(VALU_DEP_1)
	v_fma_f64 v[8:9], -v[2:3], v[6:7], 1.0
	v_fma_f64 v[6:7], v[6:7], v[8:9], v[6:7]
	s_delay_alu instid0(VALU_DEP_1) | instskip(NEXT) | instid1(VALU_DEP_1)
	v_fma_f64 v[8:9], -v[2:3], v[6:7], 1.0
	v_fma_f64 v[6:7], v[6:7], v[8:9], v[6:7]
	v_div_scale_f64 v[8:9], vcc_lo, 1.0, v[0:1], 1.0
	s_delay_alu instid0(VALU_DEP_1) | instskip(NEXT) | instid1(VALU_DEP_1)
	v_mul_f64_e32 v[10:11], v[8:9], v[6:7]
	v_fma_f64 v[2:3], -v[2:3], v[10:11], v[8:9]
	s_wait_alu 0xfffd
	s_delay_alu instid0(VALU_DEP_1) | instskip(NEXT) | instid1(VALU_DEP_1)
	v_div_fmas_f64 v[2:3], v[2:3], v[6:7], v[10:11]
	v_div_fixup_f64 v[6:7], v[2:3], v[0:1], 1.0
                                        ; implicit-def: $vgpr0_vgpr1
	s_delay_alu instid0(VALU_DEP_1)
	v_mul_f64_e32 v[4:5], v[4:5], v[6:7]
	v_xor_b32_e32 v7, 0x80000000, v7
.LBB258_82:                             ;   in Loop: Header=BB258_3 Depth=1
	s_wait_alu 0xfffe
	s_and_not1_saveexec_b32 s49, s49
	s_cbranch_execz .LBB258_84
; %bb.83:                               ;   in Loop: Header=BB258_3 Depth=1
	v_div_scale_f64 v[4:5], null, v[0:1], v[0:1], v[2:3]
	v_div_scale_f64 v[10:11], vcc_lo, v[2:3], v[0:1], v[2:3]
	s_delay_alu instid0(VALU_DEP_2) | instskip(NEXT) | instid1(TRANS32_DEP_1)
	v_rcp_f64_e32 v[6:7], v[4:5]
	v_fma_f64 v[8:9], -v[4:5], v[6:7], 1.0
	s_delay_alu instid0(VALU_DEP_1) | instskip(NEXT) | instid1(VALU_DEP_1)
	v_fma_f64 v[6:7], v[6:7], v[8:9], v[6:7]
	v_fma_f64 v[8:9], -v[4:5], v[6:7], 1.0
	s_delay_alu instid0(VALU_DEP_1) | instskip(NEXT) | instid1(VALU_DEP_1)
	v_fma_f64 v[6:7], v[6:7], v[8:9], v[6:7]
	v_mul_f64_e32 v[8:9], v[10:11], v[6:7]
	s_delay_alu instid0(VALU_DEP_1) | instskip(SKIP_1) | instid1(VALU_DEP_1)
	v_fma_f64 v[4:5], -v[4:5], v[8:9], v[10:11]
	s_wait_alu 0xfffd
	v_div_fmas_f64 v[4:5], v[4:5], v[6:7], v[8:9]
	s_delay_alu instid0(VALU_DEP_1) | instskip(NEXT) | instid1(VALU_DEP_1)
	v_div_fixup_f64 v[6:7], v[4:5], v[0:1], v[2:3]
	v_fma_f64 v[0:1], v[2:3], v[6:7], v[0:1]
	s_delay_alu instid0(VALU_DEP_1) | instskip(NEXT) | instid1(VALU_DEP_1)
	v_div_scale_f64 v[2:3], null, v[0:1], v[0:1], 1.0
	v_rcp_f64_e32 v[4:5], v[2:3]
	s_delay_alu instid0(TRANS32_DEP_1) | instskip(NEXT) | instid1(VALU_DEP_1)
	v_fma_f64 v[8:9], -v[2:3], v[4:5], 1.0
	v_fma_f64 v[4:5], v[4:5], v[8:9], v[4:5]
	s_delay_alu instid0(VALU_DEP_1) | instskip(NEXT) | instid1(VALU_DEP_1)
	v_fma_f64 v[8:9], -v[2:3], v[4:5], 1.0
	v_fma_f64 v[4:5], v[4:5], v[8:9], v[4:5]
	v_div_scale_f64 v[8:9], vcc_lo, 1.0, v[0:1], 1.0
	s_delay_alu instid0(VALU_DEP_1) | instskip(NEXT) | instid1(VALU_DEP_1)
	v_mul_f64_e32 v[10:11], v[8:9], v[4:5]
	v_fma_f64 v[2:3], -v[2:3], v[10:11], v[8:9]
	s_wait_alu 0xfffd
	s_delay_alu instid0(VALU_DEP_1) | instskip(NEXT) | instid1(VALU_DEP_1)
	v_div_fmas_f64 v[2:3], v[2:3], v[4:5], v[10:11]
	v_div_fixup_f64 v[4:5], v[2:3], v[0:1], 1.0
	s_delay_alu instid0(VALU_DEP_1)
	v_mul_f64_e64 v[6:7], v[6:7], -v[4:5]
.LBB258_84:                             ;   in Loop: Header=BB258_3 Depth=1
	s_wait_alu 0xfffe
	s_or_b32 exec_lo, exec_lo, s49
.LBB258_85:                             ;   in Loop: Header=BB258_3 Depth=1
	s_wait_alu 0xfffe
	s_or_b32 exec_lo, exec_lo, s38
	s_branch .LBB258_87
.LBB258_86:                             ;   in Loop: Header=BB258_3 Depth=1
	v_mov_b32_e32 v6, 0
	v_dual_mov_b32 v7, 0 :: v_dual_mov_b32 v4, 0
	v_mov_b32_e32 v5, 0x3ff00000
.LBB258_87:                             ;   in Loop: Header=BB258_3 Depth=1
	ds_store_b128 v59, v[4:7]
.LBB258_88:                             ;   in Loop: Header=BB258_3 Depth=1
	s_wait_alu 0xfffe
	s_or_b32 exec_lo, exec_lo, s39
	s_wait_loadcnt_dscnt 0x0
	s_barrier_signal -1
	s_barrier_wait -1
	global_inv scope:SCOPE_SE
	s_and_saveexec_b32 s38, s1
	s_cbranch_execz .LBB258_100
; %bb.89:                               ;   in Loop: Header=BB258_3 Depth=1
	v_dual_mov_b32 v4, v62 :: v_dual_mov_b32 v5, v61
	s_mov_b32 s39, 0
	s_branch .LBB258_91
.LBB258_90:                             ;   in Loop: Header=BB258_91 Depth=2
	v_add_nc_u32_e32 v5, 0x100, v5
	v_add_nc_u32_e32 v4, 0x110, v4
	s_wait_alu 0xfffe
	s_cmp_eq_u32 s39, 16
	s_cbranch_scc1 .LBB258_100
.LBB258_91:                             ;   Parent Loop BB258_3 Depth=1
                                        ; =>  This Loop Header: Depth=2
                                        ;       Child Loop BB258_96 Depth 3
	v_mov_b32_e32 v0, 0
	v_dual_mov_b32 v1, 0 :: v_dual_mov_b32 v2, 0
	v_mov_b32_e32 v3, 0
	s_wait_alu 0xfffe
	s_mov_b32 s49, s39
	s_mov_b32 s39, exec_lo
	s_wait_alu 0xfffe
	v_cmpx_lt_i32_e64 s49, v13
	s_cbranch_execz .LBB258_93
; %bb.92:                               ;   in Loop: Header=BB258_91 Depth=2
	v_mad_co_u64_u32 v[0:1], null, 0x110, s49, v[12:13]
	v_lshl_add_u32 v6, s49, 8, v60
	ds_load_b128 v[0:3], v0
	ds_load_b128 v[6:9], v6
	s_wait_dscnt 0x0
	v_mul_f64_e32 v[10:11], v[2:3], v[8:9]
	v_mul_f64_e32 v[8:9], v[0:1], v[8:9]
	s_delay_alu instid0(VALU_DEP_2) | instskip(NEXT) | instid1(VALU_DEP_2)
	v_fma_f64 v[0:1], v[0:1], v[6:7], -v[10:11]
	v_fma_f64 v[2:3], v[2:3], v[6:7], v[8:9]
	s_delay_alu instid0(VALU_DEP_2) | instskip(NEXT) | instid1(VALU_DEP_2)
	v_add_f64_e32 v[0:1], 0, v[0:1]
	v_add_f64_e32 v[2:3], 0, v[2:3]
.LBB258_93:                             ;   in Loop: Header=BB258_91 Depth=2
	s_or_b32 exec_lo, exec_lo, s39
	s_add_co_i32 s39, s49, 1
	s_cmp_gt_u32 s49, 14
	s_cbranch_scc1 .LBB258_90
; %bb.94:                               ;   in Loop: Header=BB258_91 Depth=2
	v_dual_mov_b32 v6, v4 :: v_dual_mov_b32 v7, v5
	s_lshl_b32 s49, s49, 8
	s_wait_alu 0xfffe
	s_mov_b32 s50, s39
	s_branch .LBB258_96
.LBB258_95:                             ;   in Loop: Header=BB258_96 Depth=3
	s_wait_alu 0xfffe
	s_or_b32 exec_lo, exec_lo, s90
	v_add_nc_u32_e32 v7, 0x100, v7
	v_add_nc_u32_e32 v6, 16, v6
	s_add_co_i32 s50, s50, 1
	s_wait_alu 0xfffe
	s_cmp_eq_u32 s50, 16
	s_cbranch_scc1 .LBB258_90
.LBB258_96:                             ;   Parent Loop BB258_3 Depth=1
                                        ;     Parent Loop BB258_91 Depth=2
                                        ; =>    This Inner Loop Header: Depth=3
	s_mov_b32 s90, exec_lo
	s_wait_alu 0xfffe
	v_cmpx_eq_u32_e64 s50, v13
	s_cbranch_execz .LBB258_98
; %bb.97:                               ;   in Loop: Header=BB258_96 Depth=3
	ds_load_b128 v[8:11], v59
	v_add_f64_e64 v[21:22], -v[0:1], 0
	s_wait_dscnt 0x0
	v_mul_f64_e32 v[77:78], v[2:3], v[10:11]
	v_mul_f64_e32 v[79:80], v[2:3], v[8:9]
	s_delay_alu instid0(VALU_DEP_2) | instskip(NEXT) | instid1(VALU_DEP_2)
	v_fma_f64 v[8:9], v[21:22], v[8:9], v[77:78]
	v_fma_f64 v[10:11], v[21:22], v[10:11], -v[79:80]
	v_add_nc_u32_e32 v21, s49, v60
	ds_store_b128 v21, v[8:11]
.LBB258_98:                             ;   in Loop: Header=BB258_96 Depth=3
	s_or_b32 exec_lo, exec_lo, s90
	s_delay_alu instid0(SALU_CYCLE_1)
	s_mov_b32 s90, exec_lo
	v_cmpx_lt_i32_e64 s50, v13
	s_cbranch_execz .LBB258_95
; %bb.99:                               ;   in Loop: Header=BB258_96 Depth=3
	ds_load_b128 v[8:11], v6
	ds_load_b128 v[77:80], v7
	s_wait_dscnt 0x0
	v_mul_f64_e32 v[21:22], v[10:11], v[79:80]
	v_mul_f64_e32 v[79:80], v[8:9], v[79:80]
	s_delay_alu instid0(VALU_DEP_2) | instskip(NEXT) | instid1(VALU_DEP_2)
	v_fma_f64 v[8:9], v[8:9], v[77:78], -v[21:22]
	v_fma_f64 v[10:11], v[10:11], v[77:78], v[79:80]
	s_delay_alu instid0(VALU_DEP_2) | instskip(NEXT) | instid1(VALU_DEP_2)
	v_add_f64_e32 v[0:1], v[0:1], v[8:9]
	v_add_f64_e32 v[2:3], v[2:3], v[10:11]
	s_branch .LBB258_95
.LBB258_100:                            ;   in Loop: Header=BB258_3 Depth=1
	s_wait_alu 0xfffe
	s_or_b32 exec_lo, exec_lo, s38
	s_delay_alu instid0(SALU_CYCLE_1)
	s_and_b32 vcc_lo, exec_lo, s93
	s_wait_loadcnt_dscnt 0x0
	s_barrier_signal -1
	s_barrier_wait -1
	global_inv scope:SCOPE_SE
	s_wait_alu 0xfffe
	s_cbranch_vccz .LBB258_105
; %bb.101:                              ;   in Loop: Header=BB258_3 Depth=1
	s_mov_b32 s39, 0
	s_mov_b32 s38, 0
                                        ; implicit-def: $vgpr2_vgpr3
	s_and_saveexec_b32 s49, s3
	s_cbranch_execz .LBB258_106
; %bb.102:                              ;   in Loop: Header=BB258_3 Depth=1
	v_dual_mov_b32 v2, 0 :: v_dual_mov_b32 v5, v64
	v_dual_mov_b32 v0, 0 :: v_dual_mov_b32 v3, 0
	;; [unrolled: 1-line block ×3, first 2 shown]
	v_mov_b32_e32 v6, v63
.LBB258_103:                            ;   Parent Loop BB258_3 Depth=1
                                        ; =>  This Inner Loop Header: Depth=2
	ds_load_b128 v[7:10], v5
	ds_load_b128 v[77:80], v4
	v_add_nc_u32_e32 v6, -1, v6
	v_add_nc_u32_e32 v5, -16, v5
	v_add_nc_u32_e32 v4, 0x100, v4
	s_delay_alu instid0(VALU_DEP_3)
	v_cmp_eq_u32_e32 vcc_lo, 0, v6
	s_wait_alu 0xfffe
	s_or_b32 s38, vcc_lo, s38
	s_wait_dscnt 0x0
	v_mul_f64_e32 v[21:22], v[9:10], v[79:80]
	v_mul_f64_e32 v[79:80], v[7:8], v[79:80]
	s_delay_alu instid0(VALU_DEP_2) | instskip(NEXT) | instid1(VALU_DEP_2)
	v_fma_f64 v[7:8], v[7:8], v[77:78], -v[21:22]
	v_fma_f64 v[9:10], v[9:10], v[77:78], v[79:80]
	s_delay_alu instid0(VALU_DEP_2) | instskip(NEXT) | instid1(VALU_DEP_2)
	v_add_f64_e32 v[0:1], v[0:1], v[7:8]
	v_add_f64_e32 v[2:3], v[2:3], v[9:10]
	s_wait_alu 0xfffe
	s_and_not1_b32 exec_lo, exec_lo, s38
	s_cbranch_execnz .LBB258_103
; %bb.104:                              ;   in Loop: Header=BB258_3 Depth=1
	s_or_b32 exec_lo, exec_lo, s38
	s_delay_alu instid0(SALU_CYCLE_1) | instskip(SKIP_1) | instid1(SALU_CYCLE_1)
	s_mov_b32 s38, exec_lo
	s_or_b32 exec_lo, exec_lo, s49
	s_and_b32 vcc_lo, exec_lo, s39
	s_wait_alu 0xfffe
	s_cbranch_vccnz .LBB258_107
	s_branch .LBB258_112
.LBB258_105:                            ;   in Loop: Header=BB258_3 Depth=1
	s_mov_b32 s38, 0
                                        ; implicit-def: $vgpr2_vgpr3
	s_cbranch_execnz .LBB258_107
	s_branch .LBB258_112
.LBB258_106:                            ;   in Loop: Header=BB258_3 Depth=1
	s_wait_alu 0xfffe
	s_or_b32 exec_lo, exec_lo, s49
	s_delay_alu instid0(SALU_CYCLE_1)
	s_and_b32 vcc_lo, exec_lo, s39
	s_wait_alu 0xfffe
	s_cbranch_vccz .LBB258_112
.LBB258_107:                            ;   in Loop: Header=BB258_3 Depth=1
                                        ; implicit-def: $vgpr2_vgpr3
	s_and_saveexec_b32 s39, s3
	s_cbranch_execz .LBB258_111
; %bb.108:                              ;   in Loop: Header=BB258_3 Depth=1
	v_dual_mov_b32 v2, 0 :: v_dual_mov_b32 v5, v67
	v_dual_mov_b32 v0, 0 :: v_dual_mov_b32 v3, 0
	;; [unrolled: 1-line block ×3, first 2 shown]
	v_mov_b32_e32 v6, v66
	s_mov_b32 s49, 0
.LBB258_109:                            ;   Parent Loop BB258_3 Depth=1
                                        ; =>  This Inner Loop Header: Depth=2
	ds_load_b128 v[7:10], v5
	ds_load_b128 v[77:80], v4
	v_add_nc_u32_e32 v6, 1, v6
	v_add_nc_u32_e32 v5, 16, v5
	;; [unrolled: 1-line block ×3, first 2 shown]
	s_delay_alu instid0(VALU_DEP_3)
	v_cmp_lt_u32_e32 vcc_lo, 14, v6
	s_wait_alu 0xfffe
	s_or_b32 s49, vcc_lo, s49
	s_wait_dscnt 0x0
	v_mul_f64_e32 v[21:22], v[9:10], v[79:80]
	v_mul_f64_e32 v[79:80], v[7:8], v[79:80]
	s_delay_alu instid0(VALU_DEP_2) | instskip(NEXT) | instid1(VALU_DEP_2)
	v_fma_f64 v[7:8], v[7:8], v[77:78], -v[21:22]
	v_fma_f64 v[9:10], v[9:10], v[77:78], v[79:80]
	s_delay_alu instid0(VALU_DEP_2) | instskip(NEXT) | instid1(VALU_DEP_2)
	v_add_f64_e32 v[0:1], v[0:1], v[7:8]
	v_add_f64_e32 v[2:3], v[2:3], v[9:10]
	s_wait_alu 0xfffe
	s_and_not1_b32 exec_lo, exec_lo, s49
	s_cbranch_execnz .LBB258_109
; %bb.110:                              ;   in Loop: Header=BB258_3 Depth=1
	s_or_b32 exec_lo, exec_lo, s49
	s_delay_alu instid0(SALU_CYCLE_1)
	s_or_b32 s38, s38, exec_lo
.LBB258_111:                            ;   in Loop: Header=BB258_3 Depth=1
	s_wait_alu 0xfffe
	s_or_b32 exec_lo, exec_lo, s39
.LBB258_112:                            ;   in Loop: Header=BB258_3 Depth=1
	s_wait_alu 0xfffe
	s_and_saveexec_b32 s39, s38
; %bb.113:                              ;   in Loop: Header=BB258_3 Depth=1
	ds_store_b128 v24, v[0:3]
; %bb.114:                              ;   in Loop: Header=BB258_3 Depth=1
	s_wait_alu 0xfffe
	s_or_b32 exec_lo, exec_lo, s39
	s_delay_alu instid0(SALU_CYCLE_1)
	s_and_b32 vcc_lo, exec_lo, s93
	s_wait_loadcnt_dscnt 0x0
	s_barrier_signal -1
	s_barrier_wait -1
	global_inv scope:SCOPE_SE
	s_wait_alu 0xfffe
	s_cbranch_vccz .LBB258_119
; %bb.115:                              ;   in Loop: Header=BB258_3 Depth=1
	s_mov_b32 s38, 0
	s_mov_b32 s49, 0
                                        ; implicit-def: $vgpr2_vgpr3
                                        ; implicit-def: $vgpr0_vgpr1
	s_and_saveexec_b32 s39, s3
	s_cbranch_execz .LBB258_125
; %bb.116:                              ;   in Loop: Header=BB258_3 Depth=1
	v_dual_mov_b32 v0, 0 :: v_dual_mov_b32 v5, v69
	v_dual_mov_b32 v2, 0 :: v_dual_mov_b32 v1, 0
	;; [unrolled: 1-line block ×3, first 2 shown]
	v_mov_b32_e32 v6, v68
.LBB258_117:                            ;   Parent Loop BB258_3 Depth=1
                                        ; =>  This Inner Loop Header: Depth=2
	ds_load_b128 v[7:10], v4
	ds_load_b128 v[77:80], v5
	v_add_nc_u32_e32 v6, 1, v6
	v_add_nc_u32_e32 v5, 16, v5
	;; [unrolled: 1-line block ×3, first 2 shown]
	s_delay_alu instid0(VALU_DEP_3)
	v_cmp_lt_u32_e32 vcc_lo, 14, v6
	s_wait_alu 0xfffe
	s_or_b32 s49, vcc_lo, s49
	s_wait_dscnt 0x0
	v_mul_f64_e32 v[21:22], v[7:8], v[77:78]
	v_mul_f64_e32 v[7:8], v[7:8], v[79:80]
	s_delay_alu instid0(VALU_DEP_2) | instskip(NEXT) | instid1(VALU_DEP_2)
	v_fma_f64 v[21:22], v[9:10], v[79:80], -v[21:22]
	v_fma_f64 v[7:8], v[77:78], -v[9:10], -v[7:8]
	s_delay_alu instid0(VALU_DEP_2) | instskip(NEXT) | instid1(VALU_DEP_2)
	v_add_f64_e32 v[0:1], v[0:1], v[21:22]
	v_add_f64_e32 v[2:3], v[2:3], v[7:8]
	s_wait_alu 0xfffe
	s_and_not1_b32 exec_lo, exec_lo, s49
	s_cbranch_execnz .LBB258_117
; %bb.118:                              ;   in Loop: Header=BB258_3 Depth=1
	s_or_b32 exec_lo, exec_lo, s49
	s_delay_alu instid0(SALU_CYCLE_1) | instskip(SKIP_1) | instid1(SALU_CYCLE_1)
	s_mov_b32 s49, exec_lo
	s_or_b32 exec_lo, exec_lo, s39
	s_and_b32 vcc_lo, exec_lo, s38
	s_wait_alu 0xfffe
	s_cbranch_vccnz .LBB258_120
	s_branch .LBB258_126
.LBB258_119:                            ;   in Loop: Header=BB258_3 Depth=1
	s_mov_b32 s49, 0
                                        ; implicit-def: $vgpr2_vgpr3
                                        ; implicit-def: $vgpr0_vgpr1
	s_cbranch_execz .LBB258_126
.LBB258_120:                            ;   in Loop: Header=BB258_3 Depth=1
                                        ; implicit-def: $vgpr2_vgpr3
                                        ; implicit-def: $vgpr0_vgpr1
	s_and_saveexec_b32 s38, s3
	s_cbranch_execz .LBB258_124
; %bb.121:                              ;   in Loop: Header=BB258_3 Depth=1
	v_dual_mov_b32 v0, 0 :: v_dual_mov_b32 v5, v72
	v_dual_mov_b32 v2, 0 :: v_dual_mov_b32 v1, 0
	;; [unrolled: 1-line block ×3, first 2 shown]
	v_mov_b32_e32 v6, v71
	s_mov_b32 s39, 0
.LBB258_122:                            ;   Parent Loop BB258_3 Depth=1
                                        ; =>  This Inner Loop Header: Depth=2
	ds_load_b128 v[7:10], v4
	ds_load_b128 v[77:80], v5
	v_add_nc_u32_e32 v6, -1, v6
	v_add_nc_u32_e32 v5, 16, v5
	v_add_nc_u32_e32 v4, 0x100, v4
	s_delay_alu instid0(VALU_DEP_3)
	v_cmp_eq_u32_e32 vcc_lo, 0, v6
	s_wait_alu 0xfffe
	s_or_b32 s39, vcc_lo, s39
	s_wait_dscnt 0x0
	v_mul_f64_e32 v[21:22], v[7:8], v[77:78]
	v_mul_f64_e32 v[7:8], v[7:8], v[79:80]
	s_delay_alu instid0(VALU_DEP_2) | instskip(NEXT) | instid1(VALU_DEP_2)
	v_fma_f64 v[21:22], v[9:10], v[79:80], -v[21:22]
	v_fma_f64 v[7:8], v[77:78], -v[9:10], -v[7:8]
	s_delay_alu instid0(VALU_DEP_2) | instskip(NEXT) | instid1(VALU_DEP_2)
	v_add_f64_e32 v[0:1], v[0:1], v[21:22]
	v_add_f64_e32 v[2:3], v[2:3], v[7:8]
	s_wait_alu 0xfffe
	s_and_not1_b32 exec_lo, exec_lo, s39
	s_cbranch_execnz .LBB258_122
; %bb.123:                              ;   in Loop: Header=BB258_3 Depth=1
	s_or_b32 exec_lo, exec_lo, s39
	s_delay_alu instid0(SALU_CYCLE_1)
	s_or_b32 s49, s49, exec_lo
.LBB258_124:                            ;   in Loop: Header=BB258_3 Depth=1
	s_wait_alu 0xfffe
	s_or_b32 exec_lo, exec_lo, s38
	s_mov_b64 s[90:91], 0x100
	s_mov_b64 s[38:39], 0x108
	s_branch .LBB258_127
.LBB258_125:                            ;   in Loop: Header=BB258_3 Depth=1
	s_wait_alu 0xfffe
	s_or_b32 exec_lo, exec_lo, s39
	s_delay_alu instid0(SALU_CYCLE_1)
	s_and_b32 vcc_lo, exec_lo, s38
	s_wait_alu 0xfffe
	s_cbranch_vccnz .LBB258_120
.LBB258_126:                            ;   in Loop: Header=BB258_3 Depth=1
	s_mov_b64 s[90:91], 0x8000
	s_mov_b64 s[38:39], 0x8008
.LBB258_127:                            ;   in Loop: Header=BB258_3 Depth=1
	v_add_co_u32 v4, vcc_lo, v19, s66
	s_wait_alu 0xfffd
	v_add_co_ci_u32_e64 v5, null, s67, v20, vcc_lo
	s_delay_alu instid0(VALU_DEP_2) | instskip(SKIP_1) | instid1(VALU_DEP_2)
	v_add_co_u32 v4, vcc_lo, v4, s95
	s_wait_alu 0xfffd
	v_add_co_ci_u32_e64 v5, null, 0, v5, vcc_lo
	s_delay_alu instid0(VALU_DEP_2) | instskip(SKIP_1) | instid1(VALU_DEP_2)
	v_add_co_u32 v4, vcc_lo, v4, s46
	s_wait_alu 0xfffd
	v_add_co_ci_u32_e64 v5, null, s47, v5, vcc_lo
	s_wait_alu 0xfffe
	s_and_saveexec_b32 s50, s49
	s_cbranch_execz .LBB258_129
; %bb.128:                              ;   in Loop: Header=BB258_3 Depth=1
	v_add_co_u32 v8, vcc_lo, v4, v76
	s_wait_alu 0xfffd
	v_add_co_ci_u32_e64 v9, null, 0, v5, vcc_lo
	s_delay_alu instid0(VALU_DEP_2) | instskip(SKIP_1) | instid1(VALU_DEP_2)
	v_add_co_u32 v6, vcc_lo, v8, s90
	s_wait_alu 0xfffd
	v_add_co_ci_u32_e64 v7, null, s91, v9, vcc_lo
	v_add_co_u32 v8, vcc_lo, v8, s38
	s_wait_alu 0xfffd
	v_add_co_ci_u32_e64 v9, null, s39, v9, vcc_lo
	s_clause 0x1
	flat_store_b64 v[6:7], v[0:1]
	flat_store_b64 v[8:9], v[2:3]
.LBB258_129:                            ;   in Loop: Header=BB258_3 Depth=1
	s_wait_alu 0xfffe
	s_or_b32 exec_lo, exec_lo, s50
	s_and_saveexec_b32 s39, s1
	s_cbranch_execz .LBB258_2
; %bb.130:                              ;   in Loop: Header=BB258_3 Depth=1
	s_and_not1_b32 vcc_lo, exec_lo, s93
	s_mov_b32 s38, -1
	s_wait_alu 0xfffe
	s_cbranch_vccnz .LBB258_135
; %bb.131:                              ;   in Loop: Header=BB258_3 Depth=1
	s_and_saveexec_b32 s49, s36
	s_cbranch_execz .LBB258_134
; %bb.132:                              ;   in Loop: Header=BB258_3 Depth=1
	v_lshlrev_b32_e32 v0, 4, v26
	v_mov_b32_e32 v2, v74
	s_mov_b32 s50, 16
	s_mov_b32 s90, 0
	s_delay_alu instid0(VALU_DEP_2) | instskip(SKIP_2) | instid1(VALU_DEP_2)
	v_add_co_u32 v0, vcc_lo, v4, v0
	s_wait_alu 0xfffd
	v_add_co_ci_u32_e64 v1, null, 0, v5, vcc_lo
	v_add_co_u32 v0, vcc_lo, v0, v15
	s_wait_alu 0xfffd
	s_delay_alu instid0(VALU_DEP_2)
	v_add_co_ci_u32_e64 v1, null, v1, v16, vcc_lo
.LBB258_133:                            ;   Parent Loop BB258_3 Depth=1
                                        ; =>  This Inner Loop Header: Depth=2
	ds_load_2addr_b64 v[6:9], v2 offset1:1
	s_wait_alu 0xfffe
	s_add_co_i32 s50, s50, -1
	v_add_nc_u32_e32 v2, 0x100, v2
	s_wait_alu 0xfffe
	s_lshl_b64 s[96:97], s[50:51], 11
	v_cmp_le_i32_e32 vcc_lo, s50, v13
	s_wait_alu 0xfffe
	v_add_co_u32 v10, s38, v0, s96
	s_wait_alu 0xf1ff
	v_add_co_ci_u32_e64 v11, null, s97, v1, s38
	s_or_b32 s90, vcc_lo, s90
	s_wait_dscnt 0x0
	flat_store_b128 v[10:11], v[6:9]
	s_wait_alu 0xfffe
	s_and_not1_b32 exec_lo, exec_lo, s90
	s_cbranch_execnz .LBB258_133
.LBB258_134:                            ;   in Loop: Header=BB258_3 Depth=1
	s_wait_alu 0xfffe
	s_or_b32 exec_lo, exec_lo, s49
	s_mov_b32 s38, 0
.LBB258_135:                            ;   in Loop: Header=BB258_3 Depth=1
	s_wait_alu 0xfffe
	s_and_not1_b32 vcc_lo, exec_lo, s38
	s_wait_alu 0xfffe
	s_cbranch_vccnz .LBB258_2
; %bb.136:                              ;   in Loop: Header=BB258_3 Depth=1
	s_and_b32 exec_lo, exec_lo, s37
	s_cbranch_execz .LBB258_2
; %bb.137:                              ;   in Loop: Header=BB258_3 Depth=1
	v_dual_mov_b32 v3, v75 :: v_dual_lshlrev_b32 v0, 4, v26
	v_mov_b32_e32 v2, v60
	s_mov_b32 s49, 0
	s_delay_alu instid0(VALU_DEP_2) | instskip(SKIP_2) | instid1(VALU_DEP_2)
	v_add_co_u32 v0, vcc_lo, v4, v0
	s_wait_alu 0xfffd
	v_add_co_ci_u32_e64 v1, null, 0, v5, vcc_lo
	v_add_co_u32 v0, vcc_lo, v0, v15
	s_wait_alu 0xfffd
	s_delay_alu instid0(VALU_DEP_2)
	v_add_co_ci_u32_e64 v1, null, v1, v16, vcc_lo
.LBB258_138:                            ;   Parent Loop BB258_3 Depth=1
                                        ; =>  This Inner Loop Header: Depth=2
	ds_load_2addr_b64 v[4:7], v2 offset1:1
	v_add_nc_u32_e32 v3, -1, v3
	v_add_nc_u32_e32 v2, 0x100, v2
	s_delay_alu instid0(VALU_DEP_2)
	v_cmp_eq_u32_e32 vcc_lo, 0, v3
	s_wait_alu 0xfffe
	s_or_b32 s49, vcc_lo, s49
	s_wait_dscnt 0x0
	flat_store_b128 v[0:1], v[4:7]
	v_add_co_u32 v0, s38, 0x800, v0
	s_wait_alu 0xf1ff
	v_add_co_ci_u32_e64 v1, null, 0, v1, s38
	s_wait_alu 0xfffe
	s_and_not1_b32 exec_lo, exec_lo, s49
	s_cbranch_execnz .LBB258_138
	s_branch .LBB258_2
.LBB258_139:
	s_endpgm
	.section	.rodata,"a",@progbits
	.p2align	6, 0x0
	.amdhsa_kernel _ZL25rocblas_trtri_trsm_kernelILi128ELi16ELi8E19rocblas_complex_numIdEPKPKS1_PKPS1_Ev13rocblas_fill_17rocblas_diagonal_T3_lilT4_lli
		.amdhsa_group_segment_fixed_size 16384
		.amdhsa_private_segment_fixed_size 0
		.amdhsa_kernarg_size 68
		.amdhsa_user_sgpr_count 2
		.amdhsa_user_sgpr_dispatch_ptr 0
		.amdhsa_user_sgpr_queue_ptr 0
		.amdhsa_user_sgpr_kernarg_segment_ptr 1
		.amdhsa_user_sgpr_dispatch_id 0
		.amdhsa_user_sgpr_private_segment_size 0
		.amdhsa_wavefront_size32 1
		.amdhsa_uses_dynamic_stack 0
		.amdhsa_enable_private_segment 0
		.amdhsa_system_sgpr_workgroup_id_x 1
		.amdhsa_system_sgpr_workgroup_id_y 0
		.amdhsa_system_sgpr_workgroup_id_z 1
		.amdhsa_system_sgpr_workgroup_info 0
		.amdhsa_system_vgpr_workitem_id 0
		.amdhsa_next_free_vgpr 81
		.amdhsa_next_free_sgpr 98
		.amdhsa_reserve_vcc 1
		.amdhsa_float_round_mode_32 0
		.amdhsa_float_round_mode_16_64 0
		.amdhsa_float_denorm_mode_32 3
		.amdhsa_float_denorm_mode_16_64 3
		.amdhsa_fp16_overflow 0
		.amdhsa_workgroup_processor_mode 1
		.amdhsa_memory_ordered 1
		.amdhsa_forward_progress 1
		.amdhsa_inst_pref_size 62
		.amdhsa_round_robin_scheduling 0
		.amdhsa_exception_fp_ieee_invalid_op 0
		.amdhsa_exception_fp_denorm_src 0
		.amdhsa_exception_fp_ieee_div_zero 0
		.amdhsa_exception_fp_ieee_overflow 0
		.amdhsa_exception_fp_ieee_underflow 0
		.amdhsa_exception_fp_ieee_inexact 0
		.amdhsa_exception_int_div_zero 0
	.end_amdhsa_kernel
	.section	.text._ZL25rocblas_trtri_trsm_kernelILi128ELi16ELi8E19rocblas_complex_numIdEPKPKS1_PKPS1_Ev13rocblas_fill_17rocblas_diagonal_T3_lilT4_lli,"axG",@progbits,_ZL25rocblas_trtri_trsm_kernelILi128ELi16ELi8E19rocblas_complex_numIdEPKPKS1_PKPS1_Ev13rocblas_fill_17rocblas_diagonal_T3_lilT4_lli,comdat
.Lfunc_end258:
	.size	_ZL25rocblas_trtri_trsm_kernelILi128ELi16ELi8E19rocblas_complex_numIdEPKPKS1_PKPS1_Ev13rocblas_fill_17rocblas_diagonal_T3_lilT4_lli, .Lfunc_end258-_ZL25rocblas_trtri_trsm_kernelILi128ELi16ELi8E19rocblas_complex_numIdEPKPKS1_PKPS1_Ev13rocblas_fill_17rocblas_diagonal_T3_lilT4_lli
                                        ; -- End function
	.set _ZL25rocblas_trtri_trsm_kernelILi128ELi16ELi8E19rocblas_complex_numIdEPKPKS1_PKPS1_Ev13rocblas_fill_17rocblas_diagonal_T3_lilT4_lli.num_vgpr, 81
	.set _ZL25rocblas_trtri_trsm_kernelILi128ELi16ELi8E19rocblas_complex_numIdEPKPKS1_PKPS1_Ev13rocblas_fill_17rocblas_diagonal_T3_lilT4_lli.num_agpr, 0
	.set _ZL25rocblas_trtri_trsm_kernelILi128ELi16ELi8E19rocblas_complex_numIdEPKPKS1_PKPS1_Ev13rocblas_fill_17rocblas_diagonal_T3_lilT4_lli.numbered_sgpr, 98
	.set _ZL25rocblas_trtri_trsm_kernelILi128ELi16ELi8E19rocblas_complex_numIdEPKPKS1_PKPS1_Ev13rocblas_fill_17rocblas_diagonal_T3_lilT4_lli.num_named_barrier, 0
	.set _ZL25rocblas_trtri_trsm_kernelILi128ELi16ELi8E19rocblas_complex_numIdEPKPKS1_PKPS1_Ev13rocblas_fill_17rocblas_diagonal_T3_lilT4_lli.private_seg_size, 0
	.set _ZL25rocblas_trtri_trsm_kernelILi128ELi16ELi8E19rocblas_complex_numIdEPKPKS1_PKPS1_Ev13rocblas_fill_17rocblas_diagonal_T3_lilT4_lli.uses_vcc, 1
	.set _ZL25rocblas_trtri_trsm_kernelILi128ELi16ELi8E19rocblas_complex_numIdEPKPKS1_PKPS1_Ev13rocblas_fill_17rocblas_diagonal_T3_lilT4_lli.uses_flat_scratch, 1
	.set _ZL25rocblas_trtri_trsm_kernelILi128ELi16ELi8E19rocblas_complex_numIdEPKPKS1_PKPS1_Ev13rocblas_fill_17rocblas_diagonal_T3_lilT4_lli.has_dyn_sized_stack, 0
	.set _ZL25rocblas_trtri_trsm_kernelILi128ELi16ELi8E19rocblas_complex_numIdEPKPKS1_PKPS1_Ev13rocblas_fill_17rocblas_diagonal_T3_lilT4_lli.has_recursion, 0
	.set _ZL25rocblas_trtri_trsm_kernelILi128ELi16ELi8E19rocblas_complex_numIdEPKPKS1_PKPS1_Ev13rocblas_fill_17rocblas_diagonal_T3_lilT4_lli.has_indirect_call, 0
	.section	.AMDGPU.csdata,"",@progbits
; Kernel info:
; codeLenInByte = 7900
; TotalNumSgprs: 100
; NumVgprs: 81
; ScratchSize: 0
; MemoryBound: 1
; FloatMode: 240
; IeeeMode: 1
; LDSByteSize: 16384 bytes/workgroup (compile time only)
; SGPRBlocks: 0
; VGPRBlocks: 10
; NumSGPRsForWavesPerEU: 100
; NumVGPRsForWavesPerEU: 81
; Occupancy: 16
; WaveLimiterHint : 1
; COMPUTE_PGM_RSRC2:SCRATCH_EN: 0
; COMPUTE_PGM_RSRC2:USER_SGPR: 2
; COMPUTE_PGM_RSRC2:TRAP_HANDLER: 0
; COMPUTE_PGM_RSRC2:TGID_X_EN: 1
; COMPUTE_PGM_RSRC2:TGID_Y_EN: 0
; COMPUTE_PGM_RSRC2:TGID_Z_EN: 1
; COMPUTE_PGM_RSRC2:TIDIG_COMP_CNT: 0
	.section	.text._ZL18rocblas_trtri_fillILi128E19rocblas_complex_numIdEPKPS1_EvP15_rocblas_handle13rocblas_fill_ililT1_llii,"axG",@progbits,_ZL18rocblas_trtri_fillILi128E19rocblas_complex_numIdEPKPS1_EvP15_rocblas_handle13rocblas_fill_ililT1_llii,comdat
	.globl	_ZL18rocblas_trtri_fillILi128E19rocblas_complex_numIdEPKPS1_EvP15_rocblas_handle13rocblas_fill_ililT1_llii ; -- Begin function _ZL18rocblas_trtri_fillILi128E19rocblas_complex_numIdEPKPS1_EvP15_rocblas_handle13rocblas_fill_ililT1_llii
	.p2align	8
	.type	_ZL18rocblas_trtri_fillILi128E19rocblas_complex_numIdEPKPS1_EvP15_rocblas_handle13rocblas_fill_ililT1_llii,@function
_ZL18rocblas_trtri_fillILi128E19rocblas_complex_numIdEPKPS1_EvP15_rocblas_handle13rocblas_fill_ililT1_llii: ; @_ZL18rocblas_trtri_fillILi128E19rocblas_complex_numIdEPKPS1_EvP15_rocblas_handle13rocblas_fill_ililT1_llii
; %bb.0:
	s_load_b64 s[2:3], s[0:1], 0x40
	s_lshr_b32 s12, ttmp7, 16
	s_wait_kmcnt 0x0
	s_cmp_ge_u32 s12, s3
	s_cbranch_scc1 .LBB259_19
; %bb.1:
	s_clause 0x1
	s_load_b128 s[4:7], s[0:1], 0x8
	s_load_b32 s16, s[0:1], 0x18
	s_mov_b32 s14, ttmp9
	s_ashr_i32 s21, s2, 31
	s_mov_b32 s20, s2
	s_clause 0x1
	s_load_b128 s[8:11], s[0:1], 0x20
	s_load_b64 s[30:31], s[0:1], 0x30
	s_add_nc_u64 s[26:27], s[0:1], 0x48
	s_wait_kmcnt 0x0
	v_cvt_f32_u32_e32 v1, s6
	s_add_co_i32 s13, s5, -2
	s_cvt_f32_u32 s15, s7
	s_ashr_i32 s19, s5, 31
	s_add_co_i32 s24, s5, -1
	v_rcp_iflag_f32_e32 v3, v1
	v_cvt_f64_i32_e32 v[1:2], s13
	s_cvt_f32_u32 s13, s6
	s_mov_b32 s18, s5
	s_sub_co_i32 s5, 0, s6
	s_ashr_i32 s25, s24, 31
	s_wait_alu 0xfffe
	s_fmamk_f32 s2, s15, 0x4f800000, s13
	s_mov_b32 s15, 0
	s_mul_u64 s[20:21], s[6:7], s[20:21]
	s_lshl_b64 s[22:23], s[14:15], 7
	s_delay_alu instid0(SALU_CYCLE_1) | instskip(SKIP_3) | instid1(VALU_DEP_1)
	v_dual_mul_f32 v3, 0x4f7ffffe, v3 :: v_dual_mov_b32 v4, s23
	v_s_rcp_f32 s2, s2
	s_mul_u64 s[24:25], s[24:25], s[18:19]
	s_ashr_i32 s17, s16, 31
	v_cvt_u32_f32_e32 v6, v3
	v_or_b32_e32 v3, s22, v0
	s_lshl_b64 s[22:23], s[24:25], 2
	s_lshr_b64 s[24:25], s[24:25], 1
	s_mul_f32 s13, s2, 0x5f7ffffc
	v_mul_lo_u32 v5, s5, v6
	s_wait_alu 0xfffe
	s_add_nc_u64 s[22:23], s[22:23], -7
	s_lshl_b64 s[30:31], s[30:31], 4
	s_mul_f32 s2, s13, 0x2f800000
	s_sub_nc_u64 s[34:35], 0, s[6:7]
	s_wait_alu 0xfffe
	s_delay_alu instid0(SALU_CYCLE_1)
	s_trunc_f32 s5, s2
	v_mul_hi_u32 v0, v6, v5
	v_cmp_gt_u64_e64 s2, s[20:21], v[3:4]
	v_mov_b32_e32 v5, 0
	s_wait_alu 0xfffe
	s_fmamk_f32 s13, s5, 0xcf800000, s13
	s_cvt_u32_f32 s29, s5
	s_wait_alu 0xfffe
	s_delay_alu instid0(SALU_CYCLE_1)
	s_cvt_u32_f32 s28, s13
	v_add_nc_u32_e32 v0, v6, v0
	s_branch .LBB259_3
.LBB259_2:                              ;   in Loop: Header=BB259_3 Depth=1
	s_wait_alu 0xfffe
	s_or_b32 exec_lo, exec_lo, s1
	s_add_co_i32 s12, s12, 0x10000
	s_wait_alu 0xfffe
	s_cmp_lt_u32 s12, s3
	s_cbranch_scc0 .LBB259_19
.LBB259_3:                              ; =>This Loop Header: Depth=1
                                        ;     Child Loop BB259_6 Depth 2
	s_and_saveexec_b32 s1, s2
	s_cbranch_execz .LBB259_2
; %bb.4:                                ;   in Loop: Header=BB259_3 Depth=1
	s_mov_b32 s13, s15
	s_clause 0x1
	s_load_b32 s0, s[26:27], 0xc
	s_load_b32 s14, s[26:27], 0x0
	s_lshl_b64 s[36:37], s[12:13], 3
	v_dual_mov_b32 v8, v4 :: v_dual_mov_b32 v7, v3
	s_wait_alu 0xfffe
	s_add_nc_u64 s[36:37], s[10:11], s[36:37]
	s_mov_b32 s5, 0
	s_load_b64 s[38:39], s[36:37], 0x0
	s_mov_b32 s37, s15
	s_wait_kmcnt 0x0
	s_and_b32 s36, s0, 0xffff
	s_wait_alu 0xfffe
	s_mul_u64 s[36:37], s[36:37], s[14:15]
	s_add_nc_u64 s[38:39], s[38:39], s[30:31]
	s_branch .LBB259_6
.LBB259_5:                              ;   in Loop: Header=BB259_6 Depth=2
	v_add_co_u32 v7, vcc_lo, v7, s36
	s_wait_alu 0xfffd
	v_add_co_ci_u32_e64 v8, null, s37, v8, vcc_lo
	s_delay_alu instid0(VALU_DEP_1)
	v_cmp_le_u64_e32 vcc_lo, s[20:21], v[7:8]
	s_or_b32 s5, vcc_lo, s5
	s_wait_alu 0xfffe
	s_and_not1_b32 exec_lo, exec_lo, s5
	s_cbranch_execz .LBB259_2
.LBB259_6:                              ;   Parent Loop BB259_3 Depth=1
                                        ; =>  This Inner Loop Header: Depth=2
	v_or_b32_e32 v6, s7, v8
                                        ; implicit-def: $vgpr9_vgpr10
	s_mov_b32 s0, exec_lo
	s_delay_alu instid0(VALU_DEP_1)
	v_cmpx_ne_u64_e32 0, v[5:6]
	s_wait_alu 0xfffe
	s_xor_b32 s13, exec_lo, s0
	s_cbranch_execz .LBB259_8
; %bb.7:                                ;   in Loop: Header=BB259_6 Depth=2
	s_mul_u64 s[40:41], s[34:35], s[28:29]
	s_delay_alu instid0(SALU_CYCLE_1)
	s_mul_hi_u32 s43, s28, s41
	s_mul_i32 s42, s28, s41
	s_mul_hi_u32 s14, s28, s40
	s_mul_hi_u32 s0, s29, s40
	s_wait_alu 0xfffe
	s_add_nc_u64 s[42:43], s[14:15], s[42:43]
	s_mul_i32 s14, s29, s40
	s_mul_hi_u32 s33, s29, s41
	s_wait_alu 0xfffe
	s_add_co_u32 s14, s42, s14
	s_add_co_ci_u32 s14, s43, s0
	s_add_co_ci_u32 s43, s33, 0
	s_mul_i32 s42, s29, s41
	s_wait_alu 0xfffe
	s_add_nc_u64 s[40:41], s[14:15], s[42:43]
	s_delay_alu instid0(SALU_CYCLE_1) | instskip(SKIP_4) | instid1(SALU_CYCLE_1)
	s_add_co_u32 s40, s28, s40
	s_cselect_b32 s0, -1, 0
	s_wait_alu 0xfffe
	s_cmp_lg_u32 s0, 0
	s_add_co_ci_u32 s41, s29, s41
	s_mul_u64 s[42:43], s[34:35], s[40:41]
	s_delay_alu instid0(SALU_CYCLE_1)
	s_mul_hi_u32 s45, s40, s43
	s_mul_i32 s44, s40, s43
	s_mul_hi_u32 s14, s40, s42
	s_mul_i32 s33, s41, s42
	s_wait_alu 0xfffe
	s_add_nc_u64 s[44:45], s[14:15], s[44:45]
	s_mul_hi_u32 s0, s41, s42
	s_mul_hi_u32 s46, s41, s43
	s_add_co_u32 s14, s44, s33
	s_wait_alu 0xfffe
	s_add_co_ci_u32 s14, s45, s0
	s_mul_i32 s42, s41, s43
	s_add_co_ci_u32 s43, s46, 0
	s_wait_alu 0xfffe
	s_add_nc_u64 s[42:43], s[14:15], s[42:43]
	s_delay_alu instid0(SALU_CYCLE_1)
	s_add_co_u32 s0, s40, s42
	s_cselect_b32 s14, -1, 0
	s_wait_alu 0xfffe
	v_mul_hi_u32 v6, v7, s0
	s_cmp_lg_u32 s14, 0
	v_mad_co_u64_u32 v[11:12], null, v8, s0, 0
	s_add_co_ci_u32 s14, s41, s43
	s_wait_alu 0xfffe
	v_mad_co_u64_u32 v[9:10], null, v7, s14, 0
	v_mad_co_u64_u32 v[13:14], null, v8, s14, 0
	s_delay_alu instid0(VALU_DEP_2) | instskip(SKIP_1) | instid1(VALU_DEP_3)
	v_add_co_u32 v6, vcc_lo, v6, v9
	s_wait_alu 0xfffd
	v_add_co_ci_u32_e64 v9, null, 0, v10, vcc_lo
	s_delay_alu instid0(VALU_DEP_2) | instskip(SKIP_1) | instid1(VALU_DEP_2)
	v_add_co_u32 v6, vcc_lo, v6, v11
	s_wait_alu 0xfffd
	v_add_co_ci_u32_e32 v6, vcc_lo, v9, v12, vcc_lo
	s_wait_alu 0xfffd
	v_add_co_ci_u32_e32 v9, vcc_lo, 0, v14, vcc_lo
	s_delay_alu instid0(VALU_DEP_2) | instskip(SKIP_1) | instid1(VALU_DEP_2)
	v_add_co_u32 v6, vcc_lo, v6, v13
	s_wait_alu 0xfffd
	v_add_co_ci_u32_e64 v11, null, 0, v9, vcc_lo
	s_delay_alu instid0(VALU_DEP_2) | instskip(SKIP_1) | instid1(VALU_DEP_3)
	v_mul_lo_u32 v12, s7, v6
	v_mad_co_u64_u32 v[9:10], null, s6, v6, 0
	v_mul_lo_u32 v13, s6, v11
	s_delay_alu instid0(VALU_DEP_2) | instskip(NEXT) | instid1(VALU_DEP_2)
	v_sub_co_u32 v9, vcc_lo, v7, v9
	v_add3_u32 v10, v10, v13, v12
	v_add_co_u32 v13, s0, v6, 2
	s_wait_alu 0xf1ff
	v_add_co_ci_u32_e64 v14, null, 0, v11, s0
	s_delay_alu instid0(VALU_DEP_3) | instskip(SKIP_3) | instid1(VALU_DEP_3)
	v_sub_nc_u32_e32 v12, v8, v10
	v_sub_co_u32 v15, s0, v9, s6
	s_wait_alu 0xfffd
	v_sub_co_ci_u32_e64 v10, null, v8, v10, vcc_lo
	v_subrev_co_ci_u32_e64 v12, null, s7, v12, vcc_lo
	s_delay_alu instid0(VALU_DEP_3) | instskip(SKIP_1) | instid1(VALU_DEP_2)
	v_cmp_le_u32_e32 vcc_lo, s6, v15
	s_wait_alu 0xf1ff
	v_subrev_co_ci_u32_e64 v12, null, 0, v12, s0
	s_wait_alu 0xfffd
	v_cndmask_b32_e64 v15, 0, -1, vcc_lo
	v_cmp_eq_u32_e64 s0, s7, v10
	s_delay_alu instid0(VALU_DEP_3)
	v_cmp_le_u32_e32 vcc_lo, s7, v12
	s_wait_alu 0xfffd
	v_cndmask_b32_e64 v16, 0, -1, vcc_lo
	v_cmp_le_u32_e32 vcc_lo, s6, v9
	s_wait_alu 0xfffd
	v_cndmask_b32_e64 v9, 0, -1, vcc_lo
	v_cmp_le_u32_e32 vcc_lo, s7, v10
	s_wait_alu 0xfffd
	v_cndmask_b32_e64 v17, 0, -1, vcc_lo
	v_cmp_eq_u32_e32 vcc_lo, s7, v12
	s_wait_alu 0xf1ff
	s_delay_alu instid0(VALU_DEP_2)
	v_cndmask_b32_e64 v9, v17, v9, s0
	s_wait_alu 0xfffd
	v_cndmask_b32_e32 v12, v16, v15, vcc_lo
	v_add_co_u32 v15, vcc_lo, v6, 1
	s_wait_alu 0xfffd
	v_add_co_ci_u32_e64 v16, null, 0, v11, vcc_lo
	s_delay_alu instid0(VALU_DEP_3) | instskip(SKIP_2) | instid1(VALU_DEP_3)
	v_cmp_ne_u32_e32 vcc_lo, 0, v12
	s_wait_alu 0xfffd
	v_cndmask_b32_e32 v12, v15, v13, vcc_lo
	v_cndmask_b32_e32 v10, v16, v14, vcc_lo
	v_cmp_ne_u32_e32 vcc_lo, 0, v9
	s_wait_alu 0xfffd
	s_delay_alu instid0(VALU_DEP_2)
	v_dual_cndmask_b32 v9, v6, v12 :: v_dual_cndmask_b32 v10, v11, v10
.LBB259_8:                              ;   in Loop: Header=BB259_6 Depth=2
	s_wait_alu 0xfffe
	s_and_not1_saveexec_b32 s0, s13
	s_cbranch_execz .LBB259_10
; %bb.9:                                ;   in Loop: Header=BB259_6 Depth=2
	v_mul_hi_u32 v6, v7, v0
	s_delay_alu instid0(VALU_DEP_1) | instskip(NEXT) | instid1(VALU_DEP_1)
	v_mul_lo_u32 v9, v6, s6
	v_sub_nc_u32_e32 v9, v7, v9
	s_delay_alu instid0(VALU_DEP_1) | instskip(SKIP_2) | instid1(VALU_DEP_2)
	v_subrev_nc_u32_e32 v11, s6, v9
	v_cmp_le_u32_e32 vcc_lo, s6, v9
	s_wait_alu 0xfffd
	v_dual_cndmask_b32 v9, v9, v11 :: v_dual_add_nc_u32 v10, 1, v6
	s_delay_alu instid0(VALU_DEP_1) | instskip(NEXT) | instid1(VALU_DEP_2)
	v_cndmask_b32_e32 v6, v6, v10, vcc_lo
	v_cmp_le_u32_e32 vcc_lo, s6, v9
	s_delay_alu instid0(VALU_DEP_2) | instskip(SKIP_1) | instid1(VALU_DEP_1)
	v_add_nc_u32_e32 v10, 1, v6
	s_wait_alu 0xfffd
	v_dual_cndmask_b32 v9, v6, v10 :: v_dual_mov_b32 v10, v5
.LBB259_10:                             ;   in Loop: Header=BB259_6 Depth=2
	s_wait_alu 0xfffe
	s_or_b32 exec_lo, exec_lo, s0
	s_delay_alu instid0(VALU_DEP_1) | instskip(NEXT) | instid1(VALU_DEP_2)
	v_mul_lo_u32 v6, v10, s6
	v_mul_lo_u32 v13, v9, s7
	v_mad_co_u64_u32 v[11:12], null, v9, s6, 0
	s_cmp_lt_i32 s4, 0x7a
	v_add3_u32 v6, v12, v13, v6
	v_sub_co_u32 v11, vcc_lo, v7, v11
	s_wait_alu 0xfffd
	s_delay_alu instid0(VALU_DEP_2)
	v_sub_co_ci_u32_e64 v12, null, v8, v6, vcc_lo
	s_cbranch_scc1 .LBB259_13
; %bb.11:                               ;   in Loop: Header=BB259_6 Depth=2
	s_mov_b32 s0, 0
	s_cmp_eq_u32 s4, 0x7a
	s_mov_b32 s13, 0
                                        ; implicit-def: $vgpr13_vgpr14
	s_cbranch_scc0 .LBB259_14
; %bb.12:                               ;   in Loop: Header=BB259_6 Depth=2
	v_lshlrev_b64_e32 v[13:14], 3, v[11:12]
	s_mov_b32 s13, -1
	s_delay_alu instid0(VALU_DEP_1) | instskip(SKIP_1) | instid1(VALU_DEP_2)
	v_sub_co_u32 v6, vcc_lo, s22, v13
	s_wait_alu 0xfffd
	v_sub_co_ci_u32_e64 v13, null, s23, v14, vcc_lo
	s_delay_alu instid0(VALU_DEP_2) | instskip(NEXT) | instid1(VALU_DEP_2)
	v_cvt_f64_u32_e32 v[15:16], v6
	v_cvt_f64_u32_e32 v[13:14], v13
	s_delay_alu instid0(VALU_DEP_1) | instskip(NEXT) | instid1(VALU_DEP_1)
	v_ldexp_f64 v[13:14], v[13:14], 32
	v_add_f64_e32 v[13:14], v[13:14], v[15:16]
	s_delay_alu instid0(VALU_DEP_1) | instskip(SKIP_2) | instid1(VALU_DEP_1)
	v_cmp_gt_f64_e32 vcc_lo, 0x10000000, v[13:14]
	s_wait_alu 0xfffd
	v_cndmask_b32_e64 v6, 0, 0x100, vcc_lo
	v_ldexp_f64 v[13:14], v[13:14], v6
	v_cndmask_b32_e64 v6, 0, 0xffffff80, vcc_lo
	s_delay_alu instid0(VALU_DEP_2) | instskip(SKIP_1) | instid1(TRANS32_DEP_1)
	v_rsq_f64_e32 v[15:16], v[13:14]
	v_cmp_class_f64_e64 vcc_lo, v[13:14], 0x260
	v_mul_f64_e32 v[17:18], v[13:14], v[15:16]
	v_mul_f64_e32 v[15:16], 0.5, v[15:16]
	s_delay_alu instid0(VALU_DEP_1) | instskip(NEXT) | instid1(VALU_DEP_1)
	v_fma_f64 v[19:20], -v[15:16], v[17:18], 0.5
	v_fma_f64 v[17:18], v[17:18], v[19:20], v[17:18]
	v_fma_f64 v[15:16], v[15:16], v[19:20], v[15:16]
	s_delay_alu instid0(VALU_DEP_2) | instskip(NEXT) | instid1(VALU_DEP_1)
	v_fma_f64 v[19:20], -v[17:18], v[17:18], v[13:14]
	v_fma_f64 v[17:18], v[19:20], v[15:16], v[17:18]
	s_delay_alu instid0(VALU_DEP_1) | instskip(NEXT) | instid1(VALU_DEP_1)
	v_fma_f64 v[19:20], -v[17:18], v[17:18], v[13:14]
	v_fma_f64 v[15:16], v[19:20], v[15:16], v[17:18]
	s_delay_alu instid0(VALU_DEP_1) | instskip(SKIP_2) | instid1(VALU_DEP_2)
	v_ldexp_f64 v[15:16], v[15:16], v6
	v_mul_lo_u32 v6, v10, s8
	s_wait_alu 0xfffd
	v_dual_cndmask_b32 v14, v16, v14 :: v_dual_cndmask_b32 v13, v15, v13
	s_delay_alu instid0(VALU_DEP_1) | instskip(NEXT) | instid1(VALU_DEP_1)
	v_fma_f64 v[13:14], v[13:14], 0.5, -0.5
	v_floor_f64_e32 v[13:14], v[13:14]
	s_delay_alu instid0(VALU_DEP_1) | instskip(NEXT) | instid1(VALU_DEP_1)
	v_add_f64_e64 v[13:14], v[1:2], -v[13:14]
	v_trunc_f64_e32 v[13:14], v[13:14]
	s_delay_alu instid0(VALU_DEP_1) | instskip(NEXT) | instid1(VALU_DEP_1)
	v_ldexp_f64 v[15:16], v[13:14], 0xffffffe0
	v_floor_f64_e32 v[15:16], v[15:16]
	s_delay_alu instid0(VALU_DEP_1) | instskip(SKIP_2) | instid1(VALU_DEP_3)
	v_fma_f64 v[13:14], 0xc1f00000, v[15:16], v[13:14]
	v_cvt_u32_f64_e32 v15, v[15:16]
	v_mad_co_u64_u32 v[16:17], null, v9, s8, 0
	v_cvt_u32_f64_e32 v14, v[13:14]
	v_mul_lo_u32 v13, v9, s9
	s_delay_alu instid0(VALU_DEP_1) | instskip(SKIP_1) | instid1(VALU_DEP_2)
	v_add3_u32 v17, v17, v13, v6
	v_mul_lo_u32 v6, v15, s16
	v_lshlrev_b64_e32 v[16:17], 4, v[16:17]
	v_sub_co_u32 v13, vcc_lo, s18, v14
	s_wait_alu 0xfffd
	v_sub_co_ci_u32_e64 v22, null, s19, v15, vcc_lo
	v_mul_lo_u32 v23, v14, s17
	v_mad_co_u64_u32 v[18:19], null, v14, s16, 0
	v_add_co_u32 v24, vcc_lo, v13, -1
	s_wait_alu 0xfffd
	v_add_co_ci_u32_e64 v25, null, -1, v22, vcc_lo
	v_sub_co_u32 v20, vcc_lo, v11, s24
	s_delay_alu instid0(VALU_DEP_4) | instskip(NEXT) | instid1(VALU_DEP_3)
	v_add3_u32 v19, v19, v23, v6
	v_mul_lo_u32 v6, v25, v13
	v_mul_lo_u32 v25, v24, v22
	v_mad_co_u64_u32 v[22:23], null, v24, v13, 0
	s_wait_alu 0xfffd
	v_subrev_co_ci_u32_e64 v21, null, s25, v12, vcc_lo
	v_lshlrev_b64_e32 v[18:19], 4, v[18:19]
	v_add_co_u32 v13, vcc_lo, s38, v16
	s_wait_alu 0xfffd
	v_add_co_ci_u32_e64 v16, null, s39, v17, vcc_lo
	v_lshlrev_b64_e32 v[20:21], 4, v[20:21]
	v_add3_u32 v23, v23, v25, v6
	v_add_co_u32 v6, vcc_lo, v13, v18
	s_wait_alu 0xfffd
	v_add_co_ci_u32_e64 v18, null, v16, v19, vcc_lo
	s_delay_alu instid0(VALU_DEP_3) | instskip(SKIP_4) | instid1(VALU_DEP_4)
	v_lshlrev_b64_e32 v[16:17], 3, v[22:23]
	v_lshlrev_b64_e32 v[13:14], 4, v[14:15]
	v_add_co_u32 v6, vcc_lo, v6, v20
	s_wait_alu 0xfffd
	v_add_co_ci_u32_e64 v15, null, v18, v21, vcc_lo
	v_and_b32_e32 v16, -16, v16
	s_delay_alu instid0(VALU_DEP_3) | instskip(SKIP_1) | instid1(VALU_DEP_3)
	v_add_co_u32 v6, vcc_lo, v6, v13
	s_wait_alu 0xfffd
	v_add_co_ci_u32_e64 v13, null, v15, v14, vcc_lo
	s_delay_alu instid0(VALU_DEP_2) | instskip(SKIP_1) | instid1(VALU_DEP_2)
	v_add_co_u32 v15, vcc_lo, v6, v16
	s_wait_alu 0xfffd
	v_add_co_ci_u32_e64 v16, null, v13, v17, vcc_lo
	v_mov_b32_e32 v6, v5
	s_delay_alu instid0(VALU_DEP_3) | instskip(SKIP_1) | instid1(VALU_DEP_3)
	v_add_co_u32 v13, vcc_lo, v15, 16
	s_wait_alu 0xfffd
	v_add_co_ci_u32_e64 v14, null, 0, v16, vcc_lo
	flat_store_b64 v[15:16], v[5:6] offset:16
	s_branch .LBB259_14
.LBB259_13:                             ;   in Loop: Header=BB259_6 Depth=2
	s_mov_b32 s0, -1
	s_mov_b32 s13, 0
                                        ; implicit-def: $vgpr13_vgpr14
.LBB259_14:                             ;   in Loop: Header=BB259_6 Depth=2
	s_wait_alu 0xfffe
	s_and_b32 vcc_lo, exec_lo, s0
	s_wait_alu 0xfffe
	s_cbranch_vccz .LBB259_17
; %bb.15:                               ;   in Loop: Header=BB259_6 Depth=2
	s_cmp_eq_u32 s4, 0x79
                                        ; implicit-def: $vgpr13_vgpr14
	s_cbranch_scc0 .LBB259_17
; %bb.16:                               ;   in Loop: Header=BB259_6 Depth=2
	v_lshlrev_b64_e32 v[13:14], 3, v[11:12]
	s_mov_b32 s13, -1
	s_delay_alu instid0(VALU_DEP_1) | instskip(NEXT) | instid1(VALU_DEP_2)
	v_cvt_f64_u32_e32 v[14:15], v14
	v_or_b32_e32 v6, 1, v13
	s_delay_alu instid0(VALU_DEP_1) | instskip(NEXT) | instid1(VALU_DEP_3)
	v_cvt_f64_u32_e32 v[16:17], v6
	v_ldexp_f64 v[13:14], v[14:15], 32
	s_delay_alu instid0(VALU_DEP_1) | instskip(NEXT) | instid1(VALU_DEP_1)
	v_add_f64_e32 v[13:14], v[13:14], v[16:17]
	v_cmp_gt_f64_e32 vcc_lo, 0x10000000, v[13:14]
	s_wait_alu 0xfffd
	v_cndmask_b32_e64 v6, 0, 0x100, vcc_lo
	s_delay_alu instid0(VALU_DEP_1) | instskip(SKIP_1) | instid1(VALU_DEP_2)
	v_ldexp_f64 v[13:14], v[13:14], v6
	v_cndmask_b32_e64 v6, 0, 0xffffff80, vcc_lo
	v_rsq_f64_e32 v[15:16], v[13:14]
	v_cmp_class_f64_e64 vcc_lo, v[13:14], 0x260
	s_delay_alu instid0(TRANS32_DEP_1) | instskip(SKIP_1) | instid1(VALU_DEP_1)
	v_mul_f64_e32 v[17:18], v[13:14], v[15:16]
	v_mul_f64_e32 v[15:16], 0.5, v[15:16]
	v_fma_f64 v[19:20], -v[15:16], v[17:18], 0.5
	s_delay_alu instid0(VALU_DEP_1) | instskip(SKIP_1) | instid1(VALU_DEP_2)
	v_fma_f64 v[17:18], v[17:18], v[19:20], v[17:18]
	v_fma_f64 v[15:16], v[15:16], v[19:20], v[15:16]
	v_fma_f64 v[19:20], -v[17:18], v[17:18], v[13:14]
	s_delay_alu instid0(VALU_DEP_1) | instskip(NEXT) | instid1(VALU_DEP_1)
	v_fma_f64 v[17:18], v[19:20], v[15:16], v[17:18]
	v_fma_f64 v[19:20], -v[17:18], v[17:18], v[13:14]
	s_delay_alu instid0(VALU_DEP_1) | instskip(SKIP_1) | instid1(VALU_DEP_2)
	v_fma_f64 v[15:16], v[19:20], v[15:16], v[17:18]
	v_mul_lo_u32 v18, v9, s9
	v_ldexp_f64 v[15:16], v[15:16], v6
	v_mul_lo_u32 v6, v10, s8
	v_mad_co_u64_u32 v[9:10], null, v9, s8, 0
	s_delay_alu instid0(VALU_DEP_1) | instskip(NEXT) | instid1(VALU_DEP_1)
	v_add3_u32 v10, v10, v18, v6
	v_lshlrev_b64_e32 v[9:10], 4, v[9:10]
	s_wait_alu 0xfffd
	v_dual_cndmask_b32 v14, v16, v14 :: v_dual_cndmask_b32 v13, v15, v13
	s_delay_alu instid0(VALU_DEP_1) | instskip(NEXT) | instid1(VALU_DEP_1)
	v_add_f64_e32 v[13:14], -1.0, v[13:14]
	v_mul_f64_e32 v[13:14], 0.5, v[13:14]
	s_delay_alu instid0(VALU_DEP_1) | instskip(NEXT) | instid1(VALU_DEP_1)
	v_trunc_f64_e32 v[13:14], v[13:14]
	v_ldexp_f64 v[15:16], v[13:14], 0xffffffe0
	s_delay_alu instid0(VALU_DEP_1) | instskip(NEXT) | instid1(VALU_DEP_1)
	v_floor_f64_e32 v[15:16], v[15:16]
	v_fma_f64 v[13:14], 0xc1f00000, v[15:16], v[13:14]
	v_cvt_u32_f64_e32 v15, v[15:16]
	s_delay_alu instid0(VALU_DEP_2) | instskip(NEXT) | instid1(VALU_DEP_1)
	v_cvt_u32_f64_e32 v14, v[13:14]
	v_mad_co_u64_u32 v[16:17], null, v14, v14, v[14:15]
	v_mul_lo_u32 v19, v14, v15
	v_mul_lo_u32 v15, s16, v15
	;; [unrolled: 1-line block ×3, first 2 shown]
	v_mad_co_u64_u32 v[13:14], null, s16, v14, s[16:17]
	s_delay_alu instid0(VALU_DEP_4) | instskip(NEXT) | instid1(VALU_DEP_2)
	v_add3_u32 v17, v19, v17, v19
	v_add3_u32 v14, v20, v14, v15
	s_delay_alu instid0(VALU_DEP_2) | instskip(NEXT) | instid1(VALU_DEP_2)
	v_lshrrev_b64 v[15:16], 1, v[16:17]
	v_lshlrev_b64_e32 v[13:14], 4, v[13:14]
	s_delay_alu instid0(VALU_DEP_2) | instskip(SKIP_1) | instid1(VALU_DEP_3)
	v_sub_co_u32 v11, vcc_lo, v11, v15
	s_wait_alu 0xfffd
	v_sub_co_ci_u32_e64 v12, null, v12, v16, vcc_lo
	v_add_co_u32 v6, vcc_lo, s38, v9
	s_wait_alu 0xfffd
	v_add_co_ci_u32_e64 v15, null, s39, v10, vcc_lo
	s_delay_alu instid0(VALU_DEP_3) | instskip(NEXT) | instid1(VALU_DEP_3)
	v_lshlrev_b64_e32 v[9:10], 4, v[11:12]
	v_add_co_u32 v6, vcc_lo, v6, v13
	s_wait_alu 0xfffd
	s_delay_alu instid0(VALU_DEP_3) | instskip(NEXT) | instid1(VALU_DEP_2)
	v_add_co_ci_u32_e64 v11, null, v15, v14, vcc_lo
	v_add_co_u32 v13, vcc_lo, v6, v9
	s_wait_alu 0xfffd
	s_delay_alu instid0(VALU_DEP_2)
	v_add_co_ci_u32_e64 v14, null, v11, v10, vcc_lo
	v_mov_b32_e32 v6, v5
	flat_store_b64 v[13:14], v[5:6]
.LBB259_17:                             ;   in Loop: Header=BB259_6 Depth=2
	s_wait_alu 0xfffe
	s_and_b32 vcc_lo, exec_lo, s13
	s_wait_alu 0xfffe
	s_cbranch_vccz .LBB259_5
; %bb.18:                               ;   in Loop: Header=BB259_6 Depth=2
	v_mov_b32_e32 v6, v5
	flat_store_b64 v[13:14], v[5:6] offset:8
	s_branch .LBB259_5
.LBB259_19:
	s_endpgm
	.section	.rodata,"a",@progbits
	.p2align	6, 0x0
	.amdhsa_kernel _ZL18rocblas_trtri_fillILi128E19rocblas_complex_numIdEPKPS1_EvP15_rocblas_handle13rocblas_fill_ililT1_llii
		.amdhsa_group_segment_fixed_size 0
		.amdhsa_private_segment_fixed_size 0
		.amdhsa_kernarg_size 328
		.amdhsa_user_sgpr_count 2
		.amdhsa_user_sgpr_dispatch_ptr 0
		.amdhsa_user_sgpr_queue_ptr 0
		.amdhsa_user_sgpr_kernarg_segment_ptr 1
		.amdhsa_user_sgpr_dispatch_id 0
		.amdhsa_user_sgpr_private_segment_size 0
		.amdhsa_wavefront_size32 1
		.amdhsa_uses_dynamic_stack 0
		.amdhsa_enable_private_segment 0
		.amdhsa_system_sgpr_workgroup_id_x 1
		.amdhsa_system_sgpr_workgroup_id_y 0
		.amdhsa_system_sgpr_workgroup_id_z 1
		.amdhsa_system_sgpr_workgroup_info 0
		.amdhsa_system_vgpr_workitem_id 0
		.amdhsa_next_free_vgpr 26
		.amdhsa_next_free_sgpr 47
		.amdhsa_reserve_vcc 1
		.amdhsa_float_round_mode_32 0
		.amdhsa_float_round_mode_16_64 0
		.amdhsa_float_denorm_mode_32 3
		.amdhsa_float_denorm_mode_16_64 3
		.amdhsa_fp16_overflow 0
		.amdhsa_workgroup_processor_mode 1
		.amdhsa_memory_ordered 1
		.amdhsa_forward_progress 1
		.amdhsa_inst_pref_size 20
		.amdhsa_round_robin_scheduling 0
		.amdhsa_exception_fp_ieee_invalid_op 0
		.amdhsa_exception_fp_denorm_src 0
		.amdhsa_exception_fp_ieee_div_zero 0
		.amdhsa_exception_fp_ieee_overflow 0
		.amdhsa_exception_fp_ieee_underflow 0
		.amdhsa_exception_fp_ieee_inexact 0
		.amdhsa_exception_int_div_zero 0
	.end_amdhsa_kernel
	.section	.text._ZL18rocblas_trtri_fillILi128E19rocblas_complex_numIdEPKPS1_EvP15_rocblas_handle13rocblas_fill_ililT1_llii,"axG",@progbits,_ZL18rocblas_trtri_fillILi128E19rocblas_complex_numIdEPKPS1_EvP15_rocblas_handle13rocblas_fill_ililT1_llii,comdat
.Lfunc_end259:
	.size	_ZL18rocblas_trtri_fillILi128E19rocblas_complex_numIdEPKPS1_EvP15_rocblas_handle13rocblas_fill_ililT1_llii, .Lfunc_end259-_ZL18rocblas_trtri_fillILi128E19rocblas_complex_numIdEPKPS1_EvP15_rocblas_handle13rocblas_fill_ililT1_llii
                                        ; -- End function
	.set _ZL18rocblas_trtri_fillILi128E19rocblas_complex_numIdEPKPS1_EvP15_rocblas_handle13rocblas_fill_ililT1_llii.num_vgpr, 26
	.set _ZL18rocblas_trtri_fillILi128E19rocblas_complex_numIdEPKPS1_EvP15_rocblas_handle13rocblas_fill_ililT1_llii.num_agpr, 0
	.set _ZL18rocblas_trtri_fillILi128E19rocblas_complex_numIdEPKPS1_EvP15_rocblas_handle13rocblas_fill_ililT1_llii.numbered_sgpr, 47
	.set _ZL18rocblas_trtri_fillILi128E19rocblas_complex_numIdEPKPS1_EvP15_rocblas_handle13rocblas_fill_ililT1_llii.num_named_barrier, 0
	.set _ZL18rocblas_trtri_fillILi128E19rocblas_complex_numIdEPKPS1_EvP15_rocblas_handle13rocblas_fill_ililT1_llii.private_seg_size, 0
	.set _ZL18rocblas_trtri_fillILi128E19rocblas_complex_numIdEPKPS1_EvP15_rocblas_handle13rocblas_fill_ililT1_llii.uses_vcc, 1
	.set _ZL18rocblas_trtri_fillILi128E19rocblas_complex_numIdEPKPS1_EvP15_rocblas_handle13rocblas_fill_ililT1_llii.uses_flat_scratch, 0
	.set _ZL18rocblas_trtri_fillILi128E19rocblas_complex_numIdEPKPS1_EvP15_rocblas_handle13rocblas_fill_ililT1_llii.has_dyn_sized_stack, 0
	.set _ZL18rocblas_trtri_fillILi128E19rocblas_complex_numIdEPKPS1_EvP15_rocblas_handle13rocblas_fill_ililT1_llii.has_recursion, 0
	.set _ZL18rocblas_trtri_fillILi128E19rocblas_complex_numIdEPKPS1_EvP15_rocblas_handle13rocblas_fill_ililT1_llii.has_indirect_call, 0
	.section	.AMDGPU.csdata,"",@progbits
; Kernel info:
; codeLenInByte = 2508
; TotalNumSgprs: 49
; NumVgprs: 26
; ScratchSize: 0
; MemoryBound: 0
; FloatMode: 240
; IeeeMode: 1
; LDSByteSize: 0 bytes/workgroup (compile time only)
; SGPRBlocks: 0
; VGPRBlocks: 3
; NumSGPRsForWavesPerEU: 49
; NumVGPRsForWavesPerEU: 26
; Occupancy: 16
; WaveLimiterHint : 1
; COMPUTE_PGM_RSRC2:SCRATCH_EN: 0
; COMPUTE_PGM_RSRC2:USER_SGPR: 2
; COMPUTE_PGM_RSRC2:TRAP_HANDLER: 0
; COMPUTE_PGM_RSRC2:TGID_X_EN: 1
; COMPUTE_PGM_RSRC2:TGID_Y_EN: 0
; COMPUTE_PGM_RSRC2:TGID_Z_EN: 1
; COMPUTE_PGM_RSRC2:TIDIG_COMP_CNT: 0
	.section	.text._ZL24rocblas_copy_matrix_trsmILi128ELi8E19rocblas_complex_numIdEPKPKS1_PKPS1_EviiiT2_ilT3_illli,"axG",@progbits,_ZL24rocblas_copy_matrix_trsmILi128ELi8E19rocblas_complex_numIdEPKPKS1_PKPS1_EviiiT2_ilT3_illli,comdat
	.globl	_ZL24rocblas_copy_matrix_trsmILi128ELi8E19rocblas_complex_numIdEPKPKS1_PKPS1_EviiiT2_ilT3_illli ; -- Begin function _ZL24rocblas_copy_matrix_trsmILi128ELi8E19rocblas_complex_numIdEPKPKS1_PKPS1_EviiiT2_ilT3_illli
	.p2align	8
	.type	_ZL24rocblas_copy_matrix_trsmILi128ELi8E19rocblas_complex_numIdEPKPKS1_PKPS1_EviiiT2_ilT3_illli,@function
_ZL24rocblas_copy_matrix_trsmILi128ELi8E19rocblas_complex_numIdEPKPKS1_PKPS1_EviiiT2_ilT3_illli: ; @_ZL24rocblas_copy_matrix_trsmILi128ELi8E19rocblas_complex_numIdEPKPKS1_PKPS1_EviiiT2_ilT3_illli
; %bb.0:
	s_load_b32 s22, s[0:1], 0x50
	s_lshr_b32 s2, ttmp7, 16
	s_wait_kmcnt 0x0
	s_cmp_ge_u32 s2, s22
	s_cbranch_scc1 .LBB260_6
; %bb.1:
	s_clause 0x2
	s_load_b96 s[8:10], s[0:1], 0x10
	s_load_b96 s[12:14], s[0:1], 0x28
	s_load_b64 s[18:19], s[0:1], 0x0
	v_dual_mov_b32 v1, 0 :: v_dual_and_b32 v2, 0x3ff, v0
	v_bfe_u32 v3, v0, 10, 10
	s_and_b32 s3, ttmp7, 0xffff
	s_load_b128 s[4:7], s[0:1], 0x40
	s_delay_alu instid0(VALU_DEP_2) | instskip(SKIP_3) | instid1(VALU_DEP_3)
	v_lshl_add_u32 v0, ttmp9, 7, v2
	s_add_nc_u64 s[16:17], s[0:1], 0x58
	v_lshl_add_u32 v2, s3, 3, v3
	v_mov_b32_e32 v3, v1
	v_lshlrev_b64_e32 v[4:5], 4, v[0:1]
	s_wait_kmcnt 0x0
	s_delay_alu instid0(VALU_DEP_3)
	v_mad_co_u64_u32 v[8:9], null, s10, v2, 0
	v_mad_co_u64_u32 v[6:7], null, s14, v2, 0
	s_ashr_i32 s15, s14, 31
	s_ashr_i32 s21, s10, 31
	s_mov_b32 s20, s10
	s_ashr_i32 s11, s19, 31
	v_mad_i32_i24 v9, s21, v2, v9
	s_mov_b32 s10, s19
	s_wait_alu 0xfffe
	v_mad_i32_i24 v7, s15, v2, v7
	s_ashr_i32 s19, s18, 31
	v_cmp_gt_u64_e64 s0, s[10:11], v[2:3]
	v_cmp_gt_u64_e32 vcc_lo, s[18:19], v[0:1]
	v_lshlrev_b64_e32 v[8:9], 4, v[8:9]
	v_lshlrev_b64_e32 v[6:7], 4, v[6:7]
	s_lshl_b64 s[6:7], s[6:7], 4
	s_lshl_b64 s[4:5], s[4:5], 4
	s_and_b32 s1, vcc_lo, s0
	s_delay_alu instid0(VALU_DEP_1) | instskip(NEXT) | instid1(VALU_DEP_1)
	v_add_co_u32 v0, vcc_lo, v6, s6
	v_add_co_ci_u32_e64 v6, null, s7, v7, vcc_lo
	v_add_co_u32 v7, vcc_lo, v8, s4
	s_wait_alu 0xfffd
	v_add_co_ci_u32_e64 v8, null, s5, v9, vcc_lo
	v_add_co_u32 v0, vcc_lo, v0, v4
	s_wait_alu 0xfffd
	;; [unrolled: 3-line block ×3, first 2 shown]
	v_add_co_ci_u32_e64 v12, null, v8, v5, vcc_lo
	s_lshl_b64 s[4:5], s[14:15], 4
	s_lshl_b64 s[6:7], s[20:21], 4
	s_mov_b32 s15, 0
	s_branch .LBB260_3
.LBB260_2:                              ;   in Loop: Header=BB260_3 Depth=1
	s_or_b32 exec_lo, exec_lo, s23
	s_add_co_i32 s2, s2, 0x10000
	s_wait_alu 0xfffe
	s_cmp_ge_u32 s2, s22
	s_cbranch_scc1 .LBB260_6
.LBB260_3:                              ; =>This Loop Header: Depth=1
                                        ;     Child Loop BB260_5 Depth 2
	s_wait_alu 0xfffe
	s_and_saveexec_b32 s23, s1
	s_cbranch_execz .LBB260_2
; %bb.4:                                ;   in Loop: Header=BB260_3 Depth=1
	s_mov_b32 s3, s15
	s_load_b32 s0, s[16:17], 0x4
	s_lshl_b64 s[18:19], s[2:3], 3
	v_dual_mov_b32 v9, v3 :: v_dual_mov_b32 v8, v2
	s_wait_alu 0xfffe
	s_add_nc_u64 s[20:21], s[12:13], s[18:19]
	s_add_nc_u64 s[18:19], s[8:9], s[18:19]
	s_clause 0x1
	global_load_b64 v[4:5], v1, s[20:21]
	global_load_b64 v[6:7], v1, s[18:19]
	s_mov_b32 s3, 0
	s_wait_kmcnt 0x0
	s_lshl_b32 s14, s0, 3
	s_wait_alu 0xfffe
	s_mul_u64 s[18:19], s[4:5], s[14:15]
	s_mul_u64 s[20:21], s[6:7], s[14:15]
	s_wait_loadcnt 0x1
	v_add_co_u32 v4, vcc_lo, v4, v0
	s_wait_alu 0xfffd
	v_add_co_ci_u32_e64 v5, null, v5, v10, vcc_lo
	s_wait_loadcnt 0x0
	v_add_co_u32 v6, vcc_lo, v6, v11
	s_wait_alu 0xfffd
	v_add_co_ci_u32_e64 v7, null, v7, v12, vcc_lo
.LBB260_5:                              ;   Parent Loop BB260_3 Depth=1
                                        ; =>  This Inner Loop Header: Depth=2
	flat_load_b128 v[13:16], v[6:7]
	v_add_co_u32 v8, vcc_lo, v8, s14
	s_wait_alu 0xfffd
	v_add_co_ci_u32_e64 v9, null, 0, v9, vcc_lo
	s_wait_alu 0xfffe
	v_add_co_u32 v6, vcc_lo, v6, s20
	s_wait_alu 0xfffd
	v_add_co_ci_u32_e64 v7, null, s21, v7, vcc_lo
	v_cmp_le_u64_e32 vcc_lo, s[10:11], v[8:9]
	s_or_b32 s3, vcc_lo, s3
	s_wait_loadcnt_dscnt 0x0
	flat_store_b128 v[4:5], v[13:16]
	v_add_co_u32 v4, s0, v4, s18
	s_wait_alu 0xf1ff
	v_add_co_ci_u32_e64 v5, null, s19, v5, s0
	s_wait_alu 0xfffe
	s_and_not1_b32 exec_lo, exec_lo, s3
	s_cbranch_execnz .LBB260_5
	s_branch .LBB260_2
.LBB260_6:
	s_endpgm
	.section	.rodata,"a",@progbits
	.p2align	6, 0x0
	.amdhsa_kernel _ZL24rocblas_copy_matrix_trsmILi128ELi8E19rocblas_complex_numIdEPKPKS1_PKPS1_EviiiT2_ilT3_illli
		.amdhsa_group_segment_fixed_size 0
		.amdhsa_private_segment_fixed_size 0
		.amdhsa_kernarg_size 344
		.amdhsa_user_sgpr_count 2
		.amdhsa_user_sgpr_dispatch_ptr 0
		.amdhsa_user_sgpr_queue_ptr 0
		.amdhsa_user_sgpr_kernarg_segment_ptr 1
		.amdhsa_user_sgpr_dispatch_id 0
		.amdhsa_user_sgpr_private_segment_size 0
		.amdhsa_wavefront_size32 1
		.amdhsa_uses_dynamic_stack 0
		.amdhsa_enable_private_segment 0
		.amdhsa_system_sgpr_workgroup_id_x 1
		.amdhsa_system_sgpr_workgroup_id_y 1
		.amdhsa_system_sgpr_workgroup_id_z 1
		.amdhsa_system_sgpr_workgroup_info 0
		.amdhsa_system_vgpr_workitem_id 1
		.amdhsa_next_free_vgpr 17
		.amdhsa_next_free_sgpr 24
		.amdhsa_reserve_vcc 1
		.amdhsa_float_round_mode_32 0
		.amdhsa_float_round_mode_16_64 0
		.amdhsa_float_denorm_mode_32 3
		.amdhsa_float_denorm_mode_16_64 3
		.amdhsa_fp16_overflow 0
		.amdhsa_workgroup_processor_mode 1
		.amdhsa_memory_ordered 1
		.amdhsa_forward_progress 1
		.amdhsa_inst_pref_size 5
		.amdhsa_round_robin_scheduling 0
		.amdhsa_exception_fp_ieee_invalid_op 0
		.amdhsa_exception_fp_denorm_src 0
		.amdhsa_exception_fp_ieee_div_zero 0
		.amdhsa_exception_fp_ieee_overflow 0
		.amdhsa_exception_fp_ieee_underflow 0
		.amdhsa_exception_fp_ieee_inexact 0
		.amdhsa_exception_int_div_zero 0
	.end_amdhsa_kernel
	.section	.text._ZL24rocblas_copy_matrix_trsmILi128ELi8E19rocblas_complex_numIdEPKPKS1_PKPS1_EviiiT2_ilT3_illli,"axG",@progbits,_ZL24rocblas_copy_matrix_trsmILi128ELi8E19rocblas_complex_numIdEPKPKS1_PKPS1_EviiiT2_ilT3_illli,comdat
.Lfunc_end260:
	.size	_ZL24rocblas_copy_matrix_trsmILi128ELi8E19rocblas_complex_numIdEPKPKS1_PKPS1_EviiiT2_ilT3_illli, .Lfunc_end260-_ZL24rocblas_copy_matrix_trsmILi128ELi8E19rocblas_complex_numIdEPKPKS1_PKPS1_EviiiT2_ilT3_illli
                                        ; -- End function
	.set _ZL24rocblas_copy_matrix_trsmILi128ELi8E19rocblas_complex_numIdEPKPKS1_PKPS1_EviiiT2_ilT3_illli.num_vgpr, 17
	.set _ZL24rocblas_copy_matrix_trsmILi128ELi8E19rocblas_complex_numIdEPKPKS1_PKPS1_EviiiT2_ilT3_illli.num_agpr, 0
	.set _ZL24rocblas_copy_matrix_trsmILi128ELi8E19rocblas_complex_numIdEPKPKS1_PKPS1_EviiiT2_ilT3_illli.numbered_sgpr, 24
	.set _ZL24rocblas_copy_matrix_trsmILi128ELi8E19rocblas_complex_numIdEPKPKS1_PKPS1_EviiiT2_ilT3_illli.num_named_barrier, 0
	.set _ZL24rocblas_copy_matrix_trsmILi128ELi8E19rocblas_complex_numIdEPKPKS1_PKPS1_EviiiT2_ilT3_illli.private_seg_size, 0
	.set _ZL24rocblas_copy_matrix_trsmILi128ELi8E19rocblas_complex_numIdEPKPKS1_PKPS1_EviiiT2_ilT3_illli.uses_vcc, 1
	.set _ZL24rocblas_copy_matrix_trsmILi128ELi8E19rocblas_complex_numIdEPKPKS1_PKPS1_EviiiT2_ilT3_illli.uses_flat_scratch, 0
	.set _ZL24rocblas_copy_matrix_trsmILi128ELi8E19rocblas_complex_numIdEPKPKS1_PKPS1_EviiiT2_ilT3_illli.has_dyn_sized_stack, 0
	.set _ZL24rocblas_copy_matrix_trsmILi128ELi8E19rocblas_complex_numIdEPKPKS1_PKPS1_EviiiT2_ilT3_illli.has_recursion, 0
	.set _ZL24rocblas_copy_matrix_trsmILi128ELi8E19rocblas_complex_numIdEPKPKS1_PKPS1_EviiiT2_ilT3_illli.has_indirect_call, 0
	.section	.AMDGPU.csdata,"",@progbits
; Kernel info:
; codeLenInByte = 612
; TotalNumSgprs: 26
; NumVgprs: 17
; ScratchSize: 0
; MemoryBound: 0
; FloatMode: 240
; IeeeMode: 1
; LDSByteSize: 0 bytes/workgroup (compile time only)
; SGPRBlocks: 0
; VGPRBlocks: 2
; NumSGPRsForWavesPerEU: 26
; NumVGPRsForWavesPerEU: 17
; Occupancy: 16
; WaveLimiterHint : 0
; COMPUTE_PGM_RSRC2:SCRATCH_EN: 0
; COMPUTE_PGM_RSRC2:USER_SGPR: 2
; COMPUTE_PGM_RSRC2:TRAP_HANDLER: 0
; COMPUTE_PGM_RSRC2:TGID_X_EN: 1
; COMPUTE_PGM_RSRC2:TGID_Y_EN: 1
; COMPUTE_PGM_RSRC2:TGID_Z_EN: 1
; COMPUTE_PGM_RSRC2:TIDIG_COMP_CNT: 1
	.section	.AMDGPU.gpr_maximums,"",@progbits
	.set amdgpu.max_num_vgpr, 0
	.set amdgpu.max_num_agpr, 0
	.set amdgpu.max_num_sgpr, 0
	.section	.AMDGPU.csdata,"",@progbits
	.type	__const._ZL38rocblas_trsm_small_left_device_sharedBILi4ELi4ELb0EffPKPKfPKPfEv13rocblas_fill_18rocblas_operation_17rocblas_diagonal_iiT3_T4_lilT5_lili.step_sizes,@object ; @__const._ZL38rocblas_trsm_small_left_device_sharedBILi4ELi4ELb0EffPKPKfPKPfEv13rocblas_fill_18rocblas_operation_17rocblas_diagonal_iiT3_T4_lilT5_lili.step_sizes
	.section	.rodata,"a",@progbits
	.p2align	2, 0x0
__const._ZL38rocblas_trsm_small_left_device_sharedBILi4ELi4ELb0EffPKPKfPKPfEv13rocblas_fill_18rocblas_operation_17rocblas_diagonal_iiT3_T4_lilT5_lili.step_sizes:
	.long	4                               ; 0x4
	.long	1                               ; 0x1
	;; [unrolled: 1-line block ×3, first 2 shown]
	.size	__const._ZL38rocblas_trsm_small_left_device_sharedBILi4ELi4ELb0EffPKPKfPKPfEv13rocblas_fill_18rocblas_operation_17rocblas_diagonal_iiT3_T4_lilT5_lili.step_sizes, 12

	.type	__const._ZL30rocblas_trsm_small_left_deviceILi4ELi4ELb0EffPKPKfPKPfEv13rocblas_fill_18rocblas_operation_17rocblas_diagonal_iiT3_T4_lilT5_lili.step_sizes,@object ; @__const._ZL30rocblas_trsm_small_left_deviceILi4ELi4ELb0EffPKPKfPKPfEv13rocblas_fill_18rocblas_operation_17rocblas_diagonal_iiT3_T4_lilT5_lili.step_sizes
	.p2align	2, 0x0
__const._ZL30rocblas_trsm_small_left_deviceILi4ELi4ELb0EffPKPKfPKPfEv13rocblas_fill_18rocblas_operation_17rocblas_diagonal_iiT3_T4_lilT5_lili.step_sizes:
	.long	4                               ; 0x4
	.long	1                               ; 0x1
	;; [unrolled: 1-line block ×3, first 2 shown]
	.size	__const._ZL30rocblas_trsm_small_left_deviceILi4ELi4ELb0EffPKPKfPKPfEv13rocblas_fill_18rocblas_operation_17rocblas_diagonal_iiT3_T4_lilT5_lili.step_sizes, 12

	.type	__const._ZL38rocblas_trsm_small_left_device_sharedBILi4ELi4ELb1EffPKPKfPKPfEv13rocblas_fill_18rocblas_operation_17rocblas_diagonal_iiT3_T4_lilT5_lili.step_sizes,@object ; @__const._ZL38rocblas_trsm_small_left_device_sharedBILi4ELi4ELb1EffPKPKfPKPfEv13rocblas_fill_18rocblas_operation_17rocblas_diagonal_iiT3_T4_lilT5_lili.step_sizes
	.p2align	2, 0x0
__const._ZL38rocblas_trsm_small_left_device_sharedBILi4ELi4ELb1EffPKPKfPKPfEv13rocblas_fill_18rocblas_operation_17rocblas_diagonal_iiT3_T4_lilT5_lili.step_sizes:
	.long	4                               ; 0x4
	.long	1                               ; 0x1
	.long	1                               ; 0x1
	.size	__const._ZL38rocblas_trsm_small_left_device_sharedBILi4ELi4ELb1EffPKPKfPKPfEv13rocblas_fill_18rocblas_operation_17rocblas_diagonal_iiT3_T4_lilT5_lili.step_sizes, 12

	.type	__const._ZL30rocblas_trsm_small_left_deviceILi4ELi4ELb1EffPKPKfPKPfEv13rocblas_fill_18rocblas_operation_17rocblas_diagonal_iiT3_T4_lilT5_lili.step_sizes,@object ; @__const._ZL30rocblas_trsm_small_left_deviceILi4ELi4ELb1EffPKPKfPKPfEv13rocblas_fill_18rocblas_operation_17rocblas_diagonal_iiT3_T4_lilT5_lili.step_sizes
	.p2align	2, 0x0
__const._ZL30rocblas_trsm_small_left_deviceILi4ELi4ELb1EffPKPKfPKPfEv13rocblas_fill_18rocblas_operation_17rocblas_diagonal_iiT3_T4_lilT5_lili.step_sizes:
	.long	4                               ; 0x4
	.long	1                               ; 0x1
	;; [unrolled: 1-line block ×3, first 2 shown]
	.size	__const._ZL30rocblas_trsm_small_left_deviceILi4ELi4ELb1EffPKPKfPKPfEv13rocblas_fill_18rocblas_operation_17rocblas_diagonal_iiT3_T4_lilT5_lili.step_sizes, 12

	.type	__const._ZL38rocblas_trsm_small_left_device_sharedBILi8ELi8ELb0EffPKPKfPKPfEv13rocblas_fill_18rocblas_operation_17rocblas_diagonal_iiT3_T4_lilT5_lili.step_sizes,@object ; @__const._ZL38rocblas_trsm_small_left_device_sharedBILi8ELi8ELb0EffPKPKfPKPfEv13rocblas_fill_18rocblas_operation_17rocblas_diagonal_iiT3_T4_lilT5_lili.step_sizes
	.p2align	2, 0x0
__const._ZL38rocblas_trsm_small_left_device_sharedBILi8ELi8ELb0EffPKPKfPKPfEv13rocblas_fill_18rocblas_operation_17rocblas_diagonal_iiT3_T4_lilT5_lili.step_sizes:
	.long	8                               ; 0x8
	.long	4                               ; 0x4
	;; [unrolled: 1-line block ×3, first 2 shown]
	.size	__const._ZL38rocblas_trsm_small_left_device_sharedBILi8ELi8ELb0EffPKPKfPKPfEv13rocblas_fill_18rocblas_operation_17rocblas_diagonal_iiT3_T4_lilT5_lili.step_sizes, 12

	.type	__const._ZL30rocblas_trsm_small_left_deviceILi8ELi8ELb0EffPKPKfPKPfEv13rocblas_fill_18rocblas_operation_17rocblas_diagonal_iiT3_T4_lilT5_lili.step_sizes,@object ; @__const._ZL30rocblas_trsm_small_left_deviceILi8ELi8ELb0EffPKPKfPKPfEv13rocblas_fill_18rocblas_operation_17rocblas_diagonal_iiT3_T4_lilT5_lili.step_sizes
	.p2align	2, 0x0
__const._ZL30rocblas_trsm_small_left_deviceILi8ELi8ELb0EffPKPKfPKPfEv13rocblas_fill_18rocblas_operation_17rocblas_diagonal_iiT3_T4_lilT5_lili.step_sizes:
	.long	8                               ; 0x8
	.long	4                               ; 0x4
	;; [unrolled: 1-line block ×3, first 2 shown]
	.size	__const._ZL30rocblas_trsm_small_left_deviceILi8ELi8ELb0EffPKPKfPKPfEv13rocblas_fill_18rocblas_operation_17rocblas_diagonal_iiT3_T4_lilT5_lili.step_sizes, 12

	.type	__const._ZL38rocblas_trsm_small_left_device_sharedBILi8ELi8ELb1EffPKPKfPKPfEv13rocblas_fill_18rocblas_operation_17rocblas_diagonal_iiT3_T4_lilT5_lili.step_sizes,@object ; @__const._ZL38rocblas_trsm_small_left_device_sharedBILi8ELi8ELb1EffPKPKfPKPfEv13rocblas_fill_18rocblas_operation_17rocblas_diagonal_iiT3_T4_lilT5_lili.step_sizes
	.p2align	2, 0x0
__const._ZL38rocblas_trsm_small_left_device_sharedBILi8ELi8ELb1EffPKPKfPKPfEv13rocblas_fill_18rocblas_operation_17rocblas_diagonal_iiT3_T4_lilT5_lili.step_sizes:
	.long	8                               ; 0x8
	.long	4                               ; 0x4
	;; [unrolled: 1-line block ×3, first 2 shown]
	.size	__const._ZL38rocblas_trsm_small_left_device_sharedBILi8ELi8ELb1EffPKPKfPKPfEv13rocblas_fill_18rocblas_operation_17rocblas_diagonal_iiT3_T4_lilT5_lili.step_sizes, 12

	.type	__const._ZL30rocblas_trsm_small_left_deviceILi8ELi8ELb1EffPKPKfPKPfEv13rocblas_fill_18rocblas_operation_17rocblas_diagonal_iiT3_T4_lilT5_lili.step_sizes,@object ; @__const._ZL30rocblas_trsm_small_left_deviceILi8ELi8ELb1EffPKPKfPKPfEv13rocblas_fill_18rocblas_operation_17rocblas_diagonal_iiT3_T4_lilT5_lili.step_sizes
	.p2align	2, 0x0
__const._ZL30rocblas_trsm_small_left_deviceILi8ELi8ELb1EffPKPKfPKPfEv13rocblas_fill_18rocblas_operation_17rocblas_diagonal_iiT3_T4_lilT5_lili.step_sizes:
	.long	8                               ; 0x8
	.long	4                               ; 0x4
	;; [unrolled: 1-line block ×3, first 2 shown]
	.size	__const._ZL30rocblas_trsm_small_left_deviceILi8ELi8ELb1EffPKPKfPKPfEv13rocblas_fill_18rocblas_operation_17rocblas_diagonal_iiT3_T4_lilT5_lili.step_sizes, 12

	.type	__const._ZL38rocblas_trsm_small_left_device_sharedBILi12ELi12ELb0EffPKPKfPKPfEv13rocblas_fill_18rocblas_operation_17rocblas_diagonal_iiT3_T4_lilT5_lili.step_sizes,@object ; @__const._ZL38rocblas_trsm_small_left_device_sharedBILi12ELi12ELb0EffPKPKfPKPfEv13rocblas_fill_18rocblas_operation_17rocblas_diagonal_iiT3_T4_lilT5_lili.step_sizes
	.p2align	2, 0x0
__const._ZL38rocblas_trsm_small_left_device_sharedBILi12ELi12ELb0EffPKPKfPKPfEv13rocblas_fill_18rocblas_operation_17rocblas_diagonal_iiT3_T4_lilT5_lili.step_sizes:
	.long	12                              ; 0xc
	.long	8                               ; 0x8
	.long	1                               ; 0x1
	.size	__const._ZL38rocblas_trsm_small_left_device_sharedBILi12ELi12ELb0EffPKPKfPKPfEv13rocblas_fill_18rocblas_operation_17rocblas_diagonal_iiT3_T4_lilT5_lili.step_sizes, 12

	.type	__const._ZL30rocblas_trsm_small_left_deviceILi12ELi12ELb0EffPKPKfPKPfEv13rocblas_fill_18rocblas_operation_17rocblas_diagonal_iiT3_T4_lilT5_lili.step_sizes,@object ; @__const._ZL30rocblas_trsm_small_left_deviceILi12ELi12ELb0EffPKPKfPKPfEv13rocblas_fill_18rocblas_operation_17rocblas_diagonal_iiT3_T4_lilT5_lili.step_sizes
	.p2align	2, 0x0
__const._ZL30rocblas_trsm_small_left_deviceILi12ELi12ELb0EffPKPKfPKPfEv13rocblas_fill_18rocblas_operation_17rocblas_diagonal_iiT3_T4_lilT5_lili.step_sizes:
	.long	12                              ; 0xc
	.long	8                               ; 0x8
	.long	1                               ; 0x1
	.size	__const._ZL30rocblas_trsm_small_left_deviceILi12ELi12ELb0EffPKPKfPKPfEv13rocblas_fill_18rocblas_operation_17rocblas_diagonal_iiT3_T4_lilT5_lili.step_sizes, 12

	.type	__const._ZL38rocblas_trsm_small_left_device_sharedBILi12ELi12ELb1EffPKPKfPKPfEv13rocblas_fill_18rocblas_operation_17rocblas_diagonal_iiT3_T4_lilT5_lili.step_sizes,@object ; @__const._ZL38rocblas_trsm_small_left_device_sharedBILi12ELi12ELb1EffPKPKfPKPfEv13rocblas_fill_18rocblas_operation_17rocblas_diagonal_iiT3_T4_lilT5_lili.step_sizes
	.p2align	2, 0x0
__const._ZL38rocblas_trsm_small_left_device_sharedBILi12ELi12ELb1EffPKPKfPKPfEv13rocblas_fill_18rocblas_operation_17rocblas_diagonal_iiT3_T4_lilT5_lili.step_sizes:
	.long	12                              ; 0xc
	.long	8                               ; 0x8
	.long	1                               ; 0x1
	.size	__const._ZL38rocblas_trsm_small_left_device_sharedBILi12ELi12ELb1EffPKPKfPKPfEv13rocblas_fill_18rocblas_operation_17rocblas_diagonal_iiT3_T4_lilT5_lili.step_sizes, 12

	.type	__const._ZL30rocblas_trsm_small_left_deviceILi12ELi12ELb1EffPKPKfPKPfEv13rocblas_fill_18rocblas_operation_17rocblas_diagonal_iiT3_T4_lilT5_lili.step_sizes,@object ; @__const._ZL30rocblas_trsm_small_left_deviceILi12ELi12ELb1EffPKPKfPKPfEv13rocblas_fill_18rocblas_operation_17rocblas_diagonal_iiT3_T4_lilT5_lili.step_sizes
	.p2align	2, 0x0
__const._ZL30rocblas_trsm_small_left_deviceILi12ELi12ELb1EffPKPKfPKPfEv13rocblas_fill_18rocblas_operation_17rocblas_diagonal_iiT3_T4_lilT5_lili.step_sizes:
	.long	12                              ; 0xc
	.long	8                               ; 0x8
	.long	1                               ; 0x1
	.size	__const._ZL30rocblas_trsm_small_left_deviceILi12ELi12ELb1EffPKPKfPKPfEv13rocblas_fill_18rocblas_operation_17rocblas_diagonal_iiT3_T4_lilT5_lili.step_sizes, 12

	.type	__const._ZL38rocblas_trsm_small_left_device_sharedBILi16ELi16ELb0EffPKPKfPKPfEv13rocblas_fill_18rocblas_operation_17rocblas_diagonal_iiT3_T4_lilT5_lili.step_sizes,@object ; @__const._ZL38rocblas_trsm_small_left_device_sharedBILi16ELi16ELb0EffPKPKfPKPfEv13rocblas_fill_18rocblas_operation_17rocblas_diagonal_iiT3_T4_lilT5_lili.step_sizes
	.p2align	2, 0x0
__const._ZL38rocblas_trsm_small_left_device_sharedBILi16ELi16ELb0EffPKPKfPKPfEv13rocblas_fill_18rocblas_operation_17rocblas_diagonal_iiT3_T4_lilT5_lili.step_sizes:
	.long	16                              ; 0x10
	.long	12                              ; 0xc
	.long	1                               ; 0x1
	.size	__const._ZL38rocblas_trsm_small_left_device_sharedBILi16ELi16ELb0EffPKPKfPKPfEv13rocblas_fill_18rocblas_operation_17rocblas_diagonal_iiT3_T4_lilT5_lili.step_sizes, 12

	.type	__const._ZL30rocblas_trsm_small_left_deviceILi16ELi16ELb0EffPKPKfPKPfEv13rocblas_fill_18rocblas_operation_17rocblas_diagonal_iiT3_T4_lilT5_lili.step_sizes,@object ; @__const._ZL30rocblas_trsm_small_left_deviceILi16ELi16ELb0EffPKPKfPKPfEv13rocblas_fill_18rocblas_operation_17rocblas_diagonal_iiT3_T4_lilT5_lili.step_sizes
	.p2align	2, 0x0
__const._ZL30rocblas_trsm_small_left_deviceILi16ELi16ELb0EffPKPKfPKPfEv13rocblas_fill_18rocblas_operation_17rocblas_diagonal_iiT3_T4_lilT5_lili.step_sizes:
	.long	16                              ; 0x10
	.long	12                              ; 0xc
	.long	1                               ; 0x1
	.size	__const._ZL30rocblas_trsm_small_left_deviceILi16ELi16ELb0EffPKPKfPKPfEv13rocblas_fill_18rocblas_operation_17rocblas_diagonal_iiT3_T4_lilT5_lili.step_sizes, 12

	.type	__const._ZL38rocblas_trsm_small_left_device_sharedBILi16ELi16ELb1EffPKPKfPKPfEv13rocblas_fill_18rocblas_operation_17rocblas_diagonal_iiT3_T4_lilT5_lili.step_sizes,@object ; @__const._ZL38rocblas_trsm_small_left_device_sharedBILi16ELi16ELb1EffPKPKfPKPfEv13rocblas_fill_18rocblas_operation_17rocblas_diagonal_iiT3_T4_lilT5_lili.step_sizes
	.p2align	2, 0x0
__const._ZL38rocblas_trsm_small_left_device_sharedBILi16ELi16ELb1EffPKPKfPKPfEv13rocblas_fill_18rocblas_operation_17rocblas_diagonal_iiT3_T4_lilT5_lili.step_sizes:
	.long	16                              ; 0x10
	.long	12                              ; 0xc
	.long	1                               ; 0x1
	.size	__const._ZL38rocblas_trsm_small_left_device_sharedBILi16ELi16ELb1EffPKPKfPKPfEv13rocblas_fill_18rocblas_operation_17rocblas_diagonal_iiT3_T4_lilT5_lili.step_sizes, 12

	.type	__const._ZL30rocblas_trsm_small_left_deviceILi16ELi16ELb1EffPKPKfPKPfEv13rocblas_fill_18rocblas_operation_17rocblas_diagonal_iiT3_T4_lilT5_lili.step_sizes,@object ; @__const._ZL30rocblas_trsm_small_left_deviceILi16ELi16ELb1EffPKPKfPKPfEv13rocblas_fill_18rocblas_operation_17rocblas_diagonal_iiT3_T4_lilT5_lili.step_sizes
	.p2align	2, 0x0
__const._ZL30rocblas_trsm_small_left_deviceILi16ELi16ELb1EffPKPKfPKPfEv13rocblas_fill_18rocblas_operation_17rocblas_diagonal_iiT3_T4_lilT5_lili.step_sizes:
	.long	16                              ; 0x10
	.long	12                              ; 0xc
	.long	1                               ; 0x1
	.size	__const._ZL30rocblas_trsm_small_left_deviceILi16ELi16ELb1EffPKPKfPKPfEv13rocblas_fill_18rocblas_operation_17rocblas_diagonal_iiT3_T4_lilT5_lili.step_sizes, 12

	.type	__const._ZL38rocblas_trsm_small_left_device_sharedBILi20ELi20ELb0EffPKPKfPKPfEv13rocblas_fill_18rocblas_operation_17rocblas_diagonal_iiT3_T4_lilT5_lili.step_sizes,@object ; @__const._ZL38rocblas_trsm_small_left_device_sharedBILi20ELi20ELb0EffPKPKfPKPfEv13rocblas_fill_18rocblas_operation_17rocblas_diagonal_iiT3_T4_lilT5_lili.step_sizes
	.p2align	2, 0x0
__const._ZL38rocblas_trsm_small_left_device_sharedBILi20ELi20ELb0EffPKPKfPKPfEv13rocblas_fill_18rocblas_operation_17rocblas_diagonal_iiT3_T4_lilT5_lili.step_sizes:
	.long	20                              ; 0x14
	.long	16                              ; 0x10
	.long	1                               ; 0x1
	.size	__const._ZL38rocblas_trsm_small_left_device_sharedBILi20ELi20ELb0EffPKPKfPKPfEv13rocblas_fill_18rocblas_operation_17rocblas_diagonal_iiT3_T4_lilT5_lili.step_sizes, 12

	.type	__const._ZL30rocblas_trsm_small_left_deviceILi20ELi20ELb0EffPKPKfPKPfEv13rocblas_fill_18rocblas_operation_17rocblas_diagonal_iiT3_T4_lilT5_lili.step_sizes,@object ; @__const._ZL30rocblas_trsm_small_left_deviceILi20ELi20ELb0EffPKPKfPKPfEv13rocblas_fill_18rocblas_operation_17rocblas_diagonal_iiT3_T4_lilT5_lili.step_sizes
	.p2align	2, 0x0
__const._ZL30rocblas_trsm_small_left_deviceILi20ELi20ELb0EffPKPKfPKPfEv13rocblas_fill_18rocblas_operation_17rocblas_diagonal_iiT3_T4_lilT5_lili.step_sizes:
	.long	20                              ; 0x14
	.long	16                              ; 0x10
	.long	1                               ; 0x1
	.size	__const._ZL30rocblas_trsm_small_left_deviceILi20ELi20ELb0EffPKPKfPKPfEv13rocblas_fill_18rocblas_operation_17rocblas_diagonal_iiT3_T4_lilT5_lili.step_sizes, 12

	.type	__const._ZL38rocblas_trsm_small_left_device_sharedBILi20ELi20ELb1EffPKPKfPKPfEv13rocblas_fill_18rocblas_operation_17rocblas_diagonal_iiT3_T4_lilT5_lili.step_sizes,@object ; @__const._ZL38rocblas_trsm_small_left_device_sharedBILi20ELi20ELb1EffPKPKfPKPfEv13rocblas_fill_18rocblas_operation_17rocblas_diagonal_iiT3_T4_lilT5_lili.step_sizes
	.p2align	2, 0x0
__const._ZL38rocblas_trsm_small_left_device_sharedBILi20ELi20ELb1EffPKPKfPKPfEv13rocblas_fill_18rocblas_operation_17rocblas_diagonal_iiT3_T4_lilT5_lili.step_sizes:
	.long	20                              ; 0x14
	.long	16                              ; 0x10
	.long	1                               ; 0x1
	.size	__const._ZL38rocblas_trsm_small_left_device_sharedBILi20ELi20ELb1EffPKPKfPKPfEv13rocblas_fill_18rocblas_operation_17rocblas_diagonal_iiT3_T4_lilT5_lili.step_sizes, 12

	.type	__const._ZL30rocblas_trsm_small_left_deviceILi20ELi20ELb1EffPKPKfPKPfEv13rocblas_fill_18rocblas_operation_17rocblas_diagonal_iiT3_T4_lilT5_lili.step_sizes,@object ; @__const._ZL30rocblas_trsm_small_left_deviceILi20ELi20ELb1EffPKPKfPKPfEv13rocblas_fill_18rocblas_operation_17rocblas_diagonal_iiT3_T4_lilT5_lili.step_sizes
	.p2align	2, 0x0
__const._ZL30rocblas_trsm_small_left_deviceILi20ELi20ELb1EffPKPKfPKPfEv13rocblas_fill_18rocblas_operation_17rocblas_diagonal_iiT3_T4_lilT5_lili.step_sizes:
	.long	20                              ; 0x14
	.long	16                              ; 0x10
	.long	1                               ; 0x1
	.size	__const._ZL30rocblas_trsm_small_left_deviceILi20ELi20ELb1EffPKPKfPKPfEv13rocblas_fill_18rocblas_operation_17rocblas_diagonal_iiT3_T4_lilT5_lili.step_sizes, 12

	.type	__const._ZL38rocblas_trsm_small_left_device_sharedBILi24ELi24ELb0EffPKPKfPKPfEv13rocblas_fill_18rocblas_operation_17rocblas_diagonal_iiT3_T4_lilT5_lili.step_sizes,@object ; @__const._ZL38rocblas_trsm_small_left_device_sharedBILi24ELi24ELb0EffPKPKfPKPfEv13rocblas_fill_18rocblas_operation_17rocblas_diagonal_iiT3_T4_lilT5_lili.step_sizes
	.p2align	2, 0x0
__const._ZL38rocblas_trsm_small_left_device_sharedBILi24ELi24ELb0EffPKPKfPKPfEv13rocblas_fill_18rocblas_operation_17rocblas_diagonal_iiT3_T4_lilT5_lili.step_sizes:
	.long	24                              ; 0x18
	.long	20                              ; 0x14
	.long	1                               ; 0x1
	.size	__const._ZL38rocblas_trsm_small_left_device_sharedBILi24ELi24ELb0EffPKPKfPKPfEv13rocblas_fill_18rocblas_operation_17rocblas_diagonal_iiT3_T4_lilT5_lili.step_sizes, 12

	.type	__const._ZL30rocblas_trsm_small_left_deviceILi24ELi24ELb0EffPKPKfPKPfEv13rocblas_fill_18rocblas_operation_17rocblas_diagonal_iiT3_T4_lilT5_lili.step_sizes,@object ; @__const._ZL30rocblas_trsm_small_left_deviceILi24ELi24ELb0EffPKPKfPKPfEv13rocblas_fill_18rocblas_operation_17rocblas_diagonal_iiT3_T4_lilT5_lili.step_sizes
	.p2align	2, 0x0
__const._ZL30rocblas_trsm_small_left_deviceILi24ELi24ELb0EffPKPKfPKPfEv13rocblas_fill_18rocblas_operation_17rocblas_diagonal_iiT3_T4_lilT5_lili.step_sizes:
	.long	24                              ; 0x18
	.long	20                              ; 0x14
	.long	1                               ; 0x1
	.size	__const._ZL30rocblas_trsm_small_left_deviceILi24ELi24ELb0EffPKPKfPKPfEv13rocblas_fill_18rocblas_operation_17rocblas_diagonal_iiT3_T4_lilT5_lili.step_sizes, 12

	.type	__const._ZL38rocblas_trsm_small_left_device_sharedBILi24ELi24ELb1EffPKPKfPKPfEv13rocblas_fill_18rocblas_operation_17rocblas_diagonal_iiT3_T4_lilT5_lili.step_sizes,@object ; @__const._ZL38rocblas_trsm_small_left_device_sharedBILi24ELi24ELb1EffPKPKfPKPfEv13rocblas_fill_18rocblas_operation_17rocblas_diagonal_iiT3_T4_lilT5_lili.step_sizes
	.p2align	2, 0x0
__const._ZL38rocblas_trsm_small_left_device_sharedBILi24ELi24ELb1EffPKPKfPKPfEv13rocblas_fill_18rocblas_operation_17rocblas_diagonal_iiT3_T4_lilT5_lili.step_sizes:
	.long	24                              ; 0x18
	.long	20                              ; 0x14
	.long	1                               ; 0x1
	.size	__const._ZL38rocblas_trsm_small_left_device_sharedBILi24ELi24ELb1EffPKPKfPKPfEv13rocblas_fill_18rocblas_operation_17rocblas_diagonal_iiT3_T4_lilT5_lili.step_sizes, 12

	.type	__const._ZL30rocblas_trsm_small_left_deviceILi24ELi24ELb1EffPKPKfPKPfEv13rocblas_fill_18rocblas_operation_17rocblas_diagonal_iiT3_T4_lilT5_lili.step_sizes,@object ; @__const._ZL30rocblas_trsm_small_left_deviceILi24ELi24ELb1EffPKPKfPKPfEv13rocblas_fill_18rocblas_operation_17rocblas_diagonal_iiT3_T4_lilT5_lili.step_sizes
	.p2align	2, 0x0
__const._ZL30rocblas_trsm_small_left_deviceILi24ELi24ELb1EffPKPKfPKPfEv13rocblas_fill_18rocblas_operation_17rocblas_diagonal_iiT3_T4_lilT5_lili.step_sizes:
	.long	24                              ; 0x18
	.long	20                              ; 0x14
	.long	1                               ; 0x1
	.size	__const._ZL30rocblas_trsm_small_left_deviceILi24ELi24ELb1EffPKPKfPKPfEv13rocblas_fill_18rocblas_operation_17rocblas_diagonal_iiT3_T4_lilT5_lili.step_sizes, 12

	.type	__const._ZL38rocblas_trsm_small_left_device_sharedBILi28ELi28ELb0EffPKPKfPKPfEv13rocblas_fill_18rocblas_operation_17rocblas_diagonal_iiT3_T4_lilT5_lili.step_sizes,@object ; @__const._ZL38rocblas_trsm_small_left_device_sharedBILi28ELi28ELb0EffPKPKfPKPfEv13rocblas_fill_18rocblas_operation_17rocblas_diagonal_iiT3_T4_lilT5_lili.step_sizes
	.p2align	2, 0x0
__const._ZL38rocblas_trsm_small_left_device_sharedBILi28ELi28ELb0EffPKPKfPKPfEv13rocblas_fill_18rocblas_operation_17rocblas_diagonal_iiT3_T4_lilT5_lili.step_sizes:
	.long	28                              ; 0x1c
	.long	24                              ; 0x18
	.long	1                               ; 0x1
	.size	__const._ZL38rocblas_trsm_small_left_device_sharedBILi28ELi28ELb0EffPKPKfPKPfEv13rocblas_fill_18rocblas_operation_17rocblas_diagonal_iiT3_T4_lilT5_lili.step_sizes, 12

	.type	__const._ZL30rocblas_trsm_small_left_deviceILi28ELi28ELb0EffPKPKfPKPfEv13rocblas_fill_18rocblas_operation_17rocblas_diagonal_iiT3_T4_lilT5_lili.step_sizes,@object ; @__const._ZL30rocblas_trsm_small_left_deviceILi28ELi28ELb0EffPKPKfPKPfEv13rocblas_fill_18rocblas_operation_17rocblas_diagonal_iiT3_T4_lilT5_lili.step_sizes
	.p2align	2, 0x0
__const._ZL30rocblas_trsm_small_left_deviceILi28ELi28ELb0EffPKPKfPKPfEv13rocblas_fill_18rocblas_operation_17rocblas_diagonal_iiT3_T4_lilT5_lili.step_sizes:
	.long	28                              ; 0x1c
	.long	24                              ; 0x18
	.long	1                               ; 0x1
	.size	__const._ZL30rocblas_trsm_small_left_deviceILi28ELi28ELb0EffPKPKfPKPfEv13rocblas_fill_18rocblas_operation_17rocblas_diagonal_iiT3_T4_lilT5_lili.step_sizes, 12

	.type	__const._ZL38rocblas_trsm_small_left_device_sharedBILi28ELi28ELb1EffPKPKfPKPfEv13rocblas_fill_18rocblas_operation_17rocblas_diagonal_iiT3_T4_lilT5_lili.step_sizes,@object ; @__const._ZL38rocblas_trsm_small_left_device_sharedBILi28ELi28ELb1EffPKPKfPKPfEv13rocblas_fill_18rocblas_operation_17rocblas_diagonal_iiT3_T4_lilT5_lili.step_sizes
	.p2align	2, 0x0
__const._ZL38rocblas_trsm_small_left_device_sharedBILi28ELi28ELb1EffPKPKfPKPfEv13rocblas_fill_18rocblas_operation_17rocblas_diagonal_iiT3_T4_lilT5_lili.step_sizes:
	.long	28                              ; 0x1c
	.long	24                              ; 0x18
	.long	1                               ; 0x1
	.size	__const._ZL38rocblas_trsm_small_left_device_sharedBILi28ELi28ELb1EffPKPKfPKPfEv13rocblas_fill_18rocblas_operation_17rocblas_diagonal_iiT3_T4_lilT5_lili.step_sizes, 12

	.type	__const._ZL30rocblas_trsm_small_left_deviceILi28ELi28ELb1EffPKPKfPKPfEv13rocblas_fill_18rocblas_operation_17rocblas_diagonal_iiT3_T4_lilT5_lili.step_sizes,@object ; @__const._ZL30rocblas_trsm_small_left_deviceILi28ELi28ELb1EffPKPKfPKPfEv13rocblas_fill_18rocblas_operation_17rocblas_diagonal_iiT3_T4_lilT5_lili.step_sizes
	.p2align	2, 0x0
__const._ZL30rocblas_trsm_small_left_deviceILi28ELi28ELb1EffPKPKfPKPfEv13rocblas_fill_18rocblas_operation_17rocblas_diagonal_iiT3_T4_lilT5_lili.step_sizes:
	.long	28                              ; 0x1c
	.long	24                              ; 0x18
	.long	1                               ; 0x1
	.size	__const._ZL30rocblas_trsm_small_left_deviceILi28ELi28ELb1EffPKPKfPKPfEv13rocblas_fill_18rocblas_operation_17rocblas_diagonal_iiT3_T4_lilT5_lili.step_sizes, 12

	.type	__const._ZL38rocblas_trsm_small_left_device_sharedBILi32ELi32ELb0EffPKPKfPKPfEv13rocblas_fill_18rocblas_operation_17rocblas_diagonal_iiT3_T4_lilT5_lili.step_sizes,@object ; @__const._ZL38rocblas_trsm_small_left_device_sharedBILi32ELi32ELb0EffPKPKfPKPfEv13rocblas_fill_18rocblas_operation_17rocblas_diagonal_iiT3_T4_lilT5_lili.step_sizes
	.p2align	2, 0x0
__const._ZL38rocblas_trsm_small_left_device_sharedBILi32ELi32ELb0EffPKPKfPKPfEv13rocblas_fill_18rocblas_operation_17rocblas_diagonal_iiT3_T4_lilT5_lili.step_sizes:
	.long	32                              ; 0x20
	.long	28                              ; 0x1c
	.long	1                               ; 0x1
	.size	__const._ZL38rocblas_trsm_small_left_device_sharedBILi32ELi32ELb0EffPKPKfPKPfEv13rocblas_fill_18rocblas_operation_17rocblas_diagonal_iiT3_T4_lilT5_lili.step_sizes, 12

	.type	__const._ZL30rocblas_trsm_small_left_deviceILi32ELi32ELb0EffPKPKfPKPfEv13rocblas_fill_18rocblas_operation_17rocblas_diagonal_iiT3_T4_lilT5_lili.step_sizes,@object ; @__const._ZL30rocblas_trsm_small_left_deviceILi32ELi32ELb0EffPKPKfPKPfEv13rocblas_fill_18rocblas_operation_17rocblas_diagonal_iiT3_T4_lilT5_lili.step_sizes
	.p2align	2, 0x0
__const._ZL30rocblas_trsm_small_left_deviceILi32ELi32ELb0EffPKPKfPKPfEv13rocblas_fill_18rocblas_operation_17rocblas_diagonal_iiT3_T4_lilT5_lili.step_sizes:
	.long	32                              ; 0x20
	.long	28                              ; 0x1c
	.long	1                               ; 0x1
	.size	__const._ZL30rocblas_trsm_small_left_deviceILi32ELi32ELb0EffPKPKfPKPfEv13rocblas_fill_18rocblas_operation_17rocblas_diagonal_iiT3_T4_lilT5_lili.step_sizes, 12

	.type	__const._ZL38rocblas_trsm_small_left_device_sharedBILi32ELi32ELb1EffPKPKfPKPfEv13rocblas_fill_18rocblas_operation_17rocblas_diagonal_iiT3_T4_lilT5_lili.step_sizes,@object ; @__const._ZL38rocblas_trsm_small_left_device_sharedBILi32ELi32ELb1EffPKPKfPKPfEv13rocblas_fill_18rocblas_operation_17rocblas_diagonal_iiT3_T4_lilT5_lili.step_sizes
	.p2align	2, 0x0
__const._ZL38rocblas_trsm_small_left_device_sharedBILi32ELi32ELb1EffPKPKfPKPfEv13rocblas_fill_18rocblas_operation_17rocblas_diagonal_iiT3_T4_lilT5_lili.step_sizes:
	.long	32                              ; 0x20
	.long	28                              ; 0x1c
	.long	1                               ; 0x1
	.size	__const._ZL38rocblas_trsm_small_left_device_sharedBILi32ELi32ELb1EffPKPKfPKPfEv13rocblas_fill_18rocblas_operation_17rocblas_diagonal_iiT3_T4_lilT5_lili.step_sizes, 12

	.type	__const._ZL30rocblas_trsm_small_left_deviceILi32ELi32ELb1EffPKPKfPKPfEv13rocblas_fill_18rocblas_operation_17rocblas_diagonal_iiT3_T4_lilT5_lili.step_sizes,@object ; @__const._ZL30rocblas_trsm_small_left_deviceILi32ELi32ELb1EffPKPKfPKPfEv13rocblas_fill_18rocblas_operation_17rocblas_diagonal_iiT3_T4_lilT5_lili.step_sizes
	.p2align	2, 0x0
__const._ZL30rocblas_trsm_small_left_deviceILi32ELi32ELb1EffPKPKfPKPfEv13rocblas_fill_18rocblas_operation_17rocblas_diagonal_iiT3_T4_lilT5_lili.step_sizes:
	.long	32                              ; 0x20
	.long	28                              ; 0x1c
	.long	1                               ; 0x1
	.size	__const._ZL30rocblas_trsm_small_left_deviceILi32ELi32ELb1EffPKPKfPKPfEv13rocblas_fill_18rocblas_operation_17rocblas_diagonal_iiT3_T4_lilT5_lili.step_sizes, 12

	.type	__const._ZL38rocblas_trsm_small_left_device_sharedBILi64ELi32ELb0EffPKPKfPKPfEv13rocblas_fill_18rocblas_operation_17rocblas_diagonal_iiT3_T4_lilT5_lili.step_sizes,@object ; @__const._ZL38rocblas_trsm_small_left_device_sharedBILi64ELi32ELb0EffPKPKfPKPfEv13rocblas_fill_18rocblas_operation_17rocblas_diagonal_iiT3_T4_lilT5_lili.step_sizes
	.p2align	2, 0x0
__const._ZL38rocblas_trsm_small_left_device_sharedBILi64ELi32ELb0EffPKPKfPKPfEv13rocblas_fill_18rocblas_operation_17rocblas_diagonal_iiT3_T4_lilT5_lili.step_sizes:
	.long	32                              ; 0x20
	.long	4                               ; 0x4
	.long	1                               ; 0x1
	.size	__const._ZL38rocblas_trsm_small_left_device_sharedBILi64ELi32ELb0EffPKPKfPKPfEv13rocblas_fill_18rocblas_operation_17rocblas_diagonal_iiT3_T4_lilT5_lili.step_sizes, 12

	.type	__const._ZL30rocblas_trsm_small_left_deviceILi64ELi32ELb0EffPKPKfPKPfEv13rocblas_fill_18rocblas_operation_17rocblas_diagonal_iiT3_T4_lilT5_lili.step_sizes,@object ; @__const._ZL30rocblas_trsm_small_left_deviceILi64ELi32ELb0EffPKPKfPKPfEv13rocblas_fill_18rocblas_operation_17rocblas_diagonal_iiT3_T4_lilT5_lili.step_sizes
	.p2align	2, 0x0
__const._ZL30rocblas_trsm_small_left_deviceILi64ELi32ELb0EffPKPKfPKPfEv13rocblas_fill_18rocblas_operation_17rocblas_diagonal_iiT3_T4_lilT5_lili.step_sizes:
	.long	32                              ; 0x20
	.long	4                               ; 0x4
	.long	1                               ; 0x1
	.size	__const._ZL30rocblas_trsm_small_left_deviceILi64ELi32ELb0EffPKPKfPKPfEv13rocblas_fill_18rocblas_operation_17rocblas_diagonal_iiT3_T4_lilT5_lili.step_sizes, 12

	.type	__const._ZL38rocblas_trsm_small_left_device_sharedBILi64ELi32ELb1EffPKPKfPKPfEv13rocblas_fill_18rocblas_operation_17rocblas_diagonal_iiT3_T4_lilT5_lili.step_sizes,@object ; @__const._ZL38rocblas_trsm_small_left_device_sharedBILi64ELi32ELb1EffPKPKfPKPfEv13rocblas_fill_18rocblas_operation_17rocblas_diagonal_iiT3_T4_lilT5_lili.step_sizes
	.p2align	2, 0x0
__const._ZL38rocblas_trsm_small_left_device_sharedBILi64ELi32ELb1EffPKPKfPKPfEv13rocblas_fill_18rocblas_operation_17rocblas_diagonal_iiT3_T4_lilT5_lili.step_sizes:
	.long	32                              ; 0x20
	.long	4                               ; 0x4
	.long	1                               ; 0x1
	.size	__const._ZL38rocblas_trsm_small_left_device_sharedBILi64ELi32ELb1EffPKPKfPKPfEv13rocblas_fill_18rocblas_operation_17rocblas_diagonal_iiT3_T4_lilT5_lili.step_sizes, 12

	.type	__const._ZL30rocblas_trsm_small_left_deviceILi64ELi32ELb1EffPKPKfPKPfEv13rocblas_fill_18rocblas_operation_17rocblas_diagonal_iiT3_T4_lilT5_lili.step_sizes,@object ; @__const._ZL30rocblas_trsm_small_left_deviceILi64ELi32ELb1EffPKPKfPKPfEv13rocblas_fill_18rocblas_operation_17rocblas_diagonal_iiT3_T4_lilT5_lili.step_sizes
	.p2align	2, 0x0
__const._ZL30rocblas_trsm_small_left_deviceILi64ELi32ELb1EffPKPKfPKPfEv13rocblas_fill_18rocblas_operation_17rocblas_diagonal_iiT3_T4_lilT5_lili.step_sizes:
	.long	32                              ; 0x20
	.long	4                               ; 0x4
	.long	1                               ; 0x1
	.size	__const._ZL30rocblas_trsm_small_left_deviceILi64ELi32ELb1EffPKPKfPKPfEv13rocblas_fill_18rocblas_operation_17rocblas_diagonal_iiT3_T4_lilT5_lili.step_sizes, 12

	.type	__const._ZL38rocblas_trsm_small_left_device_sharedBILi4ELi4ELb0EddPKPKdPKPdEv13rocblas_fill_18rocblas_operation_17rocblas_diagonal_iiT3_T4_lilT5_lili.step_sizes,@object ; @__const._ZL38rocblas_trsm_small_left_device_sharedBILi4ELi4ELb0EddPKPKdPKPdEv13rocblas_fill_18rocblas_operation_17rocblas_diagonal_iiT3_T4_lilT5_lili.step_sizes
	.p2align	2, 0x0
__const._ZL38rocblas_trsm_small_left_device_sharedBILi4ELi4ELb0EddPKPKdPKPdEv13rocblas_fill_18rocblas_operation_17rocblas_diagonal_iiT3_T4_lilT5_lili.step_sizes:
	.long	4                               ; 0x4
	.long	1                               ; 0x1
	;; [unrolled: 1-line block ×3, first 2 shown]
	.size	__const._ZL38rocblas_trsm_small_left_device_sharedBILi4ELi4ELb0EddPKPKdPKPdEv13rocblas_fill_18rocblas_operation_17rocblas_diagonal_iiT3_T4_lilT5_lili.step_sizes, 12

	.type	__const._ZL30rocblas_trsm_small_left_deviceILi4ELi4ELb0EddPKPKdPKPdEv13rocblas_fill_18rocblas_operation_17rocblas_diagonal_iiT3_T4_lilT5_lili.step_sizes,@object ; @__const._ZL30rocblas_trsm_small_left_deviceILi4ELi4ELb0EddPKPKdPKPdEv13rocblas_fill_18rocblas_operation_17rocblas_diagonal_iiT3_T4_lilT5_lili.step_sizes
	.p2align	2, 0x0
__const._ZL30rocblas_trsm_small_left_deviceILi4ELi4ELb0EddPKPKdPKPdEv13rocblas_fill_18rocblas_operation_17rocblas_diagonal_iiT3_T4_lilT5_lili.step_sizes:
	.long	4                               ; 0x4
	.long	1                               ; 0x1
	;; [unrolled: 1-line block ×3, first 2 shown]
	.size	__const._ZL30rocblas_trsm_small_left_deviceILi4ELi4ELb0EddPKPKdPKPdEv13rocblas_fill_18rocblas_operation_17rocblas_diagonal_iiT3_T4_lilT5_lili.step_sizes, 12

	.type	__const._ZL38rocblas_trsm_small_left_device_sharedBILi4ELi4ELb1EddPKPKdPKPdEv13rocblas_fill_18rocblas_operation_17rocblas_diagonal_iiT3_T4_lilT5_lili.step_sizes,@object ; @__const._ZL38rocblas_trsm_small_left_device_sharedBILi4ELi4ELb1EddPKPKdPKPdEv13rocblas_fill_18rocblas_operation_17rocblas_diagonal_iiT3_T4_lilT5_lili.step_sizes
	.p2align	2, 0x0
__const._ZL38rocblas_trsm_small_left_device_sharedBILi4ELi4ELb1EddPKPKdPKPdEv13rocblas_fill_18rocblas_operation_17rocblas_diagonal_iiT3_T4_lilT5_lili.step_sizes:
	.long	4                               ; 0x4
	.long	1                               ; 0x1
	;; [unrolled: 1-line block ×3, first 2 shown]
	.size	__const._ZL38rocblas_trsm_small_left_device_sharedBILi4ELi4ELb1EddPKPKdPKPdEv13rocblas_fill_18rocblas_operation_17rocblas_diagonal_iiT3_T4_lilT5_lili.step_sizes, 12

	.type	__const._ZL30rocblas_trsm_small_left_deviceILi4ELi4ELb1EddPKPKdPKPdEv13rocblas_fill_18rocblas_operation_17rocblas_diagonal_iiT3_T4_lilT5_lili.step_sizes,@object ; @__const._ZL30rocblas_trsm_small_left_deviceILi4ELi4ELb1EddPKPKdPKPdEv13rocblas_fill_18rocblas_operation_17rocblas_diagonal_iiT3_T4_lilT5_lili.step_sizes
	.p2align	2, 0x0
__const._ZL30rocblas_trsm_small_left_deviceILi4ELi4ELb1EddPKPKdPKPdEv13rocblas_fill_18rocblas_operation_17rocblas_diagonal_iiT3_T4_lilT5_lili.step_sizes:
	.long	4                               ; 0x4
	.long	1                               ; 0x1
	;; [unrolled: 1-line block ×3, first 2 shown]
	.size	__const._ZL30rocblas_trsm_small_left_deviceILi4ELi4ELb1EddPKPKdPKPdEv13rocblas_fill_18rocblas_operation_17rocblas_diagonal_iiT3_T4_lilT5_lili.step_sizes, 12

	.type	__const._ZL38rocblas_trsm_small_left_device_sharedBILi8ELi8ELb0EddPKPKdPKPdEv13rocblas_fill_18rocblas_operation_17rocblas_diagonal_iiT3_T4_lilT5_lili.step_sizes,@object ; @__const._ZL38rocblas_trsm_small_left_device_sharedBILi8ELi8ELb0EddPKPKdPKPdEv13rocblas_fill_18rocblas_operation_17rocblas_diagonal_iiT3_T4_lilT5_lili.step_sizes
	.p2align	2, 0x0
__const._ZL38rocblas_trsm_small_left_device_sharedBILi8ELi8ELb0EddPKPKdPKPdEv13rocblas_fill_18rocblas_operation_17rocblas_diagonal_iiT3_T4_lilT5_lili.step_sizes:
	.long	8                               ; 0x8
	.long	4                               ; 0x4
	;; [unrolled: 1-line block ×3, first 2 shown]
	.size	__const._ZL38rocblas_trsm_small_left_device_sharedBILi8ELi8ELb0EddPKPKdPKPdEv13rocblas_fill_18rocblas_operation_17rocblas_diagonal_iiT3_T4_lilT5_lili.step_sizes, 12

	.type	__const._ZL30rocblas_trsm_small_left_deviceILi8ELi8ELb0EddPKPKdPKPdEv13rocblas_fill_18rocblas_operation_17rocblas_diagonal_iiT3_T4_lilT5_lili.step_sizes,@object ; @__const._ZL30rocblas_trsm_small_left_deviceILi8ELi8ELb0EddPKPKdPKPdEv13rocblas_fill_18rocblas_operation_17rocblas_diagonal_iiT3_T4_lilT5_lili.step_sizes
	.p2align	2, 0x0
__const._ZL30rocblas_trsm_small_left_deviceILi8ELi8ELb0EddPKPKdPKPdEv13rocblas_fill_18rocblas_operation_17rocblas_diagonal_iiT3_T4_lilT5_lili.step_sizes:
	.long	8                               ; 0x8
	.long	4                               ; 0x4
	;; [unrolled: 1-line block ×3, first 2 shown]
	.size	__const._ZL30rocblas_trsm_small_left_deviceILi8ELi8ELb0EddPKPKdPKPdEv13rocblas_fill_18rocblas_operation_17rocblas_diagonal_iiT3_T4_lilT5_lili.step_sizes, 12

	.type	__const._ZL38rocblas_trsm_small_left_device_sharedBILi8ELi8ELb1EddPKPKdPKPdEv13rocblas_fill_18rocblas_operation_17rocblas_diagonal_iiT3_T4_lilT5_lili.step_sizes,@object ; @__const._ZL38rocblas_trsm_small_left_device_sharedBILi8ELi8ELb1EddPKPKdPKPdEv13rocblas_fill_18rocblas_operation_17rocblas_diagonal_iiT3_T4_lilT5_lili.step_sizes
	.p2align	2, 0x0
__const._ZL38rocblas_trsm_small_left_device_sharedBILi8ELi8ELb1EddPKPKdPKPdEv13rocblas_fill_18rocblas_operation_17rocblas_diagonal_iiT3_T4_lilT5_lili.step_sizes:
	.long	8                               ; 0x8
	.long	4                               ; 0x4
	.long	1                               ; 0x1
	.size	__const._ZL38rocblas_trsm_small_left_device_sharedBILi8ELi8ELb1EddPKPKdPKPdEv13rocblas_fill_18rocblas_operation_17rocblas_diagonal_iiT3_T4_lilT5_lili.step_sizes, 12

	.type	__const._ZL30rocblas_trsm_small_left_deviceILi8ELi8ELb1EddPKPKdPKPdEv13rocblas_fill_18rocblas_operation_17rocblas_diagonal_iiT3_T4_lilT5_lili.step_sizes,@object ; @__const._ZL30rocblas_trsm_small_left_deviceILi8ELi8ELb1EddPKPKdPKPdEv13rocblas_fill_18rocblas_operation_17rocblas_diagonal_iiT3_T4_lilT5_lili.step_sizes
	.p2align	2, 0x0
__const._ZL30rocblas_trsm_small_left_deviceILi8ELi8ELb1EddPKPKdPKPdEv13rocblas_fill_18rocblas_operation_17rocblas_diagonal_iiT3_T4_lilT5_lili.step_sizes:
	.long	8                               ; 0x8
	.long	4                               ; 0x4
	;; [unrolled: 1-line block ×3, first 2 shown]
	.size	__const._ZL30rocblas_trsm_small_left_deviceILi8ELi8ELb1EddPKPKdPKPdEv13rocblas_fill_18rocblas_operation_17rocblas_diagonal_iiT3_T4_lilT5_lili.step_sizes, 12

	.type	__const._ZL38rocblas_trsm_small_left_device_sharedBILi12ELi12ELb0EddPKPKdPKPdEv13rocblas_fill_18rocblas_operation_17rocblas_diagonal_iiT3_T4_lilT5_lili.step_sizes,@object ; @__const._ZL38rocblas_trsm_small_left_device_sharedBILi12ELi12ELb0EddPKPKdPKPdEv13rocblas_fill_18rocblas_operation_17rocblas_diagonal_iiT3_T4_lilT5_lili.step_sizes
	.p2align	2, 0x0
__const._ZL38rocblas_trsm_small_left_device_sharedBILi12ELi12ELb0EddPKPKdPKPdEv13rocblas_fill_18rocblas_operation_17rocblas_diagonal_iiT3_T4_lilT5_lili.step_sizes:
	.long	12                              ; 0xc
	.long	8                               ; 0x8
	.long	1                               ; 0x1
	.size	__const._ZL38rocblas_trsm_small_left_device_sharedBILi12ELi12ELb0EddPKPKdPKPdEv13rocblas_fill_18rocblas_operation_17rocblas_diagonal_iiT3_T4_lilT5_lili.step_sizes, 12

	.type	__const._ZL30rocblas_trsm_small_left_deviceILi12ELi12ELb0EddPKPKdPKPdEv13rocblas_fill_18rocblas_operation_17rocblas_diagonal_iiT3_T4_lilT5_lili.step_sizes,@object ; @__const._ZL30rocblas_trsm_small_left_deviceILi12ELi12ELb0EddPKPKdPKPdEv13rocblas_fill_18rocblas_operation_17rocblas_diagonal_iiT3_T4_lilT5_lili.step_sizes
	.p2align	2, 0x0
__const._ZL30rocblas_trsm_small_left_deviceILi12ELi12ELb0EddPKPKdPKPdEv13rocblas_fill_18rocblas_operation_17rocblas_diagonal_iiT3_T4_lilT5_lili.step_sizes:
	.long	12                              ; 0xc
	.long	8                               ; 0x8
	.long	1                               ; 0x1
	.size	__const._ZL30rocblas_trsm_small_left_deviceILi12ELi12ELb0EddPKPKdPKPdEv13rocblas_fill_18rocblas_operation_17rocblas_diagonal_iiT3_T4_lilT5_lili.step_sizes, 12

	.type	__const._ZL38rocblas_trsm_small_left_device_sharedBILi12ELi12ELb1EddPKPKdPKPdEv13rocblas_fill_18rocblas_operation_17rocblas_diagonal_iiT3_T4_lilT5_lili.step_sizes,@object ; @__const._ZL38rocblas_trsm_small_left_device_sharedBILi12ELi12ELb1EddPKPKdPKPdEv13rocblas_fill_18rocblas_operation_17rocblas_diagonal_iiT3_T4_lilT5_lili.step_sizes
	.p2align	2, 0x0
__const._ZL38rocblas_trsm_small_left_device_sharedBILi12ELi12ELb1EddPKPKdPKPdEv13rocblas_fill_18rocblas_operation_17rocblas_diagonal_iiT3_T4_lilT5_lili.step_sizes:
	.long	12                              ; 0xc
	.long	8                               ; 0x8
	.long	1                               ; 0x1
	.size	__const._ZL38rocblas_trsm_small_left_device_sharedBILi12ELi12ELb1EddPKPKdPKPdEv13rocblas_fill_18rocblas_operation_17rocblas_diagonal_iiT3_T4_lilT5_lili.step_sizes, 12

	.type	__const._ZL30rocblas_trsm_small_left_deviceILi12ELi12ELb1EddPKPKdPKPdEv13rocblas_fill_18rocblas_operation_17rocblas_diagonal_iiT3_T4_lilT5_lili.step_sizes,@object ; @__const._ZL30rocblas_trsm_small_left_deviceILi12ELi12ELb1EddPKPKdPKPdEv13rocblas_fill_18rocblas_operation_17rocblas_diagonal_iiT3_T4_lilT5_lili.step_sizes
	.p2align	2, 0x0
__const._ZL30rocblas_trsm_small_left_deviceILi12ELi12ELb1EddPKPKdPKPdEv13rocblas_fill_18rocblas_operation_17rocblas_diagonal_iiT3_T4_lilT5_lili.step_sizes:
	.long	12                              ; 0xc
	.long	8                               ; 0x8
	.long	1                               ; 0x1
	.size	__const._ZL30rocblas_trsm_small_left_deviceILi12ELi12ELb1EddPKPKdPKPdEv13rocblas_fill_18rocblas_operation_17rocblas_diagonal_iiT3_T4_lilT5_lili.step_sizes, 12

	.type	__const._ZL38rocblas_trsm_small_left_device_sharedBILi16ELi16ELb0EddPKPKdPKPdEv13rocblas_fill_18rocblas_operation_17rocblas_diagonal_iiT3_T4_lilT5_lili.step_sizes,@object ; @__const._ZL38rocblas_trsm_small_left_device_sharedBILi16ELi16ELb0EddPKPKdPKPdEv13rocblas_fill_18rocblas_operation_17rocblas_diagonal_iiT3_T4_lilT5_lili.step_sizes
	.p2align	2, 0x0
__const._ZL38rocblas_trsm_small_left_device_sharedBILi16ELi16ELb0EddPKPKdPKPdEv13rocblas_fill_18rocblas_operation_17rocblas_diagonal_iiT3_T4_lilT5_lili.step_sizes:
	.long	16                              ; 0x10
	.long	12                              ; 0xc
	.long	1                               ; 0x1
	.size	__const._ZL38rocblas_trsm_small_left_device_sharedBILi16ELi16ELb0EddPKPKdPKPdEv13rocblas_fill_18rocblas_operation_17rocblas_diagonal_iiT3_T4_lilT5_lili.step_sizes, 12

	.type	__const._ZL30rocblas_trsm_small_left_deviceILi16ELi16ELb0EddPKPKdPKPdEv13rocblas_fill_18rocblas_operation_17rocblas_diagonal_iiT3_T4_lilT5_lili.step_sizes,@object ; @__const._ZL30rocblas_trsm_small_left_deviceILi16ELi16ELb0EddPKPKdPKPdEv13rocblas_fill_18rocblas_operation_17rocblas_diagonal_iiT3_T4_lilT5_lili.step_sizes
	.p2align	2, 0x0
__const._ZL30rocblas_trsm_small_left_deviceILi16ELi16ELb0EddPKPKdPKPdEv13rocblas_fill_18rocblas_operation_17rocblas_diagonal_iiT3_T4_lilT5_lili.step_sizes:
	.long	16                              ; 0x10
	.long	12                              ; 0xc
	.long	1                               ; 0x1
	.size	__const._ZL30rocblas_trsm_small_left_deviceILi16ELi16ELb0EddPKPKdPKPdEv13rocblas_fill_18rocblas_operation_17rocblas_diagonal_iiT3_T4_lilT5_lili.step_sizes, 12

	.type	__const._ZL38rocblas_trsm_small_left_device_sharedBILi16ELi16ELb1EddPKPKdPKPdEv13rocblas_fill_18rocblas_operation_17rocblas_diagonal_iiT3_T4_lilT5_lili.step_sizes,@object ; @__const._ZL38rocblas_trsm_small_left_device_sharedBILi16ELi16ELb1EddPKPKdPKPdEv13rocblas_fill_18rocblas_operation_17rocblas_diagonal_iiT3_T4_lilT5_lili.step_sizes
	.p2align	2, 0x0
__const._ZL38rocblas_trsm_small_left_device_sharedBILi16ELi16ELb1EddPKPKdPKPdEv13rocblas_fill_18rocblas_operation_17rocblas_diagonal_iiT3_T4_lilT5_lili.step_sizes:
	.long	16                              ; 0x10
	.long	12                              ; 0xc
	.long	1                               ; 0x1
	.size	__const._ZL38rocblas_trsm_small_left_device_sharedBILi16ELi16ELb1EddPKPKdPKPdEv13rocblas_fill_18rocblas_operation_17rocblas_diagonal_iiT3_T4_lilT5_lili.step_sizes, 12

	.type	__const._ZL30rocblas_trsm_small_left_deviceILi16ELi16ELb1EddPKPKdPKPdEv13rocblas_fill_18rocblas_operation_17rocblas_diagonal_iiT3_T4_lilT5_lili.step_sizes,@object ; @__const._ZL30rocblas_trsm_small_left_deviceILi16ELi16ELb1EddPKPKdPKPdEv13rocblas_fill_18rocblas_operation_17rocblas_diagonal_iiT3_T4_lilT5_lili.step_sizes
	.p2align	2, 0x0
__const._ZL30rocblas_trsm_small_left_deviceILi16ELi16ELb1EddPKPKdPKPdEv13rocblas_fill_18rocblas_operation_17rocblas_diagonal_iiT3_T4_lilT5_lili.step_sizes:
	.long	16                              ; 0x10
	.long	12                              ; 0xc
	.long	1                               ; 0x1
	.size	__const._ZL30rocblas_trsm_small_left_deviceILi16ELi16ELb1EddPKPKdPKPdEv13rocblas_fill_18rocblas_operation_17rocblas_diagonal_iiT3_T4_lilT5_lili.step_sizes, 12

	.type	__const._ZL38rocblas_trsm_small_left_device_sharedBILi20ELi20ELb0EddPKPKdPKPdEv13rocblas_fill_18rocblas_operation_17rocblas_diagonal_iiT3_T4_lilT5_lili.step_sizes,@object ; @__const._ZL38rocblas_trsm_small_left_device_sharedBILi20ELi20ELb0EddPKPKdPKPdEv13rocblas_fill_18rocblas_operation_17rocblas_diagonal_iiT3_T4_lilT5_lili.step_sizes
	.p2align	2, 0x0
__const._ZL38rocblas_trsm_small_left_device_sharedBILi20ELi20ELb0EddPKPKdPKPdEv13rocblas_fill_18rocblas_operation_17rocblas_diagonal_iiT3_T4_lilT5_lili.step_sizes:
	.long	20                              ; 0x14
	.long	16                              ; 0x10
	.long	1                               ; 0x1
	.size	__const._ZL38rocblas_trsm_small_left_device_sharedBILi20ELi20ELb0EddPKPKdPKPdEv13rocblas_fill_18rocblas_operation_17rocblas_diagonal_iiT3_T4_lilT5_lili.step_sizes, 12

	.type	__const._ZL30rocblas_trsm_small_left_deviceILi20ELi20ELb0EddPKPKdPKPdEv13rocblas_fill_18rocblas_operation_17rocblas_diagonal_iiT3_T4_lilT5_lili.step_sizes,@object ; @__const._ZL30rocblas_trsm_small_left_deviceILi20ELi20ELb0EddPKPKdPKPdEv13rocblas_fill_18rocblas_operation_17rocblas_diagonal_iiT3_T4_lilT5_lili.step_sizes
	.p2align	2, 0x0
__const._ZL30rocblas_trsm_small_left_deviceILi20ELi20ELb0EddPKPKdPKPdEv13rocblas_fill_18rocblas_operation_17rocblas_diagonal_iiT3_T4_lilT5_lili.step_sizes:
	.long	20                              ; 0x14
	.long	16                              ; 0x10
	.long	1                               ; 0x1
	.size	__const._ZL30rocblas_trsm_small_left_deviceILi20ELi20ELb0EddPKPKdPKPdEv13rocblas_fill_18rocblas_operation_17rocblas_diagonal_iiT3_T4_lilT5_lili.step_sizes, 12

	.type	__const._ZL38rocblas_trsm_small_left_device_sharedBILi20ELi20ELb1EddPKPKdPKPdEv13rocblas_fill_18rocblas_operation_17rocblas_diagonal_iiT3_T4_lilT5_lili.step_sizes,@object ; @__const._ZL38rocblas_trsm_small_left_device_sharedBILi20ELi20ELb1EddPKPKdPKPdEv13rocblas_fill_18rocblas_operation_17rocblas_diagonal_iiT3_T4_lilT5_lili.step_sizes
	.p2align	2, 0x0
__const._ZL38rocblas_trsm_small_left_device_sharedBILi20ELi20ELb1EddPKPKdPKPdEv13rocblas_fill_18rocblas_operation_17rocblas_diagonal_iiT3_T4_lilT5_lili.step_sizes:
	.long	20                              ; 0x14
	.long	16                              ; 0x10
	.long	1                               ; 0x1
	.size	__const._ZL38rocblas_trsm_small_left_device_sharedBILi20ELi20ELb1EddPKPKdPKPdEv13rocblas_fill_18rocblas_operation_17rocblas_diagonal_iiT3_T4_lilT5_lili.step_sizes, 12

	.type	__const._ZL30rocblas_trsm_small_left_deviceILi20ELi20ELb1EddPKPKdPKPdEv13rocblas_fill_18rocblas_operation_17rocblas_diagonal_iiT3_T4_lilT5_lili.step_sizes,@object ; @__const._ZL30rocblas_trsm_small_left_deviceILi20ELi20ELb1EddPKPKdPKPdEv13rocblas_fill_18rocblas_operation_17rocblas_diagonal_iiT3_T4_lilT5_lili.step_sizes
	.p2align	2, 0x0
__const._ZL30rocblas_trsm_small_left_deviceILi20ELi20ELb1EddPKPKdPKPdEv13rocblas_fill_18rocblas_operation_17rocblas_diagonal_iiT3_T4_lilT5_lili.step_sizes:
	.long	20                              ; 0x14
	.long	16                              ; 0x10
	.long	1                               ; 0x1
	.size	__const._ZL30rocblas_trsm_small_left_deviceILi20ELi20ELb1EddPKPKdPKPdEv13rocblas_fill_18rocblas_operation_17rocblas_diagonal_iiT3_T4_lilT5_lili.step_sizes, 12

	.type	__const._ZL38rocblas_trsm_small_left_device_sharedBILi24ELi24ELb0EddPKPKdPKPdEv13rocblas_fill_18rocblas_operation_17rocblas_diagonal_iiT3_T4_lilT5_lili.step_sizes,@object ; @__const._ZL38rocblas_trsm_small_left_device_sharedBILi24ELi24ELb0EddPKPKdPKPdEv13rocblas_fill_18rocblas_operation_17rocblas_diagonal_iiT3_T4_lilT5_lili.step_sizes
	.p2align	2, 0x0
__const._ZL38rocblas_trsm_small_left_device_sharedBILi24ELi24ELb0EddPKPKdPKPdEv13rocblas_fill_18rocblas_operation_17rocblas_diagonal_iiT3_T4_lilT5_lili.step_sizes:
	.long	24                              ; 0x18
	.long	20                              ; 0x14
	.long	1                               ; 0x1
	.size	__const._ZL38rocblas_trsm_small_left_device_sharedBILi24ELi24ELb0EddPKPKdPKPdEv13rocblas_fill_18rocblas_operation_17rocblas_diagonal_iiT3_T4_lilT5_lili.step_sizes, 12

	.type	__const._ZL30rocblas_trsm_small_left_deviceILi24ELi24ELb0EddPKPKdPKPdEv13rocblas_fill_18rocblas_operation_17rocblas_diagonal_iiT3_T4_lilT5_lili.step_sizes,@object ; @__const._ZL30rocblas_trsm_small_left_deviceILi24ELi24ELb0EddPKPKdPKPdEv13rocblas_fill_18rocblas_operation_17rocblas_diagonal_iiT3_T4_lilT5_lili.step_sizes
	.p2align	2, 0x0
__const._ZL30rocblas_trsm_small_left_deviceILi24ELi24ELb0EddPKPKdPKPdEv13rocblas_fill_18rocblas_operation_17rocblas_diagonal_iiT3_T4_lilT5_lili.step_sizes:
	.long	24                              ; 0x18
	.long	20                              ; 0x14
	.long	1                               ; 0x1
	.size	__const._ZL30rocblas_trsm_small_left_deviceILi24ELi24ELb0EddPKPKdPKPdEv13rocblas_fill_18rocblas_operation_17rocblas_diagonal_iiT3_T4_lilT5_lili.step_sizes, 12

	.type	__const._ZL38rocblas_trsm_small_left_device_sharedBILi24ELi24ELb1EddPKPKdPKPdEv13rocblas_fill_18rocblas_operation_17rocblas_diagonal_iiT3_T4_lilT5_lili.step_sizes,@object ; @__const._ZL38rocblas_trsm_small_left_device_sharedBILi24ELi24ELb1EddPKPKdPKPdEv13rocblas_fill_18rocblas_operation_17rocblas_diagonal_iiT3_T4_lilT5_lili.step_sizes
	.p2align	2, 0x0
__const._ZL38rocblas_trsm_small_left_device_sharedBILi24ELi24ELb1EddPKPKdPKPdEv13rocblas_fill_18rocblas_operation_17rocblas_diagonal_iiT3_T4_lilT5_lili.step_sizes:
	.long	24                              ; 0x18
	.long	20                              ; 0x14
	.long	1                               ; 0x1
	.size	__const._ZL38rocblas_trsm_small_left_device_sharedBILi24ELi24ELb1EddPKPKdPKPdEv13rocblas_fill_18rocblas_operation_17rocblas_diagonal_iiT3_T4_lilT5_lili.step_sizes, 12

	.type	__const._ZL30rocblas_trsm_small_left_deviceILi24ELi24ELb1EddPKPKdPKPdEv13rocblas_fill_18rocblas_operation_17rocblas_diagonal_iiT3_T4_lilT5_lili.step_sizes,@object ; @__const._ZL30rocblas_trsm_small_left_deviceILi24ELi24ELb1EddPKPKdPKPdEv13rocblas_fill_18rocblas_operation_17rocblas_diagonal_iiT3_T4_lilT5_lili.step_sizes
	.p2align	2, 0x0
__const._ZL30rocblas_trsm_small_left_deviceILi24ELi24ELb1EddPKPKdPKPdEv13rocblas_fill_18rocblas_operation_17rocblas_diagonal_iiT3_T4_lilT5_lili.step_sizes:
	.long	24                              ; 0x18
	.long	20                              ; 0x14
	.long	1                               ; 0x1
	.size	__const._ZL30rocblas_trsm_small_left_deviceILi24ELi24ELb1EddPKPKdPKPdEv13rocblas_fill_18rocblas_operation_17rocblas_diagonal_iiT3_T4_lilT5_lili.step_sizes, 12

	.type	__const._ZL38rocblas_trsm_small_left_device_sharedBILi28ELi28ELb0EddPKPKdPKPdEv13rocblas_fill_18rocblas_operation_17rocblas_diagonal_iiT3_T4_lilT5_lili.step_sizes,@object ; @__const._ZL38rocblas_trsm_small_left_device_sharedBILi28ELi28ELb0EddPKPKdPKPdEv13rocblas_fill_18rocblas_operation_17rocblas_diagonal_iiT3_T4_lilT5_lili.step_sizes
	.p2align	2, 0x0
__const._ZL38rocblas_trsm_small_left_device_sharedBILi28ELi28ELb0EddPKPKdPKPdEv13rocblas_fill_18rocblas_operation_17rocblas_diagonal_iiT3_T4_lilT5_lili.step_sizes:
	.long	28                              ; 0x1c
	.long	24                              ; 0x18
	.long	1                               ; 0x1
	.size	__const._ZL38rocblas_trsm_small_left_device_sharedBILi28ELi28ELb0EddPKPKdPKPdEv13rocblas_fill_18rocblas_operation_17rocblas_diagonal_iiT3_T4_lilT5_lili.step_sizes, 12

	.type	__const._ZL30rocblas_trsm_small_left_deviceILi28ELi28ELb0EddPKPKdPKPdEv13rocblas_fill_18rocblas_operation_17rocblas_diagonal_iiT3_T4_lilT5_lili.step_sizes,@object ; @__const._ZL30rocblas_trsm_small_left_deviceILi28ELi28ELb0EddPKPKdPKPdEv13rocblas_fill_18rocblas_operation_17rocblas_diagonal_iiT3_T4_lilT5_lili.step_sizes
	.p2align	2, 0x0
__const._ZL30rocblas_trsm_small_left_deviceILi28ELi28ELb0EddPKPKdPKPdEv13rocblas_fill_18rocblas_operation_17rocblas_diagonal_iiT3_T4_lilT5_lili.step_sizes:
	.long	28                              ; 0x1c
	.long	24                              ; 0x18
	.long	1                               ; 0x1
	.size	__const._ZL30rocblas_trsm_small_left_deviceILi28ELi28ELb0EddPKPKdPKPdEv13rocblas_fill_18rocblas_operation_17rocblas_diagonal_iiT3_T4_lilT5_lili.step_sizes, 12

	.type	__const._ZL38rocblas_trsm_small_left_device_sharedBILi28ELi28ELb1EddPKPKdPKPdEv13rocblas_fill_18rocblas_operation_17rocblas_diagonal_iiT3_T4_lilT5_lili.step_sizes,@object ; @__const._ZL38rocblas_trsm_small_left_device_sharedBILi28ELi28ELb1EddPKPKdPKPdEv13rocblas_fill_18rocblas_operation_17rocblas_diagonal_iiT3_T4_lilT5_lili.step_sizes
	.p2align	2, 0x0
__const._ZL38rocblas_trsm_small_left_device_sharedBILi28ELi28ELb1EddPKPKdPKPdEv13rocblas_fill_18rocblas_operation_17rocblas_diagonal_iiT3_T4_lilT5_lili.step_sizes:
	.long	28                              ; 0x1c
	.long	24                              ; 0x18
	.long	1                               ; 0x1
	.size	__const._ZL38rocblas_trsm_small_left_device_sharedBILi28ELi28ELb1EddPKPKdPKPdEv13rocblas_fill_18rocblas_operation_17rocblas_diagonal_iiT3_T4_lilT5_lili.step_sizes, 12

	.type	__const._ZL30rocblas_trsm_small_left_deviceILi28ELi28ELb1EddPKPKdPKPdEv13rocblas_fill_18rocblas_operation_17rocblas_diagonal_iiT3_T4_lilT5_lili.step_sizes,@object ; @__const._ZL30rocblas_trsm_small_left_deviceILi28ELi28ELb1EddPKPKdPKPdEv13rocblas_fill_18rocblas_operation_17rocblas_diagonal_iiT3_T4_lilT5_lili.step_sizes
	.p2align	2, 0x0
__const._ZL30rocblas_trsm_small_left_deviceILi28ELi28ELb1EddPKPKdPKPdEv13rocblas_fill_18rocblas_operation_17rocblas_diagonal_iiT3_T4_lilT5_lili.step_sizes:
	.long	28                              ; 0x1c
	.long	24                              ; 0x18
	.long	1                               ; 0x1
	.size	__const._ZL30rocblas_trsm_small_left_deviceILi28ELi28ELb1EddPKPKdPKPdEv13rocblas_fill_18rocblas_operation_17rocblas_diagonal_iiT3_T4_lilT5_lili.step_sizes, 12

	.type	__const._ZL38rocblas_trsm_small_left_device_sharedBILi32ELi32ELb0EddPKPKdPKPdEv13rocblas_fill_18rocblas_operation_17rocblas_diagonal_iiT3_T4_lilT5_lili.step_sizes,@object ; @__const._ZL38rocblas_trsm_small_left_device_sharedBILi32ELi32ELb0EddPKPKdPKPdEv13rocblas_fill_18rocblas_operation_17rocblas_diagonal_iiT3_T4_lilT5_lili.step_sizes
	.p2align	2, 0x0
__const._ZL38rocblas_trsm_small_left_device_sharedBILi32ELi32ELb0EddPKPKdPKPdEv13rocblas_fill_18rocblas_operation_17rocblas_diagonal_iiT3_T4_lilT5_lili.step_sizes:
	.long	32                              ; 0x20
	.long	28                              ; 0x1c
	.long	1                               ; 0x1
	.size	__const._ZL38rocblas_trsm_small_left_device_sharedBILi32ELi32ELb0EddPKPKdPKPdEv13rocblas_fill_18rocblas_operation_17rocblas_diagonal_iiT3_T4_lilT5_lili.step_sizes, 12

	.type	__const._ZL30rocblas_trsm_small_left_deviceILi32ELi32ELb0EddPKPKdPKPdEv13rocblas_fill_18rocblas_operation_17rocblas_diagonal_iiT3_T4_lilT5_lili.step_sizes,@object ; @__const._ZL30rocblas_trsm_small_left_deviceILi32ELi32ELb0EddPKPKdPKPdEv13rocblas_fill_18rocblas_operation_17rocblas_diagonal_iiT3_T4_lilT5_lili.step_sizes
	.p2align	2, 0x0
__const._ZL30rocblas_trsm_small_left_deviceILi32ELi32ELb0EddPKPKdPKPdEv13rocblas_fill_18rocblas_operation_17rocblas_diagonal_iiT3_T4_lilT5_lili.step_sizes:
	.long	32                              ; 0x20
	.long	28                              ; 0x1c
	.long	1                               ; 0x1
	.size	__const._ZL30rocblas_trsm_small_left_deviceILi32ELi32ELb0EddPKPKdPKPdEv13rocblas_fill_18rocblas_operation_17rocblas_diagonal_iiT3_T4_lilT5_lili.step_sizes, 12

	.type	__const._ZL38rocblas_trsm_small_left_device_sharedBILi32ELi32ELb1EddPKPKdPKPdEv13rocblas_fill_18rocblas_operation_17rocblas_diagonal_iiT3_T4_lilT5_lili.step_sizes,@object ; @__const._ZL38rocblas_trsm_small_left_device_sharedBILi32ELi32ELb1EddPKPKdPKPdEv13rocblas_fill_18rocblas_operation_17rocblas_diagonal_iiT3_T4_lilT5_lili.step_sizes
	.p2align	2, 0x0
__const._ZL38rocblas_trsm_small_left_device_sharedBILi32ELi32ELb1EddPKPKdPKPdEv13rocblas_fill_18rocblas_operation_17rocblas_diagonal_iiT3_T4_lilT5_lili.step_sizes:
	.long	32                              ; 0x20
	.long	28                              ; 0x1c
	.long	1                               ; 0x1
	.size	__const._ZL38rocblas_trsm_small_left_device_sharedBILi32ELi32ELb1EddPKPKdPKPdEv13rocblas_fill_18rocblas_operation_17rocblas_diagonal_iiT3_T4_lilT5_lili.step_sizes, 12

	.type	__const._ZL30rocblas_trsm_small_left_deviceILi32ELi32ELb1EddPKPKdPKPdEv13rocblas_fill_18rocblas_operation_17rocblas_diagonal_iiT3_T4_lilT5_lili.step_sizes,@object ; @__const._ZL30rocblas_trsm_small_left_deviceILi32ELi32ELb1EddPKPKdPKPdEv13rocblas_fill_18rocblas_operation_17rocblas_diagonal_iiT3_T4_lilT5_lili.step_sizes
	.p2align	2, 0x0
__const._ZL30rocblas_trsm_small_left_deviceILi32ELi32ELb1EddPKPKdPKPdEv13rocblas_fill_18rocblas_operation_17rocblas_diagonal_iiT3_T4_lilT5_lili.step_sizes:
	.long	32                              ; 0x20
	.long	28                              ; 0x1c
	.long	1                               ; 0x1
	.size	__const._ZL30rocblas_trsm_small_left_deviceILi32ELi32ELb1EddPKPKdPKPdEv13rocblas_fill_18rocblas_operation_17rocblas_diagonal_iiT3_T4_lilT5_lili.step_sizes, 12

	.type	__const._ZL38rocblas_trsm_small_left_device_sharedBILi64ELi32ELb0EddPKPKdPKPdEv13rocblas_fill_18rocblas_operation_17rocblas_diagonal_iiT3_T4_lilT5_lili.step_sizes,@object ; @__const._ZL38rocblas_trsm_small_left_device_sharedBILi64ELi32ELb0EddPKPKdPKPdEv13rocblas_fill_18rocblas_operation_17rocblas_diagonal_iiT3_T4_lilT5_lili.step_sizes
	.p2align	2, 0x0
__const._ZL38rocblas_trsm_small_left_device_sharedBILi64ELi32ELb0EddPKPKdPKPdEv13rocblas_fill_18rocblas_operation_17rocblas_diagonal_iiT3_T4_lilT5_lili.step_sizes:
	.long	32                              ; 0x20
	.long	4                               ; 0x4
	.long	1                               ; 0x1
	.size	__const._ZL38rocblas_trsm_small_left_device_sharedBILi64ELi32ELb0EddPKPKdPKPdEv13rocblas_fill_18rocblas_operation_17rocblas_diagonal_iiT3_T4_lilT5_lili.step_sizes, 12

	.type	__const._ZL30rocblas_trsm_small_left_deviceILi64ELi32ELb0EddPKPKdPKPdEv13rocblas_fill_18rocblas_operation_17rocblas_diagonal_iiT3_T4_lilT5_lili.step_sizes,@object ; @__const._ZL30rocblas_trsm_small_left_deviceILi64ELi32ELb0EddPKPKdPKPdEv13rocblas_fill_18rocblas_operation_17rocblas_diagonal_iiT3_T4_lilT5_lili.step_sizes
	.p2align	2, 0x0
__const._ZL30rocblas_trsm_small_left_deviceILi64ELi32ELb0EddPKPKdPKPdEv13rocblas_fill_18rocblas_operation_17rocblas_diagonal_iiT3_T4_lilT5_lili.step_sizes:
	.long	32                              ; 0x20
	.long	4                               ; 0x4
	.long	1                               ; 0x1
	.size	__const._ZL30rocblas_trsm_small_left_deviceILi64ELi32ELb0EddPKPKdPKPdEv13rocblas_fill_18rocblas_operation_17rocblas_diagonal_iiT3_T4_lilT5_lili.step_sizes, 12

	.type	__const._ZL38rocblas_trsm_small_left_device_sharedBILi64ELi32ELb1EddPKPKdPKPdEv13rocblas_fill_18rocblas_operation_17rocblas_diagonal_iiT3_T4_lilT5_lili.step_sizes,@object ; @__const._ZL38rocblas_trsm_small_left_device_sharedBILi64ELi32ELb1EddPKPKdPKPdEv13rocblas_fill_18rocblas_operation_17rocblas_diagonal_iiT3_T4_lilT5_lili.step_sizes
	.p2align	2, 0x0
__const._ZL38rocblas_trsm_small_left_device_sharedBILi64ELi32ELb1EddPKPKdPKPdEv13rocblas_fill_18rocblas_operation_17rocblas_diagonal_iiT3_T4_lilT5_lili.step_sizes:
	.long	32                              ; 0x20
	.long	4                               ; 0x4
	.long	1                               ; 0x1
	.size	__const._ZL38rocblas_trsm_small_left_device_sharedBILi64ELi32ELb1EddPKPKdPKPdEv13rocblas_fill_18rocblas_operation_17rocblas_diagonal_iiT3_T4_lilT5_lili.step_sizes, 12

	.type	__const._ZL30rocblas_trsm_small_left_deviceILi64ELi32ELb1EddPKPKdPKPdEv13rocblas_fill_18rocblas_operation_17rocblas_diagonal_iiT3_T4_lilT5_lili.step_sizes,@object ; @__const._ZL30rocblas_trsm_small_left_deviceILi64ELi32ELb1EddPKPKdPKPdEv13rocblas_fill_18rocblas_operation_17rocblas_diagonal_iiT3_T4_lilT5_lili.step_sizes
	.p2align	2, 0x0
__const._ZL30rocblas_trsm_small_left_deviceILi64ELi32ELb1EddPKPKdPKPdEv13rocblas_fill_18rocblas_operation_17rocblas_diagonal_iiT3_T4_lilT5_lili.step_sizes:
	.long	32                              ; 0x20
	.long	4                               ; 0x4
	.long	1                               ; 0x1
	.size	__const._ZL30rocblas_trsm_small_left_deviceILi64ELi32ELb1EddPKPKdPKPdEv13rocblas_fill_18rocblas_operation_17rocblas_diagonal_iiT3_T4_lilT5_lili.step_sizes, 12

	.type	__const._ZL38rocblas_trsm_small_left_device_sharedBILi4ELi4ELb0E19rocblas_complex_numIfES1_PKPKS1_PKPS1_Ev13rocblas_fill_18rocblas_operation_17rocblas_diagonal_iiT3_T4_lilT5_lili.step_sizes,@object ; @__const._ZL38rocblas_trsm_small_left_device_sharedBILi4ELi4ELb0E19rocblas_complex_numIfES1_PKPKS1_PKPS1_Ev13rocblas_fill_18rocblas_operation_17rocblas_diagonal_iiT3_T4_lilT5_lili.step_sizes
	.p2align	2, 0x0
__const._ZL38rocblas_trsm_small_left_device_sharedBILi4ELi4ELb0E19rocblas_complex_numIfES1_PKPKS1_PKPS1_Ev13rocblas_fill_18rocblas_operation_17rocblas_diagonal_iiT3_T4_lilT5_lili.step_sizes:
	.long	4                               ; 0x4
	.long	1                               ; 0x1
	;; [unrolled: 1-line block ×3, first 2 shown]
	.size	__const._ZL38rocblas_trsm_small_left_device_sharedBILi4ELi4ELb0E19rocblas_complex_numIfES1_PKPKS1_PKPS1_Ev13rocblas_fill_18rocblas_operation_17rocblas_diagonal_iiT3_T4_lilT5_lili.step_sizes, 12

	.type	__const._ZL30rocblas_trsm_small_left_deviceILi4ELi4ELb0E19rocblas_complex_numIfES1_PKPKS1_PKPS1_Ev13rocblas_fill_18rocblas_operation_17rocblas_diagonal_iiT3_T4_lilT5_lili.step_sizes,@object ; @__const._ZL30rocblas_trsm_small_left_deviceILi4ELi4ELb0E19rocblas_complex_numIfES1_PKPKS1_PKPS1_Ev13rocblas_fill_18rocblas_operation_17rocblas_diagonal_iiT3_T4_lilT5_lili.step_sizes
	.p2align	2, 0x0
__const._ZL30rocblas_trsm_small_left_deviceILi4ELi4ELb0E19rocblas_complex_numIfES1_PKPKS1_PKPS1_Ev13rocblas_fill_18rocblas_operation_17rocblas_diagonal_iiT3_T4_lilT5_lili.step_sizes:
	.long	4                               ; 0x4
	.long	1                               ; 0x1
	;; [unrolled: 1-line block ×3, first 2 shown]
	.size	__const._ZL30rocblas_trsm_small_left_deviceILi4ELi4ELb0E19rocblas_complex_numIfES1_PKPKS1_PKPS1_Ev13rocblas_fill_18rocblas_operation_17rocblas_diagonal_iiT3_T4_lilT5_lili.step_sizes, 12

	.type	__const._ZL38rocblas_trsm_small_left_device_sharedBILi4ELi4ELb1E19rocblas_complex_numIfES1_PKPKS1_PKPS1_Ev13rocblas_fill_18rocblas_operation_17rocblas_diagonal_iiT3_T4_lilT5_lili.step_sizes,@object ; @__const._ZL38rocblas_trsm_small_left_device_sharedBILi4ELi4ELb1E19rocblas_complex_numIfES1_PKPKS1_PKPS1_Ev13rocblas_fill_18rocblas_operation_17rocblas_diagonal_iiT3_T4_lilT5_lili.step_sizes
	.p2align	2, 0x0
__const._ZL38rocblas_trsm_small_left_device_sharedBILi4ELi4ELb1E19rocblas_complex_numIfES1_PKPKS1_PKPS1_Ev13rocblas_fill_18rocblas_operation_17rocblas_diagonal_iiT3_T4_lilT5_lili.step_sizes:
	.long	4                               ; 0x4
	.long	1                               ; 0x1
	;; [unrolled: 1-line block ×3, first 2 shown]
	.size	__const._ZL38rocblas_trsm_small_left_device_sharedBILi4ELi4ELb1E19rocblas_complex_numIfES1_PKPKS1_PKPS1_Ev13rocblas_fill_18rocblas_operation_17rocblas_diagonal_iiT3_T4_lilT5_lili.step_sizes, 12

	.type	__const._ZL30rocblas_trsm_small_left_deviceILi4ELi4ELb1E19rocblas_complex_numIfES1_PKPKS1_PKPS1_Ev13rocblas_fill_18rocblas_operation_17rocblas_diagonal_iiT3_T4_lilT5_lili.step_sizes,@object ; @__const._ZL30rocblas_trsm_small_left_deviceILi4ELi4ELb1E19rocblas_complex_numIfES1_PKPKS1_PKPS1_Ev13rocblas_fill_18rocblas_operation_17rocblas_diagonal_iiT3_T4_lilT5_lili.step_sizes
	.p2align	2, 0x0
__const._ZL30rocblas_trsm_small_left_deviceILi4ELi4ELb1E19rocblas_complex_numIfES1_PKPKS1_PKPS1_Ev13rocblas_fill_18rocblas_operation_17rocblas_diagonal_iiT3_T4_lilT5_lili.step_sizes:
	.long	4                               ; 0x4
	.long	1                               ; 0x1
	;; [unrolled: 1-line block ×3, first 2 shown]
	.size	__const._ZL30rocblas_trsm_small_left_deviceILi4ELi4ELb1E19rocblas_complex_numIfES1_PKPKS1_PKPS1_Ev13rocblas_fill_18rocblas_operation_17rocblas_diagonal_iiT3_T4_lilT5_lili.step_sizes, 12

	.type	__const._ZL38rocblas_trsm_small_left_device_sharedBILi8ELi8ELb0E19rocblas_complex_numIfES1_PKPKS1_PKPS1_Ev13rocblas_fill_18rocblas_operation_17rocblas_diagonal_iiT3_T4_lilT5_lili.step_sizes,@object ; @__const._ZL38rocblas_trsm_small_left_device_sharedBILi8ELi8ELb0E19rocblas_complex_numIfES1_PKPKS1_PKPS1_Ev13rocblas_fill_18rocblas_operation_17rocblas_diagonal_iiT3_T4_lilT5_lili.step_sizes
	.p2align	2, 0x0
__const._ZL38rocblas_trsm_small_left_device_sharedBILi8ELi8ELb0E19rocblas_complex_numIfES1_PKPKS1_PKPS1_Ev13rocblas_fill_18rocblas_operation_17rocblas_diagonal_iiT3_T4_lilT5_lili.step_sizes:
	.long	8                               ; 0x8
	.long	4                               ; 0x4
	;; [unrolled: 1-line block ×3, first 2 shown]
	.size	__const._ZL38rocblas_trsm_small_left_device_sharedBILi8ELi8ELb0E19rocblas_complex_numIfES1_PKPKS1_PKPS1_Ev13rocblas_fill_18rocblas_operation_17rocblas_diagonal_iiT3_T4_lilT5_lili.step_sizes, 12

	.type	__const._ZL30rocblas_trsm_small_left_deviceILi8ELi8ELb0E19rocblas_complex_numIfES1_PKPKS1_PKPS1_Ev13rocblas_fill_18rocblas_operation_17rocblas_diagonal_iiT3_T4_lilT5_lili.step_sizes,@object ; @__const._ZL30rocblas_trsm_small_left_deviceILi8ELi8ELb0E19rocblas_complex_numIfES1_PKPKS1_PKPS1_Ev13rocblas_fill_18rocblas_operation_17rocblas_diagonal_iiT3_T4_lilT5_lili.step_sizes
	.p2align	2, 0x0
__const._ZL30rocblas_trsm_small_left_deviceILi8ELi8ELb0E19rocblas_complex_numIfES1_PKPKS1_PKPS1_Ev13rocblas_fill_18rocblas_operation_17rocblas_diagonal_iiT3_T4_lilT5_lili.step_sizes:
	.long	8                               ; 0x8
	.long	4                               ; 0x4
	;; [unrolled: 1-line block ×3, first 2 shown]
	.size	__const._ZL30rocblas_trsm_small_left_deviceILi8ELi8ELb0E19rocblas_complex_numIfES1_PKPKS1_PKPS1_Ev13rocblas_fill_18rocblas_operation_17rocblas_diagonal_iiT3_T4_lilT5_lili.step_sizes, 12

	.type	__const._ZL38rocblas_trsm_small_left_device_sharedBILi8ELi8ELb1E19rocblas_complex_numIfES1_PKPKS1_PKPS1_Ev13rocblas_fill_18rocblas_operation_17rocblas_diagonal_iiT3_T4_lilT5_lili.step_sizes,@object ; @__const._ZL38rocblas_trsm_small_left_device_sharedBILi8ELi8ELb1E19rocblas_complex_numIfES1_PKPKS1_PKPS1_Ev13rocblas_fill_18rocblas_operation_17rocblas_diagonal_iiT3_T4_lilT5_lili.step_sizes
	.p2align	2, 0x0
__const._ZL38rocblas_trsm_small_left_device_sharedBILi8ELi8ELb1E19rocblas_complex_numIfES1_PKPKS1_PKPS1_Ev13rocblas_fill_18rocblas_operation_17rocblas_diagonal_iiT3_T4_lilT5_lili.step_sizes:
	.long	8                               ; 0x8
	.long	4                               ; 0x4
	;; [unrolled: 1-line block ×3, first 2 shown]
	.size	__const._ZL38rocblas_trsm_small_left_device_sharedBILi8ELi8ELb1E19rocblas_complex_numIfES1_PKPKS1_PKPS1_Ev13rocblas_fill_18rocblas_operation_17rocblas_diagonal_iiT3_T4_lilT5_lili.step_sizes, 12

	.type	__const._ZL30rocblas_trsm_small_left_deviceILi8ELi8ELb1E19rocblas_complex_numIfES1_PKPKS1_PKPS1_Ev13rocblas_fill_18rocblas_operation_17rocblas_diagonal_iiT3_T4_lilT5_lili.step_sizes,@object ; @__const._ZL30rocblas_trsm_small_left_deviceILi8ELi8ELb1E19rocblas_complex_numIfES1_PKPKS1_PKPS1_Ev13rocblas_fill_18rocblas_operation_17rocblas_diagonal_iiT3_T4_lilT5_lili.step_sizes
	.p2align	2, 0x0
__const._ZL30rocblas_trsm_small_left_deviceILi8ELi8ELb1E19rocblas_complex_numIfES1_PKPKS1_PKPS1_Ev13rocblas_fill_18rocblas_operation_17rocblas_diagonal_iiT3_T4_lilT5_lili.step_sizes:
	.long	8                               ; 0x8
	.long	4                               ; 0x4
	;; [unrolled: 1-line block ×3, first 2 shown]
	.size	__const._ZL30rocblas_trsm_small_left_deviceILi8ELi8ELb1E19rocblas_complex_numIfES1_PKPKS1_PKPS1_Ev13rocblas_fill_18rocblas_operation_17rocblas_diagonal_iiT3_T4_lilT5_lili.step_sizes, 12

	.type	__const._ZL38rocblas_trsm_small_left_device_sharedBILi12ELi12ELb0E19rocblas_complex_numIfES1_PKPKS1_PKPS1_Ev13rocblas_fill_18rocblas_operation_17rocblas_diagonal_iiT3_T4_lilT5_lili.step_sizes,@object ; @__const._ZL38rocblas_trsm_small_left_device_sharedBILi12ELi12ELb0E19rocblas_complex_numIfES1_PKPKS1_PKPS1_Ev13rocblas_fill_18rocblas_operation_17rocblas_diagonal_iiT3_T4_lilT5_lili.step_sizes
	.p2align	2, 0x0
__const._ZL38rocblas_trsm_small_left_device_sharedBILi12ELi12ELb0E19rocblas_complex_numIfES1_PKPKS1_PKPS1_Ev13rocblas_fill_18rocblas_operation_17rocblas_diagonal_iiT3_T4_lilT5_lili.step_sizes:
	.long	12                              ; 0xc
	.long	8                               ; 0x8
	.long	1                               ; 0x1
	.size	__const._ZL38rocblas_trsm_small_left_device_sharedBILi12ELi12ELb0E19rocblas_complex_numIfES1_PKPKS1_PKPS1_Ev13rocblas_fill_18rocblas_operation_17rocblas_diagonal_iiT3_T4_lilT5_lili.step_sizes, 12

	.type	__const._ZL30rocblas_trsm_small_left_deviceILi12ELi12ELb0E19rocblas_complex_numIfES1_PKPKS1_PKPS1_Ev13rocblas_fill_18rocblas_operation_17rocblas_diagonal_iiT3_T4_lilT5_lili.step_sizes,@object ; @__const._ZL30rocblas_trsm_small_left_deviceILi12ELi12ELb0E19rocblas_complex_numIfES1_PKPKS1_PKPS1_Ev13rocblas_fill_18rocblas_operation_17rocblas_diagonal_iiT3_T4_lilT5_lili.step_sizes
	.p2align	2, 0x0
__const._ZL30rocblas_trsm_small_left_deviceILi12ELi12ELb0E19rocblas_complex_numIfES1_PKPKS1_PKPS1_Ev13rocblas_fill_18rocblas_operation_17rocblas_diagonal_iiT3_T4_lilT5_lili.step_sizes:
	.long	12                              ; 0xc
	.long	8                               ; 0x8
	.long	1                               ; 0x1
	.size	__const._ZL30rocblas_trsm_small_left_deviceILi12ELi12ELb0E19rocblas_complex_numIfES1_PKPKS1_PKPS1_Ev13rocblas_fill_18rocblas_operation_17rocblas_diagonal_iiT3_T4_lilT5_lili.step_sizes, 12

	.type	__const._ZL38rocblas_trsm_small_left_device_sharedBILi12ELi12ELb1E19rocblas_complex_numIfES1_PKPKS1_PKPS1_Ev13rocblas_fill_18rocblas_operation_17rocblas_diagonal_iiT3_T4_lilT5_lili.step_sizes,@object ; @__const._ZL38rocblas_trsm_small_left_device_sharedBILi12ELi12ELb1E19rocblas_complex_numIfES1_PKPKS1_PKPS1_Ev13rocblas_fill_18rocblas_operation_17rocblas_diagonal_iiT3_T4_lilT5_lili.step_sizes
	.p2align	2, 0x0
__const._ZL38rocblas_trsm_small_left_device_sharedBILi12ELi12ELb1E19rocblas_complex_numIfES1_PKPKS1_PKPS1_Ev13rocblas_fill_18rocblas_operation_17rocblas_diagonal_iiT3_T4_lilT5_lili.step_sizes:
	.long	12                              ; 0xc
	.long	8                               ; 0x8
	.long	1                               ; 0x1
	.size	__const._ZL38rocblas_trsm_small_left_device_sharedBILi12ELi12ELb1E19rocblas_complex_numIfES1_PKPKS1_PKPS1_Ev13rocblas_fill_18rocblas_operation_17rocblas_diagonal_iiT3_T4_lilT5_lili.step_sizes, 12

	.type	__const._ZL30rocblas_trsm_small_left_deviceILi12ELi12ELb1E19rocblas_complex_numIfES1_PKPKS1_PKPS1_Ev13rocblas_fill_18rocblas_operation_17rocblas_diagonal_iiT3_T4_lilT5_lili.step_sizes,@object ; @__const._ZL30rocblas_trsm_small_left_deviceILi12ELi12ELb1E19rocblas_complex_numIfES1_PKPKS1_PKPS1_Ev13rocblas_fill_18rocblas_operation_17rocblas_diagonal_iiT3_T4_lilT5_lili.step_sizes
	.p2align	2, 0x0
__const._ZL30rocblas_trsm_small_left_deviceILi12ELi12ELb1E19rocblas_complex_numIfES1_PKPKS1_PKPS1_Ev13rocblas_fill_18rocblas_operation_17rocblas_diagonal_iiT3_T4_lilT5_lili.step_sizes:
	.long	12                              ; 0xc
	.long	8                               ; 0x8
	.long	1                               ; 0x1
	.size	__const._ZL30rocblas_trsm_small_left_deviceILi12ELi12ELb1E19rocblas_complex_numIfES1_PKPKS1_PKPS1_Ev13rocblas_fill_18rocblas_operation_17rocblas_diagonal_iiT3_T4_lilT5_lili.step_sizes, 12

	.type	__const._ZL38rocblas_trsm_small_left_device_sharedBILi16ELi16ELb0E19rocblas_complex_numIfES1_PKPKS1_PKPS1_Ev13rocblas_fill_18rocblas_operation_17rocblas_diagonal_iiT3_T4_lilT5_lili.step_sizes,@object ; @__const._ZL38rocblas_trsm_small_left_device_sharedBILi16ELi16ELb0E19rocblas_complex_numIfES1_PKPKS1_PKPS1_Ev13rocblas_fill_18rocblas_operation_17rocblas_diagonal_iiT3_T4_lilT5_lili.step_sizes
	.p2align	2, 0x0
__const._ZL38rocblas_trsm_small_left_device_sharedBILi16ELi16ELb0E19rocblas_complex_numIfES1_PKPKS1_PKPS1_Ev13rocblas_fill_18rocblas_operation_17rocblas_diagonal_iiT3_T4_lilT5_lili.step_sizes:
	.long	16                              ; 0x10
	.long	12                              ; 0xc
	.long	1                               ; 0x1
	.size	__const._ZL38rocblas_trsm_small_left_device_sharedBILi16ELi16ELb0E19rocblas_complex_numIfES1_PKPKS1_PKPS1_Ev13rocblas_fill_18rocblas_operation_17rocblas_diagonal_iiT3_T4_lilT5_lili.step_sizes, 12

	.type	__const._ZL30rocblas_trsm_small_left_deviceILi16ELi16ELb0E19rocblas_complex_numIfES1_PKPKS1_PKPS1_Ev13rocblas_fill_18rocblas_operation_17rocblas_diagonal_iiT3_T4_lilT5_lili.step_sizes,@object ; @__const._ZL30rocblas_trsm_small_left_deviceILi16ELi16ELb0E19rocblas_complex_numIfES1_PKPKS1_PKPS1_Ev13rocblas_fill_18rocblas_operation_17rocblas_diagonal_iiT3_T4_lilT5_lili.step_sizes
	.p2align	2, 0x0
__const._ZL30rocblas_trsm_small_left_deviceILi16ELi16ELb0E19rocblas_complex_numIfES1_PKPKS1_PKPS1_Ev13rocblas_fill_18rocblas_operation_17rocblas_diagonal_iiT3_T4_lilT5_lili.step_sizes:
	.long	16                              ; 0x10
	.long	12                              ; 0xc
	.long	1                               ; 0x1
	.size	__const._ZL30rocblas_trsm_small_left_deviceILi16ELi16ELb0E19rocblas_complex_numIfES1_PKPKS1_PKPS1_Ev13rocblas_fill_18rocblas_operation_17rocblas_diagonal_iiT3_T4_lilT5_lili.step_sizes, 12

	.type	__const._ZL38rocblas_trsm_small_left_device_sharedBILi16ELi16ELb1E19rocblas_complex_numIfES1_PKPKS1_PKPS1_Ev13rocblas_fill_18rocblas_operation_17rocblas_diagonal_iiT3_T4_lilT5_lili.step_sizes,@object ; @__const._ZL38rocblas_trsm_small_left_device_sharedBILi16ELi16ELb1E19rocblas_complex_numIfES1_PKPKS1_PKPS1_Ev13rocblas_fill_18rocblas_operation_17rocblas_diagonal_iiT3_T4_lilT5_lili.step_sizes
	.p2align	2, 0x0
__const._ZL38rocblas_trsm_small_left_device_sharedBILi16ELi16ELb1E19rocblas_complex_numIfES1_PKPKS1_PKPS1_Ev13rocblas_fill_18rocblas_operation_17rocblas_diagonal_iiT3_T4_lilT5_lili.step_sizes:
	.long	16                              ; 0x10
	.long	12                              ; 0xc
	.long	1                               ; 0x1
	.size	__const._ZL38rocblas_trsm_small_left_device_sharedBILi16ELi16ELb1E19rocblas_complex_numIfES1_PKPKS1_PKPS1_Ev13rocblas_fill_18rocblas_operation_17rocblas_diagonal_iiT3_T4_lilT5_lili.step_sizes, 12

	.type	__const._ZL30rocblas_trsm_small_left_deviceILi16ELi16ELb1E19rocblas_complex_numIfES1_PKPKS1_PKPS1_Ev13rocblas_fill_18rocblas_operation_17rocblas_diagonal_iiT3_T4_lilT5_lili.step_sizes,@object ; @__const._ZL30rocblas_trsm_small_left_deviceILi16ELi16ELb1E19rocblas_complex_numIfES1_PKPKS1_PKPS1_Ev13rocblas_fill_18rocblas_operation_17rocblas_diagonal_iiT3_T4_lilT5_lili.step_sizes
	.p2align	2, 0x0
__const._ZL30rocblas_trsm_small_left_deviceILi16ELi16ELb1E19rocblas_complex_numIfES1_PKPKS1_PKPS1_Ev13rocblas_fill_18rocblas_operation_17rocblas_diagonal_iiT3_T4_lilT5_lili.step_sizes:
	.long	16                              ; 0x10
	.long	12                              ; 0xc
	.long	1                               ; 0x1
	.size	__const._ZL30rocblas_trsm_small_left_deviceILi16ELi16ELb1E19rocblas_complex_numIfES1_PKPKS1_PKPS1_Ev13rocblas_fill_18rocblas_operation_17rocblas_diagonal_iiT3_T4_lilT5_lili.step_sizes, 12

	.type	__const._ZL38rocblas_trsm_small_left_device_sharedBILi20ELi20ELb0E19rocblas_complex_numIfES1_PKPKS1_PKPS1_Ev13rocblas_fill_18rocblas_operation_17rocblas_diagonal_iiT3_T4_lilT5_lili.step_sizes,@object ; @__const._ZL38rocblas_trsm_small_left_device_sharedBILi20ELi20ELb0E19rocblas_complex_numIfES1_PKPKS1_PKPS1_Ev13rocblas_fill_18rocblas_operation_17rocblas_diagonal_iiT3_T4_lilT5_lili.step_sizes
	.p2align	2, 0x0
__const._ZL38rocblas_trsm_small_left_device_sharedBILi20ELi20ELb0E19rocblas_complex_numIfES1_PKPKS1_PKPS1_Ev13rocblas_fill_18rocblas_operation_17rocblas_diagonal_iiT3_T4_lilT5_lili.step_sizes:
	.long	20                              ; 0x14
	.long	16                              ; 0x10
	.long	1                               ; 0x1
	.size	__const._ZL38rocblas_trsm_small_left_device_sharedBILi20ELi20ELb0E19rocblas_complex_numIfES1_PKPKS1_PKPS1_Ev13rocblas_fill_18rocblas_operation_17rocblas_diagonal_iiT3_T4_lilT5_lili.step_sizes, 12

	.type	__const._ZL30rocblas_trsm_small_left_deviceILi20ELi20ELb0E19rocblas_complex_numIfES1_PKPKS1_PKPS1_Ev13rocblas_fill_18rocblas_operation_17rocblas_diagonal_iiT3_T4_lilT5_lili.step_sizes,@object ; @__const._ZL30rocblas_trsm_small_left_deviceILi20ELi20ELb0E19rocblas_complex_numIfES1_PKPKS1_PKPS1_Ev13rocblas_fill_18rocblas_operation_17rocblas_diagonal_iiT3_T4_lilT5_lili.step_sizes
	.p2align	2, 0x0
__const._ZL30rocblas_trsm_small_left_deviceILi20ELi20ELb0E19rocblas_complex_numIfES1_PKPKS1_PKPS1_Ev13rocblas_fill_18rocblas_operation_17rocblas_diagonal_iiT3_T4_lilT5_lili.step_sizes:
	.long	20                              ; 0x14
	.long	16                              ; 0x10
	.long	1                               ; 0x1
	.size	__const._ZL30rocblas_trsm_small_left_deviceILi20ELi20ELb0E19rocblas_complex_numIfES1_PKPKS1_PKPS1_Ev13rocblas_fill_18rocblas_operation_17rocblas_diagonal_iiT3_T4_lilT5_lili.step_sizes, 12

	.type	__const._ZL38rocblas_trsm_small_left_device_sharedBILi20ELi20ELb1E19rocblas_complex_numIfES1_PKPKS1_PKPS1_Ev13rocblas_fill_18rocblas_operation_17rocblas_diagonal_iiT3_T4_lilT5_lili.step_sizes,@object ; @__const._ZL38rocblas_trsm_small_left_device_sharedBILi20ELi20ELb1E19rocblas_complex_numIfES1_PKPKS1_PKPS1_Ev13rocblas_fill_18rocblas_operation_17rocblas_diagonal_iiT3_T4_lilT5_lili.step_sizes
	.p2align	2, 0x0
__const._ZL38rocblas_trsm_small_left_device_sharedBILi20ELi20ELb1E19rocblas_complex_numIfES1_PKPKS1_PKPS1_Ev13rocblas_fill_18rocblas_operation_17rocblas_diagonal_iiT3_T4_lilT5_lili.step_sizes:
	.long	20                              ; 0x14
	.long	16                              ; 0x10
	.long	1                               ; 0x1
	.size	__const._ZL38rocblas_trsm_small_left_device_sharedBILi20ELi20ELb1E19rocblas_complex_numIfES1_PKPKS1_PKPS1_Ev13rocblas_fill_18rocblas_operation_17rocblas_diagonal_iiT3_T4_lilT5_lili.step_sizes, 12

	.type	__const._ZL30rocblas_trsm_small_left_deviceILi20ELi20ELb1E19rocblas_complex_numIfES1_PKPKS1_PKPS1_Ev13rocblas_fill_18rocblas_operation_17rocblas_diagonal_iiT3_T4_lilT5_lili.step_sizes,@object ; @__const._ZL30rocblas_trsm_small_left_deviceILi20ELi20ELb1E19rocblas_complex_numIfES1_PKPKS1_PKPS1_Ev13rocblas_fill_18rocblas_operation_17rocblas_diagonal_iiT3_T4_lilT5_lili.step_sizes
	.p2align	2, 0x0
__const._ZL30rocblas_trsm_small_left_deviceILi20ELi20ELb1E19rocblas_complex_numIfES1_PKPKS1_PKPS1_Ev13rocblas_fill_18rocblas_operation_17rocblas_diagonal_iiT3_T4_lilT5_lili.step_sizes:
	.long	20                              ; 0x14
	.long	16                              ; 0x10
	.long	1                               ; 0x1
	.size	__const._ZL30rocblas_trsm_small_left_deviceILi20ELi20ELb1E19rocblas_complex_numIfES1_PKPKS1_PKPS1_Ev13rocblas_fill_18rocblas_operation_17rocblas_diagonal_iiT3_T4_lilT5_lili.step_sizes, 12

	.type	__const._ZL38rocblas_trsm_small_left_device_sharedBILi24ELi24ELb0E19rocblas_complex_numIfES1_PKPKS1_PKPS1_Ev13rocblas_fill_18rocblas_operation_17rocblas_diagonal_iiT3_T4_lilT5_lili.step_sizes,@object ; @__const._ZL38rocblas_trsm_small_left_device_sharedBILi24ELi24ELb0E19rocblas_complex_numIfES1_PKPKS1_PKPS1_Ev13rocblas_fill_18rocblas_operation_17rocblas_diagonal_iiT3_T4_lilT5_lili.step_sizes
	.p2align	2, 0x0
__const._ZL38rocblas_trsm_small_left_device_sharedBILi24ELi24ELb0E19rocblas_complex_numIfES1_PKPKS1_PKPS1_Ev13rocblas_fill_18rocblas_operation_17rocblas_diagonal_iiT3_T4_lilT5_lili.step_sizes:
	.long	24                              ; 0x18
	.long	20                              ; 0x14
	.long	1                               ; 0x1
	.size	__const._ZL38rocblas_trsm_small_left_device_sharedBILi24ELi24ELb0E19rocblas_complex_numIfES1_PKPKS1_PKPS1_Ev13rocblas_fill_18rocblas_operation_17rocblas_diagonal_iiT3_T4_lilT5_lili.step_sizes, 12

	.type	__const._ZL30rocblas_trsm_small_left_deviceILi24ELi24ELb0E19rocblas_complex_numIfES1_PKPKS1_PKPS1_Ev13rocblas_fill_18rocblas_operation_17rocblas_diagonal_iiT3_T4_lilT5_lili.step_sizes,@object ; @__const._ZL30rocblas_trsm_small_left_deviceILi24ELi24ELb0E19rocblas_complex_numIfES1_PKPKS1_PKPS1_Ev13rocblas_fill_18rocblas_operation_17rocblas_diagonal_iiT3_T4_lilT5_lili.step_sizes
	.p2align	2, 0x0
__const._ZL30rocblas_trsm_small_left_deviceILi24ELi24ELb0E19rocblas_complex_numIfES1_PKPKS1_PKPS1_Ev13rocblas_fill_18rocblas_operation_17rocblas_diagonal_iiT3_T4_lilT5_lili.step_sizes:
	.long	24                              ; 0x18
	.long	20                              ; 0x14
	.long	1                               ; 0x1
	.size	__const._ZL30rocblas_trsm_small_left_deviceILi24ELi24ELb0E19rocblas_complex_numIfES1_PKPKS1_PKPS1_Ev13rocblas_fill_18rocblas_operation_17rocblas_diagonal_iiT3_T4_lilT5_lili.step_sizes, 12

	.type	__const._ZL38rocblas_trsm_small_left_device_sharedBILi24ELi24ELb1E19rocblas_complex_numIfES1_PKPKS1_PKPS1_Ev13rocblas_fill_18rocblas_operation_17rocblas_diagonal_iiT3_T4_lilT5_lili.step_sizes,@object ; @__const._ZL38rocblas_trsm_small_left_device_sharedBILi24ELi24ELb1E19rocblas_complex_numIfES1_PKPKS1_PKPS1_Ev13rocblas_fill_18rocblas_operation_17rocblas_diagonal_iiT3_T4_lilT5_lili.step_sizes
	.p2align	2, 0x0
__const._ZL38rocblas_trsm_small_left_device_sharedBILi24ELi24ELb1E19rocblas_complex_numIfES1_PKPKS1_PKPS1_Ev13rocblas_fill_18rocblas_operation_17rocblas_diagonal_iiT3_T4_lilT5_lili.step_sizes:
	.long	24                              ; 0x18
	.long	20                              ; 0x14
	.long	1                               ; 0x1
	.size	__const._ZL38rocblas_trsm_small_left_device_sharedBILi24ELi24ELb1E19rocblas_complex_numIfES1_PKPKS1_PKPS1_Ev13rocblas_fill_18rocblas_operation_17rocblas_diagonal_iiT3_T4_lilT5_lili.step_sizes, 12

	.type	__const._ZL30rocblas_trsm_small_left_deviceILi24ELi24ELb1E19rocblas_complex_numIfES1_PKPKS1_PKPS1_Ev13rocblas_fill_18rocblas_operation_17rocblas_diagonal_iiT3_T4_lilT5_lili.step_sizes,@object ; @__const._ZL30rocblas_trsm_small_left_deviceILi24ELi24ELb1E19rocblas_complex_numIfES1_PKPKS1_PKPS1_Ev13rocblas_fill_18rocblas_operation_17rocblas_diagonal_iiT3_T4_lilT5_lili.step_sizes
	.p2align	2, 0x0
__const._ZL30rocblas_trsm_small_left_deviceILi24ELi24ELb1E19rocblas_complex_numIfES1_PKPKS1_PKPS1_Ev13rocblas_fill_18rocblas_operation_17rocblas_diagonal_iiT3_T4_lilT5_lili.step_sizes:
	.long	24                              ; 0x18
	.long	20                              ; 0x14
	.long	1                               ; 0x1
	.size	__const._ZL30rocblas_trsm_small_left_deviceILi24ELi24ELb1E19rocblas_complex_numIfES1_PKPKS1_PKPS1_Ev13rocblas_fill_18rocblas_operation_17rocblas_diagonal_iiT3_T4_lilT5_lili.step_sizes, 12

	.type	__const._ZL38rocblas_trsm_small_left_device_sharedBILi28ELi28ELb0E19rocblas_complex_numIfES1_PKPKS1_PKPS1_Ev13rocblas_fill_18rocblas_operation_17rocblas_diagonal_iiT3_T4_lilT5_lili.step_sizes,@object ; @__const._ZL38rocblas_trsm_small_left_device_sharedBILi28ELi28ELb0E19rocblas_complex_numIfES1_PKPKS1_PKPS1_Ev13rocblas_fill_18rocblas_operation_17rocblas_diagonal_iiT3_T4_lilT5_lili.step_sizes
	.p2align	2, 0x0
__const._ZL38rocblas_trsm_small_left_device_sharedBILi28ELi28ELb0E19rocblas_complex_numIfES1_PKPKS1_PKPS1_Ev13rocblas_fill_18rocblas_operation_17rocblas_diagonal_iiT3_T4_lilT5_lili.step_sizes:
	.long	28                              ; 0x1c
	.long	24                              ; 0x18
	.long	1                               ; 0x1
	.size	__const._ZL38rocblas_trsm_small_left_device_sharedBILi28ELi28ELb0E19rocblas_complex_numIfES1_PKPKS1_PKPS1_Ev13rocblas_fill_18rocblas_operation_17rocblas_diagonal_iiT3_T4_lilT5_lili.step_sizes, 12

	.type	__const._ZL30rocblas_trsm_small_left_deviceILi28ELi28ELb0E19rocblas_complex_numIfES1_PKPKS1_PKPS1_Ev13rocblas_fill_18rocblas_operation_17rocblas_diagonal_iiT3_T4_lilT5_lili.step_sizes,@object ; @__const._ZL30rocblas_trsm_small_left_deviceILi28ELi28ELb0E19rocblas_complex_numIfES1_PKPKS1_PKPS1_Ev13rocblas_fill_18rocblas_operation_17rocblas_diagonal_iiT3_T4_lilT5_lili.step_sizes
	.p2align	2, 0x0
__const._ZL30rocblas_trsm_small_left_deviceILi28ELi28ELb0E19rocblas_complex_numIfES1_PKPKS1_PKPS1_Ev13rocblas_fill_18rocblas_operation_17rocblas_diagonal_iiT3_T4_lilT5_lili.step_sizes:
	.long	28                              ; 0x1c
	.long	24                              ; 0x18
	.long	1                               ; 0x1
	.size	__const._ZL30rocblas_trsm_small_left_deviceILi28ELi28ELb0E19rocblas_complex_numIfES1_PKPKS1_PKPS1_Ev13rocblas_fill_18rocblas_operation_17rocblas_diagonal_iiT3_T4_lilT5_lili.step_sizes, 12

	.type	__const._ZL38rocblas_trsm_small_left_device_sharedBILi28ELi28ELb1E19rocblas_complex_numIfES1_PKPKS1_PKPS1_Ev13rocblas_fill_18rocblas_operation_17rocblas_diagonal_iiT3_T4_lilT5_lili.step_sizes,@object ; @__const._ZL38rocblas_trsm_small_left_device_sharedBILi28ELi28ELb1E19rocblas_complex_numIfES1_PKPKS1_PKPS1_Ev13rocblas_fill_18rocblas_operation_17rocblas_diagonal_iiT3_T4_lilT5_lili.step_sizes
	.p2align	2, 0x0
__const._ZL38rocblas_trsm_small_left_device_sharedBILi28ELi28ELb1E19rocblas_complex_numIfES1_PKPKS1_PKPS1_Ev13rocblas_fill_18rocblas_operation_17rocblas_diagonal_iiT3_T4_lilT5_lili.step_sizes:
	.long	28                              ; 0x1c
	.long	24                              ; 0x18
	.long	1                               ; 0x1
	.size	__const._ZL38rocblas_trsm_small_left_device_sharedBILi28ELi28ELb1E19rocblas_complex_numIfES1_PKPKS1_PKPS1_Ev13rocblas_fill_18rocblas_operation_17rocblas_diagonal_iiT3_T4_lilT5_lili.step_sizes, 12

	.type	__const._ZL30rocblas_trsm_small_left_deviceILi28ELi28ELb1E19rocblas_complex_numIfES1_PKPKS1_PKPS1_Ev13rocblas_fill_18rocblas_operation_17rocblas_diagonal_iiT3_T4_lilT5_lili.step_sizes,@object ; @__const._ZL30rocblas_trsm_small_left_deviceILi28ELi28ELb1E19rocblas_complex_numIfES1_PKPKS1_PKPS1_Ev13rocblas_fill_18rocblas_operation_17rocblas_diagonal_iiT3_T4_lilT5_lili.step_sizes
	.p2align	2, 0x0
__const._ZL30rocblas_trsm_small_left_deviceILi28ELi28ELb1E19rocblas_complex_numIfES1_PKPKS1_PKPS1_Ev13rocblas_fill_18rocblas_operation_17rocblas_diagonal_iiT3_T4_lilT5_lili.step_sizes:
	.long	28                              ; 0x1c
	.long	24                              ; 0x18
	.long	1                               ; 0x1
	.size	__const._ZL30rocblas_trsm_small_left_deviceILi28ELi28ELb1E19rocblas_complex_numIfES1_PKPKS1_PKPS1_Ev13rocblas_fill_18rocblas_operation_17rocblas_diagonal_iiT3_T4_lilT5_lili.step_sizes, 12

	.type	__const._ZL38rocblas_trsm_small_left_device_sharedBILi32ELi32ELb0E19rocblas_complex_numIfES1_PKPKS1_PKPS1_Ev13rocblas_fill_18rocblas_operation_17rocblas_diagonal_iiT3_T4_lilT5_lili.step_sizes,@object ; @__const._ZL38rocblas_trsm_small_left_device_sharedBILi32ELi32ELb0E19rocblas_complex_numIfES1_PKPKS1_PKPS1_Ev13rocblas_fill_18rocblas_operation_17rocblas_diagonal_iiT3_T4_lilT5_lili.step_sizes
	.p2align	2, 0x0
__const._ZL38rocblas_trsm_small_left_device_sharedBILi32ELi32ELb0E19rocblas_complex_numIfES1_PKPKS1_PKPS1_Ev13rocblas_fill_18rocblas_operation_17rocblas_diagonal_iiT3_T4_lilT5_lili.step_sizes:
	.long	32                              ; 0x20
	.long	28                              ; 0x1c
	.long	1                               ; 0x1
	.size	__const._ZL38rocblas_trsm_small_left_device_sharedBILi32ELi32ELb0E19rocblas_complex_numIfES1_PKPKS1_PKPS1_Ev13rocblas_fill_18rocblas_operation_17rocblas_diagonal_iiT3_T4_lilT5_lili.step_sizes, 12

	.type	__const._ZL30rocblas_trsm_small_left_deviceILi32ELi32ELb0E19rocblas_complex_numIfES1_PKPKS1_PKPS1_Ev13rocblas_fill_18rocblas_operation_17rocblas_diagonal_iiT3_T4_lilT5_lili.step_sizes,@object ; @__const._ZL30rocblas_trsm_small_left_deviceILi32ELi32ELb0E19rocblas_complex_numIfES1_PKPKS1_PKPS1_Ev13rocblas_fill_18rocblas_operation_17rocblas_diagonal_iiT3_T4_lilT5_lili.step_sizes
	.p2align	2, 0x0
__const._ZL30rocblas_trsm_small_left_deviceILi32ELi32ELb0E19rocblas_complex_numIfES1_PKPKS1_PKPS1_Ev13rocblas_fill_18rocblas_operation_17rocblas_diagonal_iiT3_T4_lilT5_lili.step_sizes:
	.long	32                              ; 0x20
	.long	28                              ; 0x1c
	.long	1                               ; 0x1
	.size	__const._ZL30rocblas_trsm_small_left_deviceILi32ELi32ELb0E19rocblas_complex_numIfES1_PKPKS1_PKPS1_Ev13rocblas_fill_18rocblas_operation_17rocblas_diagonal_iiT3_T4_lilT5_lili.step_sizes, 12

	.type	__const._ZL38rocblas_trsm_small_left_device_sharedBILi32ELi32ELb1E19rocblas_complex_numIfES1_PKPKS1_PKPS1_Ev13rocblas_fill_18rocblas_operation_17rocblas_diagonal_iiT3_T4_lilT5_lili.step_sizes,@object ; @__const._ZL38rocblas_trsm_small_left_device_sharedBILi32ELi32ELb1E19rocblas_complex_numIfES1_PKPKS1_PKPS1_Ev13rocblas_fill_18rocblas_operation_17rocblas_diagonal_iiT3_T4_lilT5_lili.step_sizes
	.p2align	2, 0x0
__const._ZL38rocblas_trsm_small_left_device_sharedBILi32ELi32ELb1E19rocblas_complex_numIfES1_PKPKS1_PKPS1_Ev13rocblas_fill_18rocblas_operation_17rocblas_diagonal_iiT3_T4_lilT5_lili.step_sizes:
	.long	32                              ; 0x20
	.long	28                              ; 0x1c
	.long	1                               ; 0x1
	.size	__const._ZL38rocblas_trsm_small_left_device_sharedBILi32ELi32ELb1E19rocblas_complex_numIfES1_PKPKS1_PKPS1_Ev13rocblas_fill_18rocblas_operation_17rocblas_diagonal_iiT3_T4_lilT5_lili.step_sizes, 12

	.type	__const._ZL30rocblas_trsm_small_left_deviceILi32ELi32ELb1E19rocblas_complex_numIfES1_PKPKS1_PKPS1_Ev13rocblas_fill_18rocblas_operation_17rocblas_diagonal_iiT3_T4_lilT5_lili.step_sizes,@object ; @__const._ZL30rocblas_trsm_small_left_deviceILi32ELi32ELb1E19rocblas_complex_numIfES1_PKPKS1_PKPS1_Ev13rocblas_fill_18rocblas_operation_17rocblas_diagonal_iiT3_T4_lilT5_lili.step_sizes
	.p2align	2, 0x0
__const._ZL30rocblas_trsm_small_left_deviceILi32ELi32ELb1E19rocblas_complex_numIfES1_PKPKS1_PKPS1_Ev13rocblas_fill_18rocblas_operation_17rocblas_diagonal_iiT3_T4_lilT5_lili.step_sizes:
	.long	32                              ; 0x20
	.long	28                              ; 0x1c
	.long	1                               ; 0x1
	.size	__const._ZL30rocblas_trsm_small_left_deviceILi32ELi32ELb1E19rocblas_complex_numIfES1_PKPKS1_PKPS1_Ev13rocblas_fill_18rocblas_operation_17rocblas_diagonal_iiT3_T4_lilT5_lili.step_sizes, 12

	.type	__const._ZL38rocblas_trsm_small_left_device_sharedBILi64ELi32ELb0E19rocblas_complex_numIfES1_PKPKS1_PKPS1_Ev13rocblas_fill_18rocblas_operation_17rocblas_diagonal_iiT3_T4_lilT5_lili.step_sizes,@object ; @__const._ZL38rocblas_trsm_small_left_device_sharedBILi64ELi32ELb0E19rocblas_complex_numIfES1_PKPKS1_PKPS1_Ev13rocblas_fill_18rocblas_operation_17rocblas_diagonal_iiT3_T4_lilT5_lili.step_sizes
	.p2align	2, 0x0
__const._ZL38rocblas_trsm_small_left_device_sharedBILi64ELi32ELb0E19rocblas_complex_numIfES1_PKPKS1_PKPS1_Ev13rocblas_fill_18rocblas_operation_17rocblas_diagonal_iiT3_T4_lilT5_lili.step_sizes:
	.long	32                              ; 0x20
	.long	4                               ; 0x4
	.long	1                               ; 0x1
	.size	__const._ZL38rocblas_trsm_small_left_device_sharedBILi64ELi32ELb0E19rocblas_complex_numIfES1_PKPKS1_PKPS1_Ev13rocblas_fill_18rocblas_operation_17rocblas_diagonal_iiT3_T4_lilT5_lili.step_sizes, 12

	.type	__const._ZL30rocblas_trsm_small_left_deviceILi64ELi32ELb0E19rocblas_complex_numIfES1_PKPKS1_PKPS1_Ev13rocblas_fill_18rocblas_operation_17rocblas_diagonal_iiT3_T4_lilT5_lili.step_sizes,@object ; @__const._ZL30rocblas_trsm_small_left_deviceILi64ELi32ELb0E19rocblas_complex_numIfES1_PKPKS1_PKPS1_Ev13rocblas_fill_18rocblas_operation_17rocblas_diagonal_iiT3_T4_lilT5_lili.step_sizes
	.p2align	2, 0x0
__const._ZL30rocblas_trsm_small_left_deviceILi64ELi32ELb0E19rocblas_complex_numIfES1_PKPKS1_PKPS1_Ev13rocblas_fill_18rocblas_operation_17rocblas_diagonal_iiT3_T4_lilT5_lili.step_sizes:
	.long	32                              ; 0x20
	.long	4                               ; 0x4
	.long	1                               ; 0x1
	.size	__const._ZL30rocblas_trsm_small_left_deviceILi64ELi32ELb0E19rocblas_complex_numIfES1_PKPKS1_PKPS1_Ev13rocblas_fill_18rocblas_operation_17rocblas_diagonal_iiT3_T4_lilT5_lili.step_sizes, 12

	.type	__const._ZL38rocblas_trsm_small_left_device_sharedBILi64ELi32ELb1E19rocblas_complex_numIfES1_PKPKS1_PKPS1_Ev13rocblas_fill_18rocblas_operation_17rocblas_diagonal_iiT3_T4_lilT5_lili.step_sizes,@object ; @__const._ZL38rocblas_trsm_small_left_device_sharedBILi64ELi32ELb1E19rocblas_complex_numIfES1_PKPKS1_PKPS1_Ev13rocblas_fill_18rocblas_operation_17rocblas_diagonal_iiT3_T4_lilT5_lili.step_sizes
	.p2align	2, 0x0
__const._ZL38rocblas_trsm_small_left_device_sharedBILi64ELi32ELb1E19rocblas_complex_numIfES1_PKPKS1_PKPS1_Ev13rocblas_fill_18rocblas_operation_17rocblas_diagonal_iiT3_T4_lilT5_lili.step_sizes:
	.long	32                              ; 0x20
	.long	4                               ; 0x4
	.long	1                               ; 0x1
	.size	__const._ZL38rocblas_trsm_small_left_device_sharedBILi64ELi32ELb1E19rocblas_complex_numIfES1_PKPKS1_PKPS1_Ev13rocblas_fill_18rocblas_operation_17rocblas_diagonal_iiT3_T4_lilT5_lili.step_sizes, 12

	.type	__const._ZL30rocblas_trsm_small_left_deviceILi64ELi32ELb1E19rocblas_complex_numIfES1_PKPKS1_PKPS1_Ev13rocblas_fill_18rocblas_operation_17rocblas_diagonal_iiT3_T4_lilT5_lili.step_sizes,@object ; @__const._ZL30rocblas_trsm_small_left_deviceILi64ELi32ELb1E19rocblas_complex_numIfES1_PKPKS1_PKPS1_Ev13rocblas_fill_18rocblas_operation_17rocblas_diagonal_iiT3_T4_lilT5_lili.step_sizes
	.p2align	2, 0x0
__const._ZL30rocblas_trsm_small_left_deviceILi64ELi32ELb1E19rocblas_complex_numIfES1_PKPKS1_PKPS1_Ev13rocblas_fill_18rocblas_operation_17rocblas_diagonal_iiT3_T4_lilT5_lili.step_sizes:
	.long	32                              ; 0x20
	.long	4                               ; 0x4
	.long	1                               ; 0x1
	.size	__const._ZL30rocblas_trsm_small_left_deviceILi64ELi32ELb1E19rocblas_complex_numIfES1_PKPKS1_PKPS1_Ev13rocblas_fill_18rocblas_operation_17rocblas_diagonal_iiT3_T4_lilT5_lili.step_sizes, 12

	.type	__const._ZL38rocblas_trsm_small_left_device_sharedBILi4ELi4ELb0E19rocblas_complex_numIdES1_PKPKS1_PKPS1_Ev13rocblas_fill_18rocblas_operation_17rocblas_diagonal_iiT3_T4_lilT5_lili.step_sizes,@object ; @__const._ZL38rocblas_trsm_small_left_device_sharedBILi4ELi4ELb0E19rocblas_complex_numIdES1_PKPKS1_PKPS1_Ev13rocblas_fill_18rocblas_operation_17rocblas_diagonal_iiT3_T4_lilT5_lili.step_sizes
	.p2align	2, 0x0
__const._ZL38rocblas_trsm_small_left_device_sharedBILi4ELi4ELb0E19rocblas_complex_numIdES1_PKPKS1_PKPS1_Ev13rocblas_fill_18rocblas_operation_17rocblas_diagonal_iiT3_T4_lilT5_lili.step_sizes:
	.long	4                               ; 0x4
	.long	1                               ; 0x1
	;; [unrolled: 1-line block ×3, first 2 shown]
	.size	__const._ZL38rocblas_trsm_small_left_device_sharedBILi4ELi4ELb0E19rocblas_complex_numIdES1_PKPKS1_PKPS1_Ev13rocblas_fill_18rocblas_operation_17rocblas_diagonal_iiT3_T4_lilT5_lili.step_sizes, 12

	.type	__const._ZL30rocblas_trsm_small_left_deviceILi4ELi4ELb0E19rocblas_complex_numIdES1_PKPKS1_PKPS1_Ev13rocblas_fill_18rocblas_operation_17rocblas_diagonal_iiT3_T4_lilT5_lili.step_sizes,@object ; @__const._ZL30rocblas_trsm_small_left_deviceILi4ELi4ELb0E19rocblas_complex_numIdES1_PKPKS1_PKPS1_Ev13rocblas_fill_18rocblas_operation_17rocblas_diagonal_iiT3_T4_lilT5_lili.step_sizes
	.p2align	2, 0x0
__const._ZL30rocblas_trsm_small_left_deviceILi4ELi4ELb0E19rocblas_complex_numIdES1_PKPKS1_PKPS1_Ev13rocblas_fill_18rocblas_operation_17rocblas_diagonal_iiT3_T4_lilT5_lili.step_sizes:
	.long	4                               ; 0x4
	.long	1                               ; 0x1
	;; [unrolled: 1-line block ×3, first 2 shown]
	.size	__const._ZL30rocblas_trsm_small_left_deviceILi4ELi4ELb0E19rocblas_complex_numIdES1_PKPKS1_PKPS1_Ev13rocblas_fill_18rocblas_operation_17rocblas_diagonal_iiT3_T4_lilT5_lili.step_sizes, 12

	.type	__const._ZL38rocblas_trsm_small_left_device_sharedBILi4ELi4ELb1E19rocblas_complex_numIdES1_PKPKS1_PKPS1_Ev13rocblas_fill_18rocblas_operation_17rocblas_diagonal_iiT3_T4_lilT5_lili.step_sizes,@object ; @__const._ZL38rocblas_trsm_small_left_device_sharedBILi4ELi4ELb1E19rocblas_complex_numIdES1_PKPKS1_PKPS1_Ev13rocblas_fill_18rocblas_operation_17rocblas_diagonal_iiT3_T4_lilT5_lili.step_sizes
	.p2align	2, 0x0
__const._ZL38rocblas_trsm_small_left_device_sharedBILi4ELi4ELb1E19rocblas_complex_numIdES1_PKPKS1_PKPS1_Ev13rocblas_fill_18rocblas_operation_17rocblas_diagonal_iiT3_T4_lilT5_lili.step_sizes:
	.long	4                               ; 0x4
	.long	1                               ; 0x1
	;; [unrolled: 1-line block ×3, first 2 shown]
	.size	__const._ZL38rocblas_trsm_small_left_device_sharedBILi4ELi4ELb1E19rocblas_complex_numIdES1_PKPKS1_PKPS1_Ev13rocblas_fill_18rocblas_operation_17rocblas_diagonal_iiT3_T4_lilT5_lili.step_sizes, 12

	.type	__const._ZL30rocblas_trsm_small_left_deviceILi4ELi4ELb1E19rocblas_complex_numIdES1_PKPKS1_PKPS1_Ev13rocblas_fill_18rocblas_operation_17rocblas_diagonal_iiT3_T4_lilT5_lili.step_sizes,@object ; @__const._ZL30rocblas_trsm_small_left_deviceILi4ELi4ELb1E19rocblas_complex_numIdES1_PKPKS1_PKPS1_Ev13rocblas_fill_18rocblas_operation_17rocblas_diagonal_iiT3_T4_lilT5_lili.step_sizes
	.p2align	2, 0x0
__const._ZL30rocblas_trsm_small_left_deviceILi4ELi4ELb1E19rocblas_complex_numIdES1_PKPKS1_PKPS1_Ev13rocblas_fill_18rocblas_operation_17rocblas_diagonal_iiT3_T4_lilT5_lili.step_sizes:
	.long	4                               ; 0x4
	.long	1                               ; 0x1
	.long	1                               ; 0x1
	.size	__const._ZL30rocblas_trsm_small_left_deviceILi4ELi4ELb1E19rocblas_complex_numIdES1_PKPKS1_PKPS1_Ev13rocblas_fill_18rocblas_operation_17rocblas_diagonal_iiT3_T4_lilT5_lili.step_sizes, 12

	.type	__const._ZL38rocblas_trsm_small_left_device_sharedBILi8ELi8ELb0E19rocblas_complex_numIdES1_PKPKS1_PKPS1_Ev13rocblas_fill_18rocblas_operation_17rocblas_diagonal_iiT3_T4_lilT5_lili.step_sizes,@object ; @__const._ZL38rocblas_trsm_small_left_device_sharedBILi8ELi8ELb0E19rocblas_complex_numIdES1_PKPKS1_PKPS1_Ev13rocblas_fill_18rocblas_operation_17rocblas_diagonal_iiT3_T4_lilT5_lili.step_sizes
	.p2align	2, 0x0
__const._ZL38rocblas_trsm_small_left_device_sharedBILi8ELi8ELb0E19rocblas_complex_numIdES1_PKPKS1_PKPS1_Ev13rocblas_fill_18rocblas_operation_17rocblas_diagonal_iiT3_T4_lilT5_lili.step_sizes:
	.long	8                               ; 0x8
	.long	4                               ; 0x4
	;; [unrolled: 1-line block ×3, first 2 shown]
	.size	__const._ZL38rocblas_trsm_small_left_device_sharedBILi8ELi8ELb0E19rocblas_complex_numIdES1_PKPKS1_PKPS1_Ev13rocblas_fill_18rocblas_operation_17rocblas_diagonal_iiT3_T4_lilT5_lili.step_sizes, 12

	.type	__const._ZL30rocblas_trsm_small_left_deviceILi8ELi8ELb0E19rocblas_complex_numIdES1_PKPKS1_PKPS1_Ev13rocblas_fill_18rocblas_operation_17rocblas_diagonal_iiT3_T4_lilT5_lili.step_sizes,@object ; @__const._ZL30rocblas_trsm_small_left_deviceILi8ELi8ELb0E19rocblas_complex_numIdES1_PKPKS1_PKPS1_Ev13rocblas_fill_18rocblas_operation_17rocblas_diagonal_iiT3_T4_lilT5_lili.step_sizes
	.p2align	2, 0x0
__const._ZL30rocblas_trsm_small_left_deviceILi8ELi8ELb0E19rocblas_complex_numIdES1_PKPKS1_PKPS1_Ev13rocblas_fill_18rocblas_operation_17rocblas_diagonal_iiT3_T4_lilT5_lili.step_sizes:
	.long	8                               ; 0x8
	.long	4                               ; 0x4
	;; [unrolled: 1-line block ×3, first 2 shown]
	.size	__const._ZL30rocblas_trsm_small_left_deviceILi8ELi8ELb0E19rocblas_complex_numIdES1_PKPKS1_PKPS1_Ev13rocblas_fill_18rocblas_operation_17rocblas_diagonal_iiT3_T4_lilT5_lili.step_sizes, 12

	.type	__const._ZL38rocblas_trsm_small_left_device_sharedBILi8ELi8ELb1E19rocblas_complex_numIdES1_PKPKS1_PKPS1_Ev13rocblas_fill_18rocblas_operation_17rocblas_diagonal_iiT3_T4_lilT5_lili.step_sizes,@object ; @__const._ZL38rocblas_trsm_small_left_device_sharedBILi8ELi8ELb1E19rocblas_complex_numIdES1_PKPKS1_PKPS1_Ev13rocblas_fill_18rocblas_operation_17rocblas_diagonal_iiT3_T4_lilT5_lili.step_sizes
	.p2align	2, 0x0
__const._ZL38rocblas_trsm_small_left_device_sharedBILi8ELi8ELb1E19rocblas_complex_numIdES1_PKPKS1_PKPS1_Ev13rocblas_fill_18rocblas_operation_17rocblas_diagonal_iiT3_T4_lilT5_lili.step_sizes:
	.long	8                               ; 0x8
	.long	4                               ; 0x4
	.long	1                               ; 0x1
	.size	__const._ZL38rocblas_trsm_small_left_device_sharedBILi8ELi8ELb1E19rocblas_complex_numIdES1_PKPKS1_PKPS1_Ev13rocblas_fill_18rocblas_operation_17rocblas_diagonal_iiT3_T4_lilT5_lili.step_sizes, 12

	.type	__const._ZL30rocblas_trsm_small_left_deviceILi8ELi8ELb1E19rocblas_complex_numIdES1_PKPKS1_PKPS1_Ev13rocblas_fill_18rocblas_operation_17rocblas_diagonal_iiT3_T4_lilT5_lili.step_sizes,@object ; @__const._ZL30rocblas_trsm_small_left_deviceILi8ELi8ELb1E19rocblas_complex_numIdES1_PKPKS1_PKPS1_Ev13rocblas_fill_18rocblas_operation_17rocblas_diagonal_iiT3_T4_lilT5_lili.step_sizes
	.p2align	2, 0x0
__const._ZL30rocblas_trsm_small_left_deviceILi8ELi8ELb1E19rocblas_complex_numIdES1_PKPKS1_PKPS1_Ev13rocblas_fill_18rocblas_operation_17rocblas_diagonal_iiT3_T4_lilT5_lili.step_sizes:
	.long	8                               ; 0x8
	.long	4                               ; 0x4
	;; [unrolled: 1-line block ×3, first 2 shown]
	.size	__const._ZL30rocblas_trsm_small_left_deviceILi8ELi8ELb1E19rocblas_complex_numIdES1_PKPKS1_PKPS1_Ev13rocblas_fill_18rocblas_operation_17rocblas_diagonal_iiT3_T4_lilT5_lili.step_sizes, 12

	.type	__const._ZL38rocblas_trsm_small_left_device_sharedBILi12ELi12ELb0E19rocblas_complex_numIdES1_PKPKS1_PKPS1_Ev13rocblas_fill_18rocblas_operation_17rocblas_diagonal_iiT3_T4_lilT5_lili.step_sizes,@object ; @__const._ZL38rocblas_trsm_small_left_device_sharedBILi12ELi12ELb0E19rocblas_complex_numIdES1_PKPKS1_PKPS1_Ev13rocblas_fill_18rocblas_operation_17rocblas_diagonal_iiT3_T4_lilT5_lili.step_sizes
	.p2align	2, 0x0
__const._ZL38rocblas_trsm_small_left_device_sharedBILi12ELi12ELb0E19rocblas_complex_numIdES1_PKPKS1_PKPS1_Ev13rocblas_fill_18rocblas_operation_17rocblas_diagonal_iiT3_T4_lilT5_lili.step_sizes:
	.long	12                              ; 0xc
	.long	8                               ; 0x8
	.long	1                               ; 0x1
	.size	__const._ZL38rocblas_trsm_small_left_device_sharedBILi12ELi12ELb0E19rocblas_complex_numIdES1_PKPKS1_PKPS1_Ev13rocblas_fill_18rocblas_operation_17rocblas_diagonal_iiT3_T4_lilT5_lili.step_sizes, 12

	.type	__const._ZL30rocblas_trsm_small_left_deviceILi12ELi12ELb0E19rocblas_complex_numIdES1_PKPKS1_PKPS1_Ev13rocblas_fill_18rocblas_operation_17rocblas_diagonal_iiT3_T4_lilT5_lili.step_sizes,@object ; @__const._ZL30rocblas_trsm_small_left_deviceILi12ELi12ELb0E19rocblas_complex_numIdES1_PKPKS1_PKPS1_Ev13rocblas_fill_18rocblas_operation_17rocblas_diagonal_iiT3_T4_lilT5_lili.step_sizes
	.p2align	2, 0x0
__const._ZL30rocblas_trsm_small_left_deviceILi12ELi12ELb0E19rocblas_complex_numIdES1_PKPKS1_PKPS1_Ev13rocblas_fill_18rocblas_operation_17rocblas_diagonal_iiT3_T4_lilT5_lili.step_sizes:
	.long	12                              ; 0xc
	.long	8                               ; 0x8
	.long	1                               ; 0x1
	.size	__const._ZL30rocblas_trsm_small_left_deviceILi12ELi12ELb0E19rocblas_complex_numIdES1_PKPKS1_PKPS1_Ev13rocblas_fill_18rocblas_operation_17rocblas_diagonal_iiT3_T4_lilT5_lili.step_sizes, 12

	.type	__const._ZL38rocblas_trsm_small_left_device_sharedBILi12ELi12ELb1E19rocblas_complex_numIdES1_PKPKS1_PKPS1_Ev13rocblas_fill_18rocblas_operation_17rocblas_diagonal_iiT3_T4_lilT5_lili.step_sizes,@object ; @__const._ZL38rocblas_trsm_small_left_device_sharedBILi12ELi12ELb1E19rocblas_complex_numIdES1_PKPKS1_PKPS1_Ev13rocblas_fill_18rocblas_operation_17rocblas_diagonal_iiT3_T4_lilT5_lili.step_sizes
	.p2align	2, 0x0
__const._ZL38rocblas_trsm_small_left_device_sharedBILi12ELi12ELb1E19rocblas_complex_numIdES1_PKPKS1_PKPS1_Ev13rocblas_fill_18rocblas_operation_17rocblas_diagonal_iiT3_T4_lilT5_lili.step_sizes:
	.long	12                              ; 0xc
	.long	8                               ; 0x8
	.long	1                               ; 0x1
	.size	__const._ZL38rocblas_trsm_small_left_device_sharedBILi12ELi12ELb1E19rocblas_complex_numIdES1_PKPKS1_PKPS1_Ev13rocblas_fill_18rocblas_operation_17rocblas_diagonal_iiT3_T4_lilT5_lili.step_sizes, 12

	.type	__const._ZL30rocblas_trsm_small_left_deviceILi12ELi12ELb1E19rocblas_complex_numIdES1_PKPKS1_PKPS1_Ev13rocblas_fill_18rocblas_operation_17rocblas_diagonal_iiT3_T4_lilT5_lili.step_sizes,@object ; @__const._ZL30rocblas_trsm_small_left_deviceILi12ELi12ELb1E19rocblas_complex_numIdES1_PKPKS1_PKPS1_Ev13rocblas_fill_18rocblas_operation_17rocblas_diagonal_iiT3_T4_lilT5_lili.step_sizes
	.p2align	2, 0x0
__const._ZL30rocblas_trsm_small_left_deviceILi12ELi12ELb1E19rocblas_complex_numIdES1_PKPKS1_PKPS1_Ev13rocblas_fill_18rocblas_operation_17rocblas_diagonal_iiT3_T4_lilT5_lili.step_sizes:
	.long	12                              ; 0xc
	.long	8                               ; 0x8
	.long	1                               ; 0x1
	.size	__const._ZL30rocblas_trsm_small_left_deviceILi12ELi12ELb1E19rocblas_complex_numIdES1_PKPKS1_PKPS1_Ev13rocblas_fill_18rocblas_operation_17rocblas_diagonal_iiT3_T4_lilT5_lili.step_sizes, 12

	.type	__const._ZL38rocblas_trsm_small_left_device_sharedBILi16ELi16ELb0E19rocblas_complex_numIdES1_PKPKS1_PKPS1_Ev13rocblas_fill_18rocblas_operation_17rocblas_diagonal_iiT3_T4_lilT5_lili.step_sizes,@object ; @__const._ZL38rocblas_trsm_small_left_device_sharedBILi16ELi16ELb0E19rocblas_complex_numIdES1_PKPKS1_PKPS1_Ev13rocblas_fill_18rocblas_operation_17rocblas_diagonal_iiT3_T4_lilT5_lili.step_sizes
	.p2align	2, 0x0
__const._ZL38rocblas_trsm_small_left_device_sharedBILi16ELi16ELb0E19rocblas_complex_numIdES1_PKPKS1_PKPS1_Ev13rocblas_fill_18rocblas_operation_17rocblas_diagonal_iiT3_T4_lilT5_lili.step_sizes:
	.long	16                              ; 0x10
	.long	12                              ; 0xc
	.long	1                               ; 0x1
	.size	__const._ZL38rocblas_trsm_small_left_device_sharedBILi16ELi16ELb0E19rocblas_complex_numIdES1_PKPKS1_PKPS1_Ev13rocblas_fill_18rocblas_operation_17rocblas_diagonal_iiT3_T4_lilT5_lili.step_sizes, 12

	.type	__const._ZL30rocblas_trsm_small_left_deviceILi16ELi16ELb0E19rocblas_complex_numIdES1_PKPKS1_PKPS1_Ev13rocblas_fill_18rocblas_operation_17rocblas_diagonal_iiT3_T4_lilT5_lili.step_sizes,@object ; @__const._ZL30rocblas_trsm_small_left_deviceILi16ELi16ELb0E19rocblas_complex_numIdES1_PKPKS1_PKPS1_Ev13rocblas_fill_18rocblas_operation_17rocblas_diagonal_iiT3_T4_lilT5_lili.step_sizes
	.p2align	2, 0x0
__const._ZL30rocblas_trsm_small_left_deviceILi16ELi16ELb0E19rocblas_complex_numIdES1_PKPKS1_PKPS1_Ev13rocblas_fill_18rocblas_operation_17rocblas_diagonal_iiT3_T4_lilT5_lili.step_sizes:
	.long	16                              ; 0x10
	.long	12                              ; 0xc
	.long	1                               ; 0x1
	.size	__const._ZL30rocblas_trsm_small_left_deviceILi16ELi16ELb0E19rocblas_complex_numIdES1_PKPKS1_PKPS1_Ev13rocblas_fill_18rocblas_operation_17rocblas_diagonal_iiT3_T4_lilT5_lili.step_sizes, 12

	.type	__const._ZL38rocblas_trsm_small_left_device_sharedBILi16ELi16ELb1E19rocblas_complex_numIdES1_PKPKS1_PKPS1_Ev13rocblas_fill_18rocblas_operation_17rocblas_diagonal_iiT3_T4_lilT5_lili.step_sizes,@object ; @__const._ZL38rocblas_trsm_small_left_device_sharedBILi16ELi16ELb1E19rocblas_complex_numIdES1_PKPKS1_PKPS1_Ev13rocblas_fill_18rocblas_operation_17rocblas_diagonal_iiT3_T4_lilT5_lili.step_sizes
	.p2align	2, 0x0
__const._ZL38rocblas_trsm_small_left_device_sharedBILi16ELi16ELb1E19rocblas_complex_numIdES1_PKPKS1_PKPS1_Ev13rocblas_fill_18rocblas_operation_17rocblas_diagonal_iiT3_T4_lilT5_lili.step_sizes:
	.long	16                              ; 0x10
	.long	12                              ; 0xc
	.long	1                               ; 0x1
	.size	__const._ZL38rocblas_trsm_small_left_device_sharedBILi16ELi16ELb1E19rocblas_complex_numIdES1_PKPKS1_PKPS1_Ev13rocblas_fill_18rocblas_operation_17rocblas_diagonal_iiT3_T4_lilT5_lili.step_sizes, 12

	.type	__const._ZL30rocblas_trsm_small_left_deviceILi16ELi16ELb1E19rocblas_complex_numIdES1_PKPKS1_PKPS1_Ev13rocblas_fill_18rocblas_operation_17rocblas_diagonal_iiT3_T4_lilT5_lili.step_sizes,@object ; @__const._ZL30rocblas_trsm_small_left_deviceILi16ELi16ELb1E19rocblas_complex_numIdES1_PKPKS1_PKPS1_Ev13rocblas_fill_18rocblas_operation_17rocblas_diagonal_iiT3_T4_lilT5_lili.step_sizes
	.p2align	2, 0x0
__const._ZL30rocblas_trsm_small_left_deviceILi16ELi16ELb1E19rocblas_complex_numIdES1_PKPKS1_PKPS1_Ev13rocblas_fill_18rocblas_operation_17rocblas_diagonal_iiT3_T4_lilT5_lili.step_sizes:
	.long	16                              ; 0x10
	.long	12                              ; 0xc
	.long	1                               ; 0x1
	.size	__const._ZL30rocblas_trsm_small_left_deviceILi16ELi16ELb1E19rocblas_complex_numIdES1_PKPKS1_PKPS1_Ev13rocblas_fill_18rocblas_operation_17rocblas_diagonal_iiT3_T4_lilT5_lili.step_sizes, 12

	.type	__const._ZL38rocblas_trsm_small_left_device_sharedBILi20ELi20ELb0E19rocblas_complex_numIdES1_PKPKS1_PKPS1_Ev13rocblas_fill_18rocblas_operation_17rocblas_diagonal_iiT3_T4_lilT5_lili.step_sizes,@object ; @__const._ZL38rocblas_trsm_small_left_device_sharedBILi20ELi20ELb0E19rocblas_complex_numIdES1_PKPKS1_PKPS1_Ev13rocblas_fill_18rocblas_operation_17rocblas_diagonal_iiT3_T4_lilT5_lili.step_sizes
	.p2align	2, 0x0
__const._ZL38rocblas_trsm_small_left_device_sharedBILi20ELi20ELb0E19rocblas_complex_numIdES1_PKPKS1_PKPS1_Ev13rocblas_fill_18rocblas_operation_17rocblas_diagonal_iiT3_T4_lilT5_lili.step_sizes:
	.long	20                              ; 0x14
	.long	16                              ; 0x10
	.long	1                               ; 0x1
	.size	__const._ZL38rocblas_trsm_small_left_device_sharedBILi20ELi20ELb0E19rocblas_complex_numIdES1_PKPKS1_PKPS1_Ev13rocblas_fill_18rocblas_operation_17rocblas_diagonal_iiT3_T4_lilT5_lili.step_sizes, 12

	.type	__const._ZL30rocblas_trsm_small_left_deviceILi20ELi20ELb0E19rocblas_complex_numIdES1_PKPKS1_PKPS1_Ev13rocblas_fill_18rocblas_operation_17rocblas_diagonal_iiT3_T4_lilT5_lili.step_sizes,@object ; @__const._ZL30rocblas_trsm_small_left_deviceILi20ELi20ELb0E19rocblas_complex_numIdES1_PKPKS1_PKPS1_Ev13rocblas_fill_18rocblas_operation_17rocblas_diagonal_iiT3_T4_lilT5_lili.step_sizes
	.p2align	2, 0x0
__const._ZL30rocblas_trsm_small_left_deviceILi20ELi20ELb0E19rocblas_complex_numIdES1_PKPKS1_PKPS1_Ev13rocblas_fill_18rocblas_operation_17rocblas_diagonal_iiT3_T4_lilT5_lili.step_sizes:
	.long	20                              ; 0x14
	.long	16                              ; 0x10
	.long	1                               ; 0x1
	.size	__const._ZL30rocblas_trsm_small_left_deviceILi20ELi20ELb0E19rocblas_complex_numIdES1_PKPKS1_PKPS1_Ev13rocblas_fill_18rocblas_operation_17rocblas_diagonal_iiT3_T4_lilT5_lili.step_sizes, 12

	.type	__const._ZL38rocblas_trsm_small_left_device_sharedBILi20ELi20ELb1E19rocblas_complex_numIdES1_PKPKS1_PKPS1_Ev13rocblas_fill_18rocblas_operation_17rocblas_diagonal_iiT3_T4_lilT5_lili.step_sizes,@object ; @__const._ZL38rocblas_trsm_small_left_device_sharedBILi20ELi20ELb1E19rocblas_complex_numIdES1_PKPKS1_PKPS1_Ev13rocblas_fill_18rocblas_operation_17rocblas_diagonal_iiT3_T4_lilT5_lili.step_sizes
	.p2align	2, 0x0
__const._ZL38rocblas_trsm_small_left_device_sharedBILi20ELi20ELb1E19rocblas_complex_numIdES1_PKPKS1_PKPS1_Ev13rocblas_fill_18rocblas_operation_17rocblas_diagonal_iiT3_T4_lilT5_lili.step_sizes:
	.long	20                              ; 0x14
	.long	16                              ; 0x10
	.long	1                               ; 0x1
	.size	__const._ZL38rocblas_trsm_small_left_device_sharedBILi20ELi20ELb1E19rocblas_complex_numIdES1_PKPKS1_PKPS1_Ev13rocblas_fill_18rocblas_operation_17rocblas_diagonal_iiT3_T4_lilT5_lili.step_sizes, 12

	.type	__const._ZL30rocblas_trsm_small_left_deviceILi20ELi20ELb1E19rocblas_complex_numIdES1_PKPKS1_PKPS1_Ev13rocblas_fill_18rocblas_operation_17rocblas_diagonal_iiT3_T4_lilT5_lili.step_sizes,@object ; @__const._ZL30rocblas_trsm_small_left_deviceILi20ELi20ELb1E19rocblas_complex_numIdES1_PKPKS1_PKPS1_Ev13rocblas_fill_18rocblas_operation_17rocblas_diagonal_iiT3_T4_lilT5_lili.step_sizes
	.p2align	2, 0x0
__const._ZL30rocblas_trsm_small_left_deviceILi20ELi20ELb1E19rocblas_complex_numIdES1_PKPKS1_PKPS1_Ev13rocblas_fill_18rocblas_operation_17rocblas_diagonal_iiT3_T4_lilT5_lili.step_sizes:
	.long	20                              ; 0x14
	.long	16                              ; 0x10
	.long	1                               ; 0x1
	.size	__const._ZL30rocblas_trsm_small_left_deviceILi20ELi20ELb1E19rocblas_complex_numIdES1_PKPKS1_PKPS1_Ev13rocblas_fill_18rocblas_operation_17rocblas_diagonal_iiT3_T4_lilT5_lili.step_sizes, 12

	.type	__const._ZL38rocblas_trsm_small_left_device_sharedBILi24ELi24ELb0E19rocblas_complex_numIdES1_PKPKS1_PKPS1_Ev13rocblas_fill_18rocblas_operation_17rocblas_diagonal_iiT3_T4_lilT5_lili.step_sizes,@object ; @__const._ZL38rocblas_trsm_small_left_device_sharedBILi24ELi24ELb0E19rocblas_complex_numIdES1_PKPKS1_PKPS1_Ev13rocblas_fill_18rocblas_operation_17rocblas_diagonal_iiT3_T4_lilT5_lili.step_sizes
	.p2align	2, 0x0
__const._ZL38rocblas_trsm_small_left_device_sharedBILi24ELi24ELb0E19rocblas_complex_numIdES1_PKPKS1_PKPS1_Ev13rocblas_fill_18rocblas_operation_17rocblas_diagonal_iiT3_T4_lilT5_lili.step_sizes:
	.long	24                              ; 0x18
	.long	20                              ; 0x14
	.long	1                               ; 0x1
	.size	__const._ZL38rocblas_trsm_small_left_device_sharedBILi24ELi24ELb0E19rocblas_complex_numIdES1_PKPKS1_PKPS1_Ev13rocblas_fill_18rocblas_operation_17rocblas_diagonal_iiT3_T4_lilT5_lili.step_sizes, 12

	.type	__const._ZL30rocblas_trsm_small_left_deviceILi24ELi24ELb0E19rocblas_complex_numIdES1_PKPKS1_PKPS1_Ev13rocblas_fill_18rocblas_operation_17rocblas_diagonal_iiT3_T4_lilT5_lili.step_sizes,@object ; @__const._ZL30rocblas_trsm_small_left_deviceILi24ELi24ELb0E19rocblas_complex_numIdES1_PKPKS1_PKPS1_Ev13rocblas_fill_18rocblas_operation_17rocblas_diagonal_iiT3_T4_lilT5_lili.step_sizes
	.p2align	2, 0x0
__const._ZL30rocblas_trsm_small_left_deviceILi24ELi24ELb0E19rocblas_complex_numIdES1_PKPKS1_PKPS1_Ev13rocblas_fill_18rocblas_operation_17rocblas_diagonal_iiT3_T4_lilT5_lili.step_sizes:
	.long	24                              ; 0x18
	.long	20                              ; 0x14
	.long	1                               ; 0x1
	.size	__const._ZL30rocblas_trsm_small_left_deviceILi24ELi24ELb0E19rocblas_complex_numIdES1_PKPKS1_PKPS1_Ev13rocblas_fill_18rocblas_operation_17rocblas_diagonal_iiT3_T4_lilT5_lili.step_sizes, 12

	.type	__const._ZL38rocblas_trsm_small_left_device_sharedBILi24ELi24ELb1E19rocblas_complex_numIdES1_PKPKS1_PKPS1_Ev13rocblas_fill_18rocblas_operation_17rocblas_diagonal_iiT3_T4_lilT5_lili.step_sizes,@object ; @__const._ZL38rocblas_trsm_small_left_device_sharedBILi24ELi24ELb1E19rocblas_complex_numIdES1_PKPKS1_PKPS1_Ev13rocblas_fill_18rocblas_operation_17rocblas_diagonal_iiT3_T4_lilT5_lili.step_sizes
	.p2align	2, 0x0
__const._ZL38rocblas_trsm_small_left_device_sharedBILi24ELi24ELb1E19rocblas_complex_numIdES1_PKPKS1_PKPS1_Ev13rocblas_fill_18rocblas_operation_17rocblas_diagonal_iiT3_T4_lilT5_lili.step_sizes:
	.long	24                              ; 0x18
	.long	20                              ; 0x14
	.long	1                               ; 0x1
	.size	__const._ZL38rocblas_trsm_small_left_device_sharedBILi24ELi24ELb1E19rocblas_complex_numIdES1_PKPKS1_PKPS1_Ev13rocblas_fill_18rocblas_operation_17rocblas_diagonal_iiT3_T4_lilT5_lili.step_sizes, 12

	.type	__const._ZL30rocblas_trsm_small_left_deviceILi24ELi24ELb1E19rocblas_complex_numIdES1_PKPKS1_PKPS1_Ev13rocblas_fill_18rocblas_operation_17rocblas_diagonal_iiT3_T4_lilT5_lili.step_sizes,@object ; @__const._ZL30rocblas_trsm_small_left_deviceILi24ELi24ELb1E19rocblas_complex_numIdES1_PKPKS1_PKPS1_Ev13rocblas_fill_18rocblas_operation_17rocblas_diagonal_iiT3_T4_lilT5_lili.step_sizes
	.p2align	2, 0x0
__const._ZL30rocblas_trsm_small_left_deviceILi24ELi24ELb1E19rocblas_complex_numIdES1_PKPKS1_PKPS1_Ev13rocblas_fill_18rocblas_operation_17rocblas_diagonal_iiT3_T4_lilT5_lili.step_sizes:
	.long	24                              ; 0x18
	.long	20                              ; 0x14
	.long	1                               ; 0x1
	.size	__const._ZL30rocblas_trsm_small_left_deviceILi24ELi24ELb1E19rocblas_complex_numIdES1_PKPKS1_PKPS1_Ev13rocblas_fill_18rocblas_operation_17rocblas_diagonal_iiT3_T4_lilT5_lili.step_sizes, 12

	.type	__const._ZL38rocblas_trsm_small_left_device_sharedBILi28ELi28ELb0E19rocblas_complex_numIdES1_PKPKS1_PKPS1_Ev13rocblas_fill_18rocblas_operation_17rocblas_diagonal_iiT3_T4_lilT5_lili.step_sizes,@object ; @__const._ZL38rocblas_trsm_small_left_device_sharedBILi28ELi28ELb0E19rocblas_complex_numIdES1_PKPKS1_PKPS1_Ev13rocblas_fill_18rocblas_operation_17rocblas_diagonal_iiT3_T4_lilT5_lili.step_sizes
	.p2align	2, 0x0
__const._ZL38rocblas_trsm_small_left_device_sharedBILi28ELi28ELb0E19rocblas_complex_numIdES1_PKPKS1_PKPS1_Ev13rocblas_fill_18rocblas_operation_17rocblas_diagonal_iiT3_T4_lilT5_lili.step_sizes:
	.long	28                              ; 0x1c
	.long	24                              ; 0x18
	.long	1                               ; 0x1
	.size	__const._ZL38rocblas_trsm_small_left_device_sharedBILi28ELi28ELb0E19rocblas_complex_numIdES1_PKPKS1_PKPS1_Ev13rocblas_fill_18rocblas_operation_17rocblas_diagonal_iiT3_T4_lilT5_lili.step_sizes, 12

	.type	__const._ZL30rocblas_trsm_small_left_deviceILi28ELi28ELb0E19rocblas_complex_numIdES1_PKPKS1_PKPS1_Ev13rocblas_fill_18rocblas_operation_17rocblas_diagonal_iiT3_T4_lilT5_lili.step_sizes,@object ; @__const._ZL30rocblas_trsm_small_left_deviceILi28ELi28ELb0E19rocblas_complex_numIdES1_PKPKS1_PKPS1_Ev13rocblas_fill_18rocblas_operation_17rocblas_diagonal_iiT3_T4_lilT5_lili.step_sizes
	.p2align	2, 0x0
__const._ZL30rocblas_trsm_small_left_deviceILi28ELi28ELb0E19rocblas_complex_numIdES1_PKPKS1_PKPS1_Ev13rocblas_fill_18rocblas_operation_17rocblas_diagonal_iiT3_T4_lilT5_lili.step_sizes:
	.long	28                              ; 0x1c
	.long	24                              ; 0x18
	.long	1                               ; 0x1
	.size	__const._ZL30rocblas_trsm_small_left_deviceILi28ELi28ELb0E19rocblas_complex_numIdES1_PKPKS1_PKPS1_Ev13rocblas_fill_18rocblas_operation_17rocblas_diagonal_iiT3_T4_lilT5_lili.step_sizes, 12

	.type	__const._ZL38rocblas_trsm_small_left_device_sharedBILi28ELi28ELb1E19rocblas_complex_numIdES1_PKPKS1_PKPS1_Ev13rocblas_fill_18rocblas_operation_17rocblas_diagonal_iiT3_T4_lilT5_lili.step_sizes,@object ; @__const._ZL38rocblas_trsm_small_left_device_sharedBILi28ELi28ELb1E19rocblas_complex_numIdES1_PKPKS1_PKPS1_Ev13rocblas_fill_18rocblas_operation_17rocblas_diagonal_iiT3_T4_lilT5_lili.step_sizes
	.p2align	2, 0x0
__const._ZL38rocblas_trsm_small_left_device_sharedBILi28ELi28ELb1E19rocblas_complex_numIdES1_PKPKS1_PKPS1_Ev13rocblas_fill_18rocblas_operation_17rocblas_diagonal_iiT3_T4_lilT5_lili.step_sizes:
	.long	28                              ; 0x1c
	.long	24                              ; 0x18
	.long	1                               ; 0x1
	.size	__const._ZL38rocblas_trsm_small_left_device_sharedBILi28ELi28ELb1E19rocblas_complex_numIdES1_PKPKS1_PKPS1_Ev13rocblas_fill_18rocblas_operation_17rocblas_diagonal_iiT3_T4_lilT5_lili.step_sizes, 12

	.type	__const._ZL30rocblas_trsm_small_left_deviceILi28ELi28ELb1E19rocblas_complex_numIdES1_PKPKS1_PKPS1_Ev13rocblas_fill_18rocblas_operation_17rocblas_diagonal_iiT3_T4_lilT5_lili.step_sizes,@object ; @__const._ZL30rocblas_trsm_small_left_deviceILi28ELi28ELb1E19rocblas_complex_numIdES1_PKPKS1_PKPS1_Ev13rocblas_fill_18rocblas_operation_17rocblas_diagonal_iiT3_T4_lilT5_lili.step_sizes
	.p2align	2, 0x0
__const._ZL30rocblas_trsm_small_left_deviceILi28ELi28ELb1E19rocblas_complex_numIdES1_PKPKS1_PKPS1_Ev13rocblas_fill_18rocblas_operation_17rocblas_diagonal_iiT3_T4_lilT5_lili.step_sizes:
	.long	28                              ; 0x1c
	.long	24                              ; 0x18
	.long	1                               ; 0x1
	.size	__const._ZL30rocblas_trsm_small_left_deviceILi28ELi28ELb1E19rocblas_complex_numIdES1_PKPKS1_PKPS1_Ev13rocblas_fill_18rocblas_operation_17rocblas_diagonal_iiT3_T4_lilT5_lili.step_sizes, 12

	.type	__const._ZL38rocblas_trsm_small_left_device_sharedBILi32ELi32ELb0E19rocblas_complex_numIdES1_PKPKS1_PKPS1_Ev13rocblas_fill_18rocblas_operation_17rocblas_diagonal_iiT3_T4_lilT5_lili.step_sizes,@object ; @__const._ZL38rocblas_trsm_small_left_device_sharedBILi32ELi32ELb0E19rocblas_complex_numIdES1_PKPKS1_PKPS1_Ev13rocblas_fill_18rocblas_operation_17rocblas_diagonal_iiT3_T4_lilT5_lili.step_sizes
	.p2align	2, 0x0
__const._ZL38rocblas_trsm_small_left_device_sharedBILi32ELi32ELb0E19rocblas_complex_numIdES1_PKPKS1_PKPS1_Ev13rocblas_fill_18rocblas_operation_17rocblas_diagonal_iiT3_T4_lilT5_lili.step_sizes:
	.long	32                              ; 0x20
	.long	28                              ; 0x1c
	.long	1                               ; 0x1
	.size	__const._ZL38rocblas_trsm_small_left_device_sharedBILi32ELi32ELb0E19rocblas_complex_numIdES1_PKPKS1_PKPS1_Ev13rocblas_fill_18rocblas_operation_17rocblas_diagonal_iiT3_T4_lilT5_lili.step_sizes, 12

	.type	__const._ZL30rocblas_trsm_small_left_deviceILi32ELi32ELb0E19rocblas_complex_numIdES1_PKPKS1_PKPS1_Ev13rocblas_fill_18rocblas_operation_17rocblas_diagonal_iiT3_T4_lilT5_lili.step_sizes,@object ; @__const._ZL30rocblas_trsm_small_left_deviceILi32ELi32ELb0E19rocblas_complex_numIdES1_PKPKS1_PKPS1_Ev13rocblas_fill_18rocblas_operation_17rocblas_diagonal_iiT3_T4_lilT5_lili.step_sizes
	.p2align	2, 0x0
__const._ZL30rocblas_trsm_small_left_deviceILi32ELi32ELb0E19rocblas_complex_numIdES1_PKPKS1_PKPS1_Ev13rocblas_fill_18rocblas_operation_17rocblas_diagonal_iiT3_T4_lilT5_lili.step_sizes:
	.long	32                              ; 0x20
	.long	28                              ; 0x1c
	.long	1                               ; 0x1
	.size	__const._ZL30rocblas_trsm_small_left_deviceILi32ELi32ELb0E19rocblas_complex_numIdES1_PKPKS1_PKPS1_Ev13rocblas_fill_18rocblas_operation_17rocblas_diagonal_iiT3_T4_lilT5_lili.step_sizes, 12

	.type	__const._ZL38rocblas_trsm_small_left_device_sharedBILi32ELi32ELb1E19rocblas_complex_numIdES1_PKPKS1_PKPS1_Ev13rocblas_fill_18rocblas_operation_17rocblas_diagonal_iiT3_T4_lilT5_lili.step_sizes,@object ; @__const._ZL38rocblas_trsm_small_left_device_sharedBILi32ELi32ELb1E19rocblas_complex_numIdES1_PKPKS1_PKPS1_Ev13rocblas_fill_18rocblas_operation_17rocblas_diagonal_iiT3_T4_lilT5_lili.step_sizes
	.p2align	2, 0x0
__const._ZL38rocblas_trsm_small_left_device_sharedBILi32ELi32ELb1E19rocblas_complex_numIdES1_PKPKS1_PKPS1_Ev13rocblas_fill_18rocblas_operation_17rocblas_diagonal_iiT3_T4_lilT5_lili.step_sizes:
	.long	32                              ; 0x20
	.long	28                              ; 0x1c
	.long	1                               ; 0x1
	.size	__const._ZL38rocblas_trsm_small_left_device_sharedBILi32ELi32ELb1E19rocblas_complex_numIdES1_PKPKS1_PKPS1_Ev13rocblas_fill_18rocblas_operation_17rocblas_diagonal_iiT3_T4_lilT5_lili.step_sizes, 12

	.type	__const._ZL30rocblas_trsm_small_left_deviceILi32ELi32ELb1E19rocblas_complex_numIdES1_PKPKS1_PKPS1_Ev13rocblas_fill_18rocblas_operation_17rocblas_diagonal_iiT3_T4_lilT5_lili.step_sizes,@object ; @__const._ZL30rocblas_trsm_small_left_deviceILi32ELi32ELb1E19rocblas_complex_numIdES1_PKPKS1_PKPS1_Ev13rocblas_fill_18rocblas_operation_17rocblas_diagonal_iiT3_T4_lilT5_lili.step_sizes
	.p2align	2, 0x0
__const._ZL30rocblas_trsm_small_left_deviceILi32ELi32ELb1E19rocblas_complex_numIdES1_PKPKS1_PKPS1_Ev13rocblas_fill_18rocblas_operation_17rocblas_diagonal_iiT3_T4_lilT5_lili.step_sizes:
	.long	32                              ; 0x20
	.long	28                              ; 0x1c
	.long	1                               ; 0x1
	.size	__const._ZL30rocblas_trsm_small_left_deviceILi32ELi32ELb1E19rocblas_complex_numIdES1_PKPKS1_PKPS1_Ev13rocblas_fill_18rocblas_operation_17rocblas_diagonal_iiT3_T4_lilT5_lili.step_sizes, 12

	.type	__hip_cuid_746fad246e5937d0,@object ; @__hip_cuid_746fad246e5937d0
	.section	.bss,"aw",@nobits
	.globl	__hip_cuid_746fad246e5937d0
__hip_cuid_746fad246e5937d0:
	.byte	0                               ; 0x0
	.size	__hip_cuid_746fad246e5937d0, 1

	.ident	"AMD clang version 22.0.0git (https://github.com/RadeonOpenCompute/llvm-project roc-7.2.4 26084 f58b06dce1f9c15707c5f808fd002e18c2accf7e)"
	.section	".note.GNU-stack","",@progbits
	.addrsig
	.addrsig_sym __hip_cuid_746fad246e5937d0
	.amdgpu_metadata
---
amdhsa.kernels:
  - .args:
      - .offset:         0
        .size:           8
        .value_kind:     by_value
      - .offset:         8
        .size:           8
        .value_kind:     by_value
      - .offset:         16
        .size:           4
        .value_kind:     by_value
      - .address_space:  global
        .offset:         24
        .size:           8
        .value_kind:     global_buffer
      - .offset:         32
        .size:           8
        .value_kind:     by_value
      - .offset:         40
        .size:           8
        .value_kind:     by_value
      - .offset:         48
        .size:           4
        .value_kind:     by_value
      - .offset:         56
        .size:           8
        .value_kind:     by_value
      - .offset:         64
        .size:           4
        .value_kind:     by_value
    .group_segment_fixed_size: 0
    .kernarg_segment_align: 8
    .kernarg_segment_size: 68
    .language:       OpenCL C
    .language_version:
      - 2
      - 0
    .max_flat_workgroup_size: 1024
    .name:           _ZL23rocblas_set_matrix_trsmILi128ELi8EfPKPfEvlliT2_llT1_li
    .private_segment_fixed_size: 0
    .sgpr_count:     18
    .sgpr_spill_count: 0
    .symbol:         _ZL23rocblas_set_matrix_trsmILi128ELi8EfPKPfEvlliT2_llT1_li.kd
    .uniform_work_group_size: 1
    .uses_dynamic_stack: false
    .vgpr_count:     8
    .vgpr_spill_count: 0
    .wavefront_size: 32
    .workgroup_processor_mode: 1
  - .args:
      - .offset:         0
        .size:           4
        .value_kind:     by_value
      - .offset:         4
        .size:           4
        .value_kind:     by_value
      - .offset:         8
        .size:           4
        .value_kind:     by_value
      - .offset:         12
        .size:           4
        .value_kind:     by_value
      - .offset:         16
        .size:           4
        .value_kind:     by_value
      - .offset:         20
        .size:           4
        .value_kind:     by_value
      - .address_space:  global
        .offset:         24
        .size:           8
        .value_kind:     global_buffer
      - .offset:         32
        .size:           8
        .value_kind:     by_value
      - .offset:         40
        .size:           4
        .value_kind:     by_value
      - .offset:         48
        .size:           8
        .value_kind:     by_value
      - .address_space:  global
        .offset:         56
        .size:           8
        .value_kind:     global_buffer
      - .offset:         64
        .size:           8
        .value_kind:     by_value
      - .offset:         72
        .size:           4
        .value_kind:     by_value
      - .offset:         80
        .size:           8
        .value_kind:     by_value
      - .offset:         88
        .size:           4
        .value_kind:     by_value
      - .offset:         96
        .size:           4
        .value_kind:     hidden_block_count_x
      - .offset:         100
        .size:           4
        .value_kind:     hidden_block_count_y
      - .offset:         104
        .size:           4
        .value_kind:     hidden_block_count_z
      - .offset:         108
        .size:           2
        .value_kind:     hidden_group_size_x
      - .offset:         110
        .size:           2
        .value_kind:     hidden_group_size_y
      - .offset:         112
        .size:           2
        .value_kind:     hidden_group_size_z
      - .offset:         114
        .size:           2
        .value_kind:     hidden_remainder_x
      - .offset:         116
        .size:           2
        .value_kind:     hidden_remainder_y
      - .offset:         118
        .size:           2
        .value_kind:     hidden_remainder_z
      - .offset:         136
        .size:           8
        .value_kind:     hidden_global_offset_x
      - .offset:         144
        .size:           8
        .value_kind:     hidden_global_offset_y
      - .offset:         152
        .size:           8
        .value_kind:     hidden_global_offset_z
      - .offset:         160
        .size:           2
        .value_kind:     hidden_grid_dims
    .group_segment_fixed_size: 128
    .kernarg_segment_align: 8
    .kernarg_segment_size: 352
    .language:       OpenCL C
    .language_version:
      - 2
      - 0
    .max_flat_workgroup_size: 4
    .name:           _ZL38rocblas_trsm_small_left_device_sharedBILi4ELi4ELb0EffPKPKfPKPfEv13rocblas_fill_18rocblas_operation_17rocblas_diagonal_iiT3_T4_lilT5_lili
    .private_segment_fixed_size: 0
    .sgpr_count:     47
    .sgpr_spill_count: 0
    .symbol:         _ZL38rocblas_trsm_small_left_device_sharedBILi4ELi4ELb0EffPKPKfPKPfEv13rocblas_fill_18rocblas_operation_17rocblas_diagonal_iiT3_T4_lilT5_lili.kd
    .uniform_work_group_size: 1
    .uses_dynamic_stack: false
    .vgpr_count:     21
    .vgpr_spill_count: 0
    .wavefront_size: 32
    .workgroup_processor_mode: 1
  - .args:
      - .offset:         0
        .size:           4
        .value_kind:     by_value
      - .offset:         4
        .size:           4
        .value_kind:     by_value
      - .offset:         8
        .size:           4
        .value_kind:     by_value
      - .offset:         12
        .size:           4
        .value_kind:     by_value
      - .offset:         16
        .size:           4
        .value_kind:     by_value
      - .offset:         20
        .size:           4
        .value_kind:     by_value
      - .address_space:  global
        .offset:         24
        .size:           8
        .value_kind:     global_buffer
      - .offset:         32
        .size:           8
        .value_kind:     by_value
      - .offset:         40
        .size:           4
        .value_kind:     by_value
      - .offset:         48
        .size:           8
        .value_kind:     by_value
      - .address_space:  global
        .offset:         56
        .size:           8
        .value_kind:     global_buffer
      - .offset:         64
        .size:           8
        .value_kind:     by_value
      - .offset:         72
        .size:           4
        .value_kind:     by_value
      - .offset:         80
        .size:           8
        .value_kind:     by_value
      - .offset:         88
        .size:           4
        .value_kind:     by_value
      - .offset:         96
        .size:           4
        .value_kind:     hidden_block_count_x
      - .offset:         100
        .size:           4
        .value_kind:     hidden_block_count_y
      - .offset:         104
        .size:           4
        .value_kind:     hidden_block_count_z
      - .offset:         108
        .size:           2
        .value_kind:     hidden_group_size_x
      - .offset:         110
        .size:           2
        .value_kind:     hidden_group_size_y
      - .offset:         112
        .size:           2
        .value_kind:     hidden_group_size_z
      - .offset:         114
        .size:           2
        .value_kind:     hidden_remainder_x
      - .offset:         116
        .size:           2
        .value_kind:     hidden_remainder_y
      - .offset:         118
        .size:           2
        .value_kind:     hidden_remainder_z
      - .offset:         136
        .size:           8
        .value_kind:     hidden_global_offset_x
      - .offset:         144
        .size:           8
        .value_kind:     hidden_global_offset_y
      - .offset:         152
        .size:           8
        .value_kind:     hidden_global_offset_z
      - .offset:         160
        .size:           2
        .value_kind:     hidden_grid_dims
    .group_segment_fixed_size: 64
    .kernarg_segment_align: 8
    .kernarg_segment_size: 352
    .language:       OpenCL C
    .language_version:
      - 2
      - 0
    .max_flat_workgroup_size: 4
    .name:           _ZL30rocblas_trsm_small_left_deviceILi4ELi4ELb0EffPKPKfPKPfEv13rocblas_fill_18rocblas_operation_17rocblas_diagonal_iiT3_T4_lilT5_lili
    .private_segment_fixed_size: 0
    .sgpr_count:     48
    .sgpr_spill_count: 0
    .symbol:         _ZL30rocblas_trsm_small_left_deviceILi4ELi4ELb0EffPKPKfPKPfEv13rocblas_fill_18rocblas_operation_17rocblas_diagonal_iiT3_T4_lilT5_lili.kd
    .uniform_work_group_size: 1
    .uses_dynamic_stack: false
    .vgpr_count:     27
    .vgpr_spill_count: 0
    .wavefront_size: 32
    .workgroup_processor_mode: 1
  - .args:
      - .offset:         0
        .size:           4
        .value_kind:     by_value
      - .offset:         4
        .size:           4
        .value_kind:     by_value
      - .offset:         8
        .size:           4
        .value_kind:     by_value
      - .offset:         12
        .size:           4
        .value_kind:     by_value
      - .offset:         16
        .size:           4
        .value_kind:     by_value
      - .offset:         20
        .size:           4
        .value_kind:     by_value
      - .address_space:  global
        .offset:         24
        .size:           8
        .value_kind:     global_buffer
      - .offset:         32
        .size:           8
        .value_kind:     by_value
      - .offset:         40
        .size:           4
        .value_kind:     by_value
      - .offset:         48
        .size:           8
        .value_kind:     by_value
      - .address_space:  global
        .offset:         56
        .size:           8
        .value_kind:     global_buffer
      - .offset:         64
        .size:           8
        .value_kind:     by_value
      - .offset:         72
        .size:           4
        .value_kind:     by_value
      - .offset:         80
        .size:           8
        .value_kind:     by_value
      - .offset:         88
        .size:           4
        .value_kind:     by_value
      - .offset:         96
        .size:           4
        .value_kind:     hidden_block_count_x
      - .offset:         100
        .size:           4
        .value_kind:     hidden_block_count_y
      - .offset:         104
        .size:           4
        .value_kind:     hidden_block_count_z
      - .offset:         108
        .size:           2
        .value_kind:     hidden_group_size_x
      - .offset:         110
        .size:           2
        .value_kind:     hidden_group_size_y
      - .offset:         112
        .size:           2
        .value_kind:     hidden_group_size_z
      - .offset:         114
        .size:           2
        .value_kind:     hidden_remainder_x
      - .offset:         116
        .size:           2
        .value_kind:     hidden_remainder_y
      - .offset:         118
        .size:           2
        .value_kind:     hidden_remainder_z
      - .offset:         136
        .size:           8
        .value_kind:     hidden_global_offset_x
      - .offset:         144
        .size:           8
        .value_kind:     hidden_global_offset_y
      - .offset:         152
        .size:           8
        .value_kind:     hidden_global_offset_z
      - .offset:         160
        .size:           2
        .value_kind:     hidden_grid_dims
    .group_segment_fixed_size: 128
    .kernarg_segment_align: 8
    .kernarg_segment_size: 352
    .language:       OpenCL C
    .language_version:
      - 2
      - 0
    .max_flat_workgroup_size: 4
    .name:           _ZL38rocblas_trsm_small_left_device_sharedBILi4ELi4ELb1EffPKPKfPKPfEv13rocblas_fill_18rocblas_operation_17rocblas_diagonal_iiT3_T4_lilT5_lili
    .private_segment_fixed_size: 0
    .sgpr_count:     47
    .sgpr_spill_count: 0
    .symbol:         _ZL38rocblas_trsm_small_left_device_sharedBILi4ELi4ELb1EffPKPKfPKPfEv13rocblas_fill_18rocblas_operation_17rocblas_diagonal_iiT3_T4_lilT5_lili.kd
    .uniform_work_group_size: 1
    .uses_dynamic_stack: false
    .vgpr_count:     21
    .vgpr_spill_count: 0
    .wavefront_size: 32
    .workgroup_processor_mode: 1
  - .args:
      - .offset:         0
        .size:           4
        .value_kind:     by_value
      - .offset:         4
        .size:           4
        .value_kind:     by_value
      - .offset:         8
        .size:           4
        .value_kind:     by_value
      - .offset:         12
        .size:           4
        .value_kind:     by_value
      - .offset:         16
        .size:           4
        .value_kind:     by_value
      - .offset:         20
        .size:           4
        .value_kind:     by_value
      - .address_space:  global
        .offset:         24
        .size:           8
        .value_kind:     global_buffer
      - .offset:         32
        .size:           8
        .value_kind:     by_value
      - .offset:         40
        .size:           4
        .value_kind:     by_value
      - .offset:         48
        .size:           8
        .value_kind:     by_value
      - .address_space:  global
        .offset:         56
        .size:           8
        .value_kind:     global_buffer
      - .offset:         64
        .size:           8
        .value_kind:     by_value
      - .offset:         72
        .size:           4
        .value_kind:     by_value
      - .offset:         80
        .size:           8
        .value_kind:     by_value
      - .offset:         88
        .size:           4
        .value_kind:     by_value
      - .offset:         96
        .size:           4
        .value_kind:     hidden_block_count_x
      - .offset:         100
        .size:           4
        .value_kind:     hidden_block_count_y
      - .offset:         104
        .size:           4
        .value_kind:     hidden_block_count_z
      - .offset:         108
        .size:           2
        .value_kind:     hidden_group_size_x
      - .offset:         110
        .size:           2
        .value_kind:     hidden_group_size_y
      - .offset:         112
        .size:           2
        .value_kind:     hidden_group_size_z
      - .offset:         114
        .size:           2
        .value_kind:     hidden_remainder_x
      - .offset:         116
        .size:           2
        .value_kind:     hidden_remainder_y
      - .offset:         118
        .size:           2
        .value_kind:     hidden_remainder_z
      - .offset:         136
        .size:           8
        .value_kind:     hidden_global_offset_x
      - .offset:         144
        .size:           8
        .value_kind:     hidden_global_offset_y
      - .offset:         152
        .size:           8
        .value_kind:     hidden_global_offset_z
      - .offset:         160
        .size:           2
        .value_kind:     hidden_grid_dims
    .group_segment_fixed_size: 64
    .kernarg_segment_align: 8
    .kernarg_segment_size: 352
    .language:       OpenCL C
    .language_version:
      - 2
      - 0
    .max_flat_workgroup_size: 4
    .name:           _ZL30rocblas_trsm_small_left_deviceILi4ELi4ELb1EffPKPKfPKPfEv13rocblas_fill_18rocblas_operation_17rocblas_diagonal_iiT3_T4_lilT5_lili
    .private_segment_fixed_size: 0
    .sgpr_count:     46
    .sgpr_spill_count: 0
    .symbol:         _ZL30rocblas_trsm_small_left_deviceILi4ELi4ELb1EffPKPKfPKPfEv13rocblas_fill_18rocblas_operation_17rocblas_diagonal_iiT3_T4_lilT5_lili.kd
    .uniform_work_group_size: 1
    .uses_dynamic_stack: false
    .vgpr_count:     25
    .vgpr_spill_count: 0
    .wavefront_size: 32
    .workgroup_processor_mode: 1
  - .args:
      - .offset:         0
        .size:           4
        .value_kind:     by_value
      - .offset:         4
        .size:           4
        .value_kind:     by_value
      - .offset:         8
        .size:           4
        .value_kind:     by_value
      - .offset:         12
        .size:           4
        .value_kind:     by_value
      - .offset:         16
        .size:           4
        .value_kind:     by_value
      - .offset:         20
        .size:           4
        .value_kind:     by_value
      - .address_space:  global
        .offset:         24
        .size:           8
        .value_kind:     global_buffer
      - .offset:         32
        .size:           8
        .value_kind:     by_value
      - .offset:         40
        .size:           4
        .value_kind:     by_value
      - .offset:         48
        .size:           8
        .value_kind:     by_value
      - .address_space:  global
        .offset:         56
        .size:           8
        .value_kind:     global_buffer
      - .offset:         64
        .size:           8
        .value_kind:     by_value
      - .offset:         72
        .size:           4
        .value_kind:     by_value
      - .offset:         80
        .size:           8
        .value_kind:     by_value
      - .offset:         88
        .size:           4
        .value_kind:     by_value
      - .offset:         96
        .size:           4
        .value_kind:     hidden_block_count_x
      - .offset:         100
        .size:           4
        .value_kind:     hidden_block_count_y
      - .offset:         104
        .size:           4
        .value_kind:     hidden_block_count_z
      - .offset:         108
        .size:           2
        .value_kind:     hidden_group_size_x
      - .offset:         110
        .size:           2
        .value_kind:     hidden_group_size_y
      - .offset:         112
        .size:           2
        .value_kind:     hidden_group_size_z
      - .offset:         114
        .size:           2
        .value_kind:     hidden_remainder_x
      - .offset:         116
        .size:           2
        .value_kind:     hidden_remainder_y
      - .offset:         118
        .size:           2
        .value_kind:     hidden_remainder_z
      - .offset:         136
        .size:           8
        .value_kind:     hidden_global_offset_x
      - .offset:         144
        .size:           8
        .value_kind:     hidden_global_offset_y
      - .offset:         152
        .size:           8
        .value_kind:     hidden_global_offset_z
      - .offset:         160
        .size:           2
        .value_kind:     hidden_grid_dims
    .group_segment_fixed_size: 128
    .kernarg_segment_align: 8
    .kernarg_segment_size: 352
    .language:       OpenCL C
    .language_version:
      - 2
      - 0
    .max_flat_workgroup_size: 4
    .name:           _ZL31rocblas_trsm_small_right_deviceIffPKPKfPKPfLi4EEv13rocblas_fill_18rocblas_operation_17rocblas_diagonal_iiT0_T1_lilT2_lili
    .private_segment_fixed_size: 0
    .sgpr_count:     56
    .sgpr_spill_count: 0
    .symbol:         _ZL31rocblas_trsm_small_right_deviceIffPKPKfPKPfLi4EEv13rocblas_fill_18rocblas_operation_17rocblas_diagonal_iiT0_T1_lilT2_lili.kd
    .uniform_work_group_size: 1
    .uses_dynamic_stack: false
    .vgpr_count:     29
    .vgpr_spill_count: 0
    .wavefront_size: 32
    .workgroup_processor_mode: 1
  - .args:
      - .offset:         0
        .size:           4
        .value_kind:     by_value
      - .offset:         4
        .size:           4
        .value_kind:     by_value
      - .offset:         8
        .size:           4
        .value_kind:     by_value
      - .offset:         12
        .size:           4
        .value_kind:     by_value
      - .offset:         16
        .size:           4
        .value_kind:     by_value
      - .offset:         20
        .size:           4
        .value_kind:     by_value
      - .address_space:  global
        .offset:         24
        .size:           8
        .value_kind:     global_buffer
      - .offset:         32
        .size:           8
        .value_kind:     by_value
      - .offset:         40
        .size:           4
        .value_kind:     by_value
      - .offset:         48
        .size:           8
        .value_kind:     by_value
      - .address_space:  global
        .offset:         56
        .size:           8
        .value_kind:     global_buffer
      - .offset:         64
        .size:           8
        .value_kind:     by_value
      - .offset:         72
        .size:           4
        .value_kind:     by_value
      - .offset:         80
        .size:           8
        .value_kind:     by_value
      - .offset:         88
        .size:           4
        .value_kind:     by_value
      - .offset:         96
        .size:           4
        .value_kind:     hidden_block_count_x
      - .offset:         100
        .size:           4
        .value_kind:     hidden_block_count_y
      - .offset:         104
        .size:           4
        .value_kind:     hidden_block_count_z
      - .offset:         108
        .size:           2
        .value_kind:     hidden_group_size_x
      - .offset:         110
        .size:           2
        .value_kind:     hidden_group_size_y
      - .offset:         112
        .size:           2
        .value_kind:     hidden_group_size_z
      - .offset:         114
        .size:           2
        .value_kind:     hidden_remainder_x
      - .offset:         116
        .size:           2
        .value_kind:     hidden_remainder_y
      - .offset:         118
        .size:           2
        .value_kind:     hidden_remainder_z
      - .offset:         136
        .size:           8
        .value_kind:     hidden_global_offset_x
      - .offset:         144
        .size:           8
        .value_kind:     hidden_global_offset_y
      - .offset:         152
        .size:           8
        .value_kind:     hidden_global_offset_z
      - .offset:         160
        .size:           2
        .value_kind:     hidden_grid_dims
    .group_segment_fixed_size: 512
    .kernarg_segment_align: 8
    .kernarg_segment_size: 352
    .language:       OpenCL C
    .language_version:
      - 2
      - 0
    .max_flat_workgroup_size: 8
    .name:           _ZL38rocblas_trsm_small_left_device_sharedBILi8ELi8ELb0EffPKPKfPKPfEv13rocblas_fill_18rocblas_operation_17rocblas_diagonal_iiT3_T4_lilT5_lili
    .private_segment_fixed_size: 0
    .sgpr_count:     45
    .sgpr_spill_count: 0
    .symbol:         _ZL38rocblas_trsm_small_left_device_sharedBILi8ELi8ELb0EffPKPKfPKPfEv13rocblas_fill_18rocblas_operation_17rocblas_diagonal_iiT3_T4_lilT5_lili.kd
    .uniform_work_group_size: 1
    .uses_dynamic_stack: false
    .vgpr_count:     29
    .vgpr_spill_count: 0
    .wavefront_size: 32
    .workgroup_processor_mode: 1
  - .args:
      - .offset:         0
        .size:           4
        .value_kind:     by_value
      - .offset:         4
        .size:           4
        .value_kind:     by_value
      - .offset:         8
        .size:           4
        .value_kind:     by_value
      - .offset:         12
        .size:           4
        .value_kind:     by_value
      - .offset:         16
        .size:           4
        .value_kind:     by_value
      - .offset:         20
        .size:           4
        .value_kind:     by_value
      - .address_space:  global
        .offset:         24
        .size:           8
        .value_kind:     global_buffer
      - .offset:         32
        .size:           8
        .value_kind:     by_value
      - .offset:         40
        .size:           4
        .value_kind:     by_value
      - .offset:         48
        .size:           8
        .value_kind:     by_value
      - .address_space:  global
        .offset:         56
        .size:           8
        .value_kind:     global_buffer
      - .offset:         64
        .size:           8
        .value_kind:     by_value
      - .offset:         72
        .size:           4
        .value_kind:     by_value
      - .offset:         80
        .size:           8
        .value_kind:     by_value
      - .offset:         88
        .size:           4
        .value_kind:     by_value
      - .offset:         96
        .size:           4
        .value_kind:     hidden_block_count_x
      - .offset:         100
        .size:           4
        .value_kind:     hidden_block_count_y
      - .offset:         104
        .size:           4
        .value_kind:     hidden_block_count_z
      - .offset:         108
        .size:           2
        .value_kind:     hidden_group_size_x
      - .offset:         110
        .size:           2
        .value_kind:     hidden_group_size_y
      - .offset:         112
        .size:           2
        .value_kind:     hidden_group_size_z
      - .offset:         114
        .size:           2
        .value_kind:     hidden_remainder_x
      - .offset:         116
        .size:           2
        .value_kind:     hidden_remainder_y
      - .offset:         118
        .size:           2
        .value_kind:     hidden_remainder_z
      - .offset:         136
        .size:           8
        .value_kind:     hidden_global_offset_x
      - .offset:         144
        .size:           8
        .value_kind:     hidden_global_offset_y
      - .offset:         152
        .size:           8
        .value_kind:     hidden_global_offset_z
      - .offset:         160
        .size:           2
        .value_kind:     hidden_grid_dims
    .group_segment_fixed_size: 256
    .kernarg_segment_align: 8
    .kernarg_segment_size: 352
    .language:       OpenCL C
    .language_version:
      - 2
      - 0
    .max_flat_workgroup_size: 8
    .name:           _ZL30rocblas_trsm_small_left_deviceILi8ELi8ELb0EffPKPKfPKPfEv13rocblas_fill_18rocblas_operation_17rocblas_diagonal_iiT3_T4_lilT5_lili
    .private_segment_fixed_size: 0
    .sgpr_count:     46
    .sgpr_spill_count: 0
    .symbol:         _ZL30rocblas_trsm_small_left_deviceILi8ELi8ELb0EffPKPKfPKPfEv13rocblas_fill_18rocblas_operation_17rocblas_diagonal_iiT3_T4_lilT5_lili.kd
    .uniform_work_group_size: 1
    .uses_dynamic_stack: false
    .vgpr_count:     35
    .vgpr_spill_count: 0
    .wavefront_size: 32
    .workgroup_processor_mode: 1
  - .args:
      - .offset:         0
        .size:           4
        .value_kind:     by_value
      - .offset:         4
        .size:           4
        .value_kind:     by_value
      - .offset:         8
        .size:           4
        .value_kind:     by_value
      - .offset:         12
        .size:           4
        .value_kind:     by_value
      - .offset:         16
        .size:           4
        .value_kind:     by_value
      - .offset:         20
        .size:           4
        .value_kind:     by_value
      - .address_space:  global
        .offset:         24
        .size:           8
        .value_kind:     global_buffer
      - .offset:         32
        .size:           8
        .value_kind:     by_value
      - .offset:         40
        .size:           4
        .value_kind:     by_value
      - .offset:         48
        .size:           8
        .value_kind:     by_value
      - .address_space:  global
        .offset:         56
        .size:           8
        .value_kind:     global_buffer
      - .offset:         64
        .size:           8
        .value_kind:     by_value
      - .offset:         72
        .size:           4
        .value_kind:     by_value
      - .offset:         80
        .size:           8
        .value_kind:     by_value
      - .offset:         88
        .size:           4
        .value_kind:     by_value
      - .offset:         96
        .size:           4
        .value_kind:     hidden_block_count_x
      - .offset:         100
        .size:           4
        .value_kind:     hidden_block_count_y
      - .offset:         104
        .size:           4
        .value_kind:     hidden_block_count_z
      - .offset:         108
        .size:           2
        .value_kind:     hidden_group_size_x
      - .offset:         110
        .size:           2
        .value_kind:     hidden_group_size_y
      - .offset:         112
        .size:           2
        .value_kind:     hidden_group_size_z
      - .offset:         114
        .size:           2
        .value_kind:     hidden_remainder_x
      - .offset:         116
        .size:           2
        .value_kind:     hidden_remainder_y
      - .offset:         118
        .size:           2
        .value_kind:     hidden_remainder_z
      - .offset:         136
        .size:           8
        .value_kind:     hidden_global_offset_x
      - .offset:         144
        .size:           8
        .value_kind:     hidden_global_offset_y
      - .offset:         152
        .size:           8
        .value_kind:     hidden_global_offset_z
      - .offset:         160
        .size:           2
        .value_kind:     hidden_grid_dims
    .group_segment_fixed_size: 512
    .kernarg_segment_align: 8
    .kernarg_segment_size: 352
    .language:       OpenCL C
    .language_version:
      - 2
      - 0
    .max_flat_workgroup_size: 8
    .name:           _ZL38rocblas_trsm_small_left_device_sharedBILi8ELi8ELb1EffPKPKfPKPfEv13rocblas_fill_18rocblas_operation_17rocblas_diagonal_iiT3_T4_lilT5_lili
    .private_segment_fixed_size: 0
    .sgpr_count:     45
    .sgpr_spill_count: 0
    .symbol:         _ZL38rocblas_trsm_small_left_device_sharedBILi8ELi8ELb1EffPKPKfPKPfEv13rocblas_fill_18rocblas_operation_17rocblas_diagonal_iiT3_T4_lilT5_lili.kd
    .uniform_work_group_size: 1
    .uses_dynamic_stack: false
    .vgpr_count:     29
    .vgpr_spill_count: 0
    .wavefront_size: 32
    .workgroup_processor_mode: 1
  - .args:
      - .offset:         0
        .size:           4
        .value_kind:     by_value
      - .offset:         4
        .size:           4
        .value_kind:     by_value
      - .offset:         8
        .size:           4
        .value_kind:     by_value
      - .offset:         12
        .size:           4
        .value_kind:     by_value
      - .offset:         16
        .size:           4
        .value_kind:     by_value
      - .offset:         20
        .size:           4
        .value_kind:     by_value
      - .address_space:  global
        .offset:         24
        .size:           8
        .value_kind:     global_buffer
      - .offset:         32
        .size:           8
        .value_kind:     by_value
      - .offset:         40
        .size:           4
        .value_kind:     by_value
      - .offset:         48
        .size:           8
        .value_kind:     by_value
      - .address_space:  global
        .offset:         56
        .size:           8
        .value_kind:     global_buffer
      - .offset:         64
        .size:           8
        .value_kind:     by_value
      - .offset:         72
        .size:           4
        .value_kind:     by_value
      - .offset:         80
        .size:           8
        .value_kind:     by_value
      - .offset:         88
        .size:           4
        .value_kind:     by_value
      - .offset:         96
        .size:           4
        .value_kind:     hidden_block_count_x
      - .offset:         100
        .size:           4
        .value_kind:     hidden_block_count_y
      - .offset:         104
        .size:           4
        .value_kind:     hidden_block_count_z
      - .offset:         108
        .size:           2
        .value_kind:     hidden_group_size_x
      - .offset:         110
        .size:           2
        .value_kind:     hidden_group_size_y
      - .offset:         112
        .size:           2
        .value_kind:     hidden_group_size_z
      - .offset:         114
        .size:           2
        .value_kind:     hidden_remainder_x
      - .offset:         116
        .size:           2
        .value_kind:     hidden_remainder_y
      - .offset:         118
        .size:           2
        .value_kind:     hidden_remainder_z
      - .offset:         136
        .size:           8
        .value_kind:     hidden_global_offset_x
      - .offset:         144
        .size:           8
        .value_kind:     hidden_global_offset_y
      - .offset:         152
        .size:           8
        .value_kind:     hidden_global_offset_z
      - .offset:         160
        .size:           2
        .value_kind:     hidden_grid_dims
    .group_segment_fixed_size: 256
    .kernarg_segment_align: 8
    .kernarg_segment_size: 352
    .language:       OpenCL C
    .language_version:
      - 2
      - 0
    .max_flat_workgroup_size: 8
    .name:           _ZL30rocblas_trsm_small_left_deviceILi8ELi8ELb1EffPKPKfPKPfEv13rocblas_fill_18rocblas_operation_17rocblas_diagonal_iiT3_T4_lilT5_lili
    .private_segment_fixed_size: 0
    .sgpr_count:     45
    .sgpr_spill_count: 0
    .symbol:         _ZL30rocblas_trsm_small_left_deviceILi8ELi8ELb1EffPKPKfPKPfEv13rocblas_fill_18rocblas_operation_17rocblas_diagonal_iiT3_T4_lilT5_lili.kd
    .uniform_work_group_size: 1
    .uses_dynamic_stack: false
    .vgpr_count:     33
    .vgpr_spill_count: 0
    .wavefront_size: 32
    .workgroup_processor_mode: 1
  - .args:
      - .offset:         0
        .size:           4
        .value_kind:     by_value
      - .offset:         4
        .size:           4
        .value_kind:     by_value
      - .offset:         8
        .size:           4
        .value_kind:     by_value
      - .offset:         12
        .size:           4
        .value_kind:     by_value
      - .offset:         16
        .size:           4
        .value_kind:     by_value
      - .offset:         20
        .size:           4
        .value_kind:     by_value
      - .address_space:  global
        .offset:         24
        .size:           8
        .value_kind:     global_buffer
      - .offset:         32
        .size:           8
        .value_kind:     by_value
      - .offset:         40
        .size:           4
        .value_kind:     by_value
      - .offset:         48
        .size:           8
        .value_kind:     by_value
      - .address_space:  global
        .offset:         56
        .size:           8
        .value_kind:     global_buffer
      - .offset:         64
        .size:           8
        .value_kind:     by_value
      - .offset:         72
        .size:           4
        .value_kind:     by_value
      - .offset:         80
        .size:           8
        .value_kind:     by_value
      - .offset:         88
        .size:           4
        .value_kind:     by_value
      - .offset:         96
        .size:           4
        .value_kind:     hidden_block_count_x
      - .offset:         100
        .size:           4
        .value_kind:     hidden_block_count_y
      - .offset:         104
        .size:           4
        .value_kind:     hidden_block_count_z
      - .offset:         108
        .size:           2
        .value_kind:     hidden_group_size_x
      - .offset:         110
        .size:           2
        .value_kind:     hidden_group_size_y
      - .offset:         112
        .size:           2
        .value_kind:     hidden_group_size_z
      - .offset:         114
        .size:           2
        .value_kind:     hidden_remainder_x
      - .offset:         116
        .size:           2
        .value_kind:     hidden_remainder_y
      - .offset:         118
        .size:           2
        .value_kind:     hidden_remainder_z
      - .offset:         136
        .size:           8
        .value_kind:     hidden_global_offset_x
      - .offset:         144
        .size:           8
        .value_kind:     hidden_global_offset_y
      - .offset:         152
        .size:           8
        .value_kind:     hidden_global_offset_z
      - .offset:         160
        .size:           2
        .value_kind:     hidden_grid_dims
    .group_segment_fixed_size: 512
    .kernarg_segment_align: 8
    .kernarg_segment_size: 352
    .language:       OpenCL C
    .language_version:
      - 2
      - 0
    .max_flat_workgroup_size: 8
    .name:           _ZL31rocblas_trsm_small_right_deviceIffPKPKfPKPfLi8EEv13rocblas_fill_18rocblas_operation_17rocblas_diagonal_iiT0_T1_lilT2_lili
    .private_segment_fixed_size: 0
    .sgpr_count:     45
    .sgpr_spill_count: 0
    .symbol:         _ZL31rocblas_trsm_small_right_deviceIffPKPKfPKPfLi8EEv13rocblas_fill_18rocblas_operation_17rocblas_diagonal_iiT0_T1_lilT2_lili.kd
    .uniform_work_group_size: 1
    .uses_dynamic_stack: false
    .vgpr_count:     30
    .vgpr_spill_count: 0
    .wavefront_size: 32
    .workgroup_processor_mode: 1
  - .args:
      - .offset:         0
        .size:           4
        .value_kind:     by_value
      - .offset:         4
        .size:           4
        .value_kind:     by_value
      - .offset:         8
        .size:           4
        .value_kind:     by_value
      - .offset:         12
        .size:           4
        .value_kind:     by_value
      - .offset:         16
        .size:           4
        .value_kind:     by_value
      - .offset:         20
        .size:           4
        .value_kind:     by_value
      - .address_space:  global
        .offset:         24
        .size:           8
        .value_kind:     global_buffer
      - .offset:         32
        .size:           8
        .value_kind:     by_value
      - .offset:         40
        .size:           4
        .value_kind:     by_value
      - .offset:         48
        .size:           8
        .value_kind:     by_value
      - .address_space:  global
        .offset:         56
        .size:           8
        .value_kind:     global_buffer
      - .offset:         64
        .size:           8
        .value_kind:     by_value
      - .offset:         72
        .size:           4
        .value_kind:     by_value
      - .offset:         80
        .size:           8
        .value_kind:     by_value
      - .offset:         88
        .size:           4
        .value_kind:     by_value
      - .offset:         96
        .size:           4
        .value_kind:     hidden_block_count_x
      - .offset:         100
        .size:           4
        .value_kind:     hidden_block_count_y
      - .offset:         104
        .size:           4
        .value_kind:     hidden_block_count_z
      - .offset:         108
        .size:           2
        .value_kind:     hidden_group_size_x
      - .offset:         110
        .size:           2
        .value_kind:     hidden_group_size_y
      - .offset:         112
        .size:           2
        .value_kind:     hidden_group_size_z
      - .offset:         114
        .size:           2
        .value_kind:     hidden_remainder_x
      - .offset:         116
        .size:           2
        .value_kind:     hidden_remainder_y
      - .offset:         118
        .size:           2
        .value_kind:     hidden_remainder_z
      - .offset:         136
        .size:           8
        .value_kind:     hidden_global_offset_x
      - .offset:         144
        .size:           8
        .value_kind:     hidden_global_offset_y
      - .offset:         152
        .size:           8
        .value_kind:     hidden_global_offset_z
      - .offset:         160
        .size:           2
        .value_kind:     hidden_grid_dims
    .group_segment_fixed_size: 1152
    .kernarg_segment_align: 8
    .kernarg_segment_size: 352
    .language:       OpenCL C
    .language_version:
      - 2
      - 0
    .max_flat_workgroup_size: 12
    .name:           _ZL38rocblas_trsm_small_left_device_sharedBILi12ELi12ELb0EffPKPKfPKPfEv13rocblas_fill_18rocblas_operation_17rocblas_diagonal_iiT3_T4_lilT5_lili
    .private_segment_fixed_size: 0
    .sgpr_count:     45
    .sgpr_spill_count: 0
    .symbol:         _ZL38rocblas_trsm_small_left_device_sharedBILi12ELi12ELb0EffPKPKfPKPfEv13rocblas_fill_18rocblas_operation_17rocblas_diagonal_iiT3_T4_lilT5_lili.kd
    .uniform_work_group_size: 1
    .uses_dynamic_stack: false
    .vgpr_count:     37
    .vgpr_spill_count: 0
    .wavefront_size: 32
    .workgroup_processor_mode: 1
  - .args:
      - .offset:         0
        .size:           4
        .value_kind:     by_value
      - .offset:         4
        .size:           4
        .value_kind:     by_value
      - .offset:         8
        .size:           4
        .value_kind:     by_value
      - .offset:         12
        .size:           4
        .value_kind:     by_value
      - .offset:         16
        .size:           4
        .value_kind:     by_value
      - .offset:         20
        .size:           4
        .value_kind:     by_value
      - .address_space:  global
        .offset:         24
        .size:           8
        .value_kind:     global_buffer
      - .offset:         32
        .size:           8
        .value_kind:     by_value
      - .offset:         40
        .size:           4
        .value_kind:     by_value
      - .offset:         48
        .size:           8
        .value_kind:     by_value
      - .address_space:  global
        .offset:         56
        .size:           8
        .value_kind:     global_buffer
      - .offset:         64
        .size:           8
        .value_kind:     by_value
      - .offset:         72
        .size:           4
        .value_kind:     by_value
      - .offset:         80
        .size:           8
        .value_kind:     by_value
      - .offset:         88
        .size:           4
        .value_kind:     by_value
      - .offset:         96
        .size:           4
        .value_kind:     hidden_block_count_x
      - .offset:         100
        .size:           4
        .value_kind:     hidden_block_count_y
      - .offset:         104
        .size:           4
        .value_kind:     hidden_block_count_z
      - .offset:         108
        .size:           2
        .value_kind:     hidden_group_size_x
      - .offset:         110
        .size:           2
        .value_kind:     hidden_group_size_y
      - .offset:         112
        .size:           2
        .value_kind:     hidden_group_size_z
      - .offset:         114
        .size:           2
        .value_kind:     hidden_remainder_x
      - .offset:         116
        .size:           2
        .value_kind:     hidden_remainder_y
      - .offset:         118
        .size:           2
        .value_kind:     hidden_remainder_z
      - .offset:         136
        .size:           8
        .value_kind:     hidden_global_offset_x
      - .offset:         144
        .size:           8
        .value_kind:     hidden_global_offset_y
      - .offset:         152
        .size:           8
        .value_kind:     hidden_global_offset_z
      - .offset:         160
        .size:           2
        .value_kind:     hidden_grid_dims
    .group_segment_fixed_size: 576
    .kernarg_segment_align: 8
    .kernarg_segment_size: 352
    .language:       OpenCL C
    .language_version:
      - 2
      - 0
    .max_flat_workgroup_size: 12
    .name:           _ZL30rocblas_trsm_small_left_deviceILi12ELi12ELb0EffPKPKfPKPfEv13rocblas_fill_18rocblas_operation_17rocblas_diagonal_iiT3_T4_lilT5_lili
    .private_segment_fixed_size: 0
    .sgpr_count:     46
    .sgpr_spill_count: 0
    .symbol:         _ZL30rocblas_trsm_small_left_deviceILi12ELi12ELb0EffPKPKfPKPfEv13rocblas_fill_18rocblas_operation_17rocblas_diagonal_iiT3_T4_lilT5_lili.kd
    .uniform_work_group_size: 1
    .uses_dynamic_stack: false
    .vgpr_count:     43
    .vgpr_spill_count: 0
    .wavefront_size: 32
    .workgroup_processor_mode: 1
  - .args:
      - .offset:         0
        .size:           4
        .value_kind:     by_value
      - .offset:         4
        .size:           4
        .value_kind:     by_value
      - .offset:         8
        .size:           4
        .value_kind:     by_value
      - .offset:         12
        .size:           4
        .value_kind:     by_value
      - .offset:         16
        .size:           4
        .value_kind:     by_value
      - .offset:         20
        .size:           4
        .value_kind:     by_value
      - .address_space:  global
        .offset:         24
        .size:           8
        .value_kind:     global_buffer
      - .offset:         32
        .size:           8
        .value_kind:     by_value
      - .offset:         40
        .size:           4
        .value_kind:     by_value
      - .offset:         48
        .size:           8
        .value_kind:     by_value
      - .address_space:  global
        .offset:         56
        .size:           8
        .value_kind:     global_buffer
      - .offset:         64
        .size:           8
        .value_kind:     by_value
      - .offset:         72
        .size:           4
        .value_kind:     by_value
      - .offset:         80
        .size:           8
        .value_kind:     by_value
      - .offset:         88
        .size:           4
        .value_kind:     by_value
      - .offset:         96
        .size:           4
        .value_kind:     hidden_block_count_x
      - .offset:         100
        .size:           4
        .value_kind:     hidden_block_count_y
      - .offset:         104
        .size:           4
        .value_kind:     hidden_block_count_z
      - .offset:         108
        .size:           2
        .value_kind:     hidden_group_size_x
      - .offset:         110
        .size:           2
        .value_kind:     hidden_group_size_y
      - .offset:         112
        .size:           2
        .value_kind:     hidden_group_size_z
      - .offset:         114
        .size:           2
        .value_kind:     hidden_remainder_x
      - .offset:         116
        .size:           2
        .value_kind:     hidden_remainder_y
      - .offset:         118
        .size:           2
        .value_kind:     hidden_remainder_z
      - .offset:         136
        .size:           8
        .value_kind:     hidden_global_offset_x
      - .offset:         144
        .size:           8
        .value_kind:     hidden_global_offset_y
      - .offset:         152
        .size:           8
        .value_kind:     hidden_global_offset_z
      - .offset:         160
        .size:           2
        .value_kind:     hidden_grid_dims
    .group_segment_fixed_size: 1152
    .kernarg_segment_align: 8
    .kernarg_segment_size: 352
    .language:       OpenCL C
    .language_version:
      - 2
      - 0
    .max_flat_workgroup_size: 12
    .name:           _ZL38rocblas_trsm_small_left_device_sharedBILi12ELi12ELb1EffPKPKfPKPfEv13rocblas_fill_18rocblas_operation_17rocblas_diagonal_iiT3_T4_lilT5_lili
    .private_segment_fixed_size: 0
    .sgpr_count:     45
    .sgpr_spill_count: 0
    .symbol:         _ZL38rocblas_trsm_small_left_device_sharedBILi12ELi12ELb1EffPKPKfPKPfEv13rocblas_fill_18rocblas_operation_17rocblas_diagonal_iiT3_T4_lilT5_lili.kd
    .uniform_work_group_size: 1
    .uses_dynamic_stack: false
    .vgpr_count:     37
    .vgpr_spill_count: 0
    .wavefront_size: 32
    .workgroup_processor_mode: 1
  - .args:
      - .offset:         0
        .size:           4
        .value_kind:     by_value
      - .offset:         4
        .size:           4
        .value_kind:     by_value
      - .offset:         8
        .size:           4
        .value_kind:     by_value
      - .offset:         12
        .size:           4
        .value_kind:     by_value
      - .offset:         16
        .size:           4
        .value_kind:     by_value
      - .offset:         20
        .size:           4
        .value_kind:     by_value
      - .address_space:  global
        .offset:         24
        .size:           8
        .value_kind:     global_buffer
      - .offset:         32
        .size:           8
        .value_kind:     by_value
      - .offset:         40
        .size:           4
        .value_kind:     by_value
      - .offset:         48
        .size:           8
        .value_kind:     by_value
      - .address_space:  global
        .offset:         56
        .size:           8
        .value_kind:     global_buffer
      - .offset:         64
        .size:           8
        .value_kind:     by_value
      - .offset:         72
        .size:           4
        .value_kind:     by_value
      - .offset:         80
        .size:           8
        .value_kind:     by_value
      - .offset:         88
        .size:           4
        .value_kind:     by_value
      - .offset:         96
        .size:           4
        .value_kind:     hidden_block_count_x
      - .offset:         100
        .size:           4
        .value_kind:     hidden_block_count_y
      - .offset:         104
        .size:           4
        .value_kind:     hidden_block_count_z
      - .offset:         108
        .size:           2
        .value_kind:     hidden_group_size_x
      - .offset:         110
        .size:           2
        .value_kind:     hidden_group_size_y
      - .offset:         112
        .size:           2
        .value_kind:     hidden_group_size_z
      - .offset:         114
        .size:           2
        .value_kind:     hidden_remainder_x
      - .offset:         116
        .size:           2
        .value_kind:     hidden_remainder_y
      - .offset:         118
        .size:           2
        .value_kind:     hidden_remainder_z
      - .offset:         136
        .size:           8
        .value_kind:     hidden_global_offset_x
      - .offset:         144
        .size:           8
        .value_kind:     hidden_global_offset_y
      - .offset:         152
        .size:           8
        .value_kind:     hidden_global_offset_z
      - .offset:         160
        .size:           2
        .value_kind:     hidden_grid_dims
    .group_segment_fixed_size: 576
    .kernarg_segment_align: 8
    .kernarg_segment_size: 352
    .language:       OpenCL C
    .language_version:
      - 2
      - 0
    .max_flat_workgroup_size: 12
    .name:           _ZL30rocblas_trsm_small_left_deviceILi12ELi12ELb1EffPKPKfPKPfEv13rocblas_fill_18rocblas_operation_17rocblas_diagonal_iiT3_T4_lilT5_lili
    .private_segment_fixed_size: 0
    .sgpr_count:     45
    .sgpr_spill_count: 0
    .symbol:         _ZL30rocblas_trsm_small_left_deviceILi12ELi12ELb1EffPKPKfPKPfEv13rocblas_fill_18rocblas_operation_17rocblas_diagonal_iiT3_T4_lilT5_lili.kd
    .uniform_work_group_size: 1
    .uses_dynamic_stack: false
    .vgpr_count:     41
    .vgpr_spill_count: 0
    .wavefront_size: 32
    .workgroup_processor_mode: 1
  - .args:
      - .offset:         0
        .size:           4
        .value_kind:     by_value
      - .offset:         4
        .size:           4
        .value_kind:     by_value
      - .offset:         8
        .size:           4
        .value_kind:     by_value
      - .offset:         12
        .size:           4
        .value_kind:     by_value
      - .offset:         16
        .size:           4
        .value_kind:     by_value
      - .offset:         20
        .size:           4
        .value_kind:     by_value
      - .address_space:  global
        .offset:         24
        .size:           8
        .value_kind:     global_buffer
      - .offset:         32
        .size:           8
        .value_kind:     by_value
      - .offset:         40
        .size:           4
        .value_kind:     by_value
      - .offset:         48
        .size:           8
        .value_kind:     by_value
      - .address_space:  global
        .offset:         56
        .size:           8
        .value_kind:     global_buffer
      - .offset:         64
        .size:           8
        .value_kind:     by_value
      - .offset:         72
        .size:           4
        .value_kind:     by_value
      - .offset:         80
        .size:           8
        .value_kind:     by_value
      - .offset:         88
        .size:           4
        .value_kind:     by_value
      - .offset:         96
        .size:           4
        .value_kind:     hidden_block_count_x
      - .offset:         100
        .size:           4
        .value_kind:     hidden_block_count_y
      - .offset:         104
        .size:           4
        .value_kind:     hidden_block_count_z
      - .offset:         108
        .size:           2
        .value_kind:     hidden_group_size_x
      - .offset:         110
        .size:           2
        .value_kind:     hidden_group_size_y
      - .offset:         112
        .size:           2
        .value_kind:     hidden_group_size_z
      - .offset:         114
        .size:           2
        .value_kind:     hidden_remainder_x
      - .offset:         116
        .size:           2
        .value_kind:     hidden_remainder_y
      - .offset:         118
        .size:           2
        .value_kind:     hidden_remainder_z
      - .offset:         136
        .size:           8
        .value_kind:     hidden_global_offset_x
      - .offset:         144
        .size:           8
        .value_kind:     hidden_global_offset_y
      - .offset:         152
        .size:           8
        .value_kind:     hidden_global_offset_z
      - .offset:         160
        .size:           2
        .value_kind:     hidden_grid_dims
    .group_segment_fixed_size: 1152
    .kernarg_segment_align: 8
    .kernarg_segment_size: 352
    .language:       OpenCL C
    .language_version:
      - 2
      - 0
    .max_flat_workgroup_size: 12
    .name:           _ZL31rocblas_trsm_small_right_deviceIffPKPKfPKPfLi12EEv13rocblas_fill_18rocblas_operation_17rocblas_diagonal_iiT0_T1_lilT2_lili
    .private_segment_fixed_size: 0
    .sgpr_count:     44
    .sgpr_spill_count: 0
    .symbol:         _ZL31rocblas_trsm_small_right_deviceIffPKPKfPKPfLi12EEv13rocblas_fill_18rocblas_operation_17rocblas_diagonal_iiT0_T1_lilT2_lili.kd
    .uniform_work_group_size: 1
    .uses_dynamic_stack: false
    .vgpr_count:     30
    .vgpr_spill_count: 0
    .wavefront_size: 32
    .workgroup_processor_mode: 1
  - .args:
      - .offset:         0
        .size:           4
        .value_kind:     by_value
      - .offset:         4
        .size:           4
        .value_kind:     by_value
      - .offset:         8
        .size:           4
        .value_kind:     by_value
      - .offset:         12
        .size:           4
        .value_kind:     by_value
      - .offset:         16
        .size:           4
        .value_kind:     by_value
      - .offset:         20
        .size:           4
        .value_kind:     by_value
      - .address_space:  global
        .offset:         24
        .size:           8
        .value_kind:     global_buffer
      - .offset:         32
        .size:           8
        .value_kind:     by_value
      - .offset:         40
        .size:           4
        .value_kind:     by_value
      - .offset:         48
        .size:           8
        .value_kind:     by_value
      - .address_space:  global
        .offset:         56
        .size:           8
        .value_kind:     global_buffer
      - .offset:         64
        .size:           8
        .value_kind:     by_value
      - .offset:         72
        .size:           4
        .value_kind:     by_value
      - .offset:         80
        .size:           8
        .value_kind:     by_value
      - .offset:         88
        .size:           4
        .value_kind:     by_value
      - .offset:         96
        .size:           4
        .value_kind:     hidden_block_count_x
      - .offset:         100
        .size:           4
        .value_kind:     hidden_block_count_y
      - .offset:         104
        .size:           4
        .value_kind:     hidden_block_count_z
      - .offset:         108
        .size:           2
        .value_kind:     hidden_group_size_x
      - .offset:         110
        .size:           2
        .value_kind:     hidden_group_size_y
      - .offset:         112
        .size:           2
        .value_kind:     hidden_group_size_z
      - .offset:         114
        .size:           2
        .value_kind:     hidden_remainder_x
      - .offset:         116
        .size:           2
        .value_kind:     hidden_remainder_y
      - .offset:         118
        .size:           2
        .value_kind:     hidden_remainder_z
      - .offset:         136
        .size:           8
        .value_kind:     hidden_global_offset_x
      - .offset:         144
        .size:           8
        .value_kind:     hidden_global_offset_y
      - .offset:         152
        .size:           8
        .value_kind:     hidden_global_offset_z
      - .offset:         160
        .size:           2
        .value_kind:     hidden_grid_dims
    .group_segment_fixed_size: 2048
    .kernarg_segment_align: 8
    .kernarg_segment_size: 352
    .language:       OpenCL C
    .language_version:
      - 2
      - 0
    .max_flat_workgroup_size: 16
    .name:           _ZL38rocblas_trsm_small_left_device_sharedBILi16ELi16ELb0EffPKPKfPKPfEv13rocblas_fill_18rocblas_operation_17rocblas_diagonal_iiT3_T4_lilT5_lili
    .private_segment_fixed_size: 0
    .sgpr_count:     45
    .sgpr_spill_count: 0
    .symbol:         _ZL38rocblas_trsm_small_left_device_sharedBILi16ELi16ELb0EffPKPKfPKPfEv13rocblas_fill_18rocblas_operation_17rocblas_diagonal_iiT3_T4_lilT5_lili.kd
    .uniform_work_group_size: 1
    .uses_dynamic_stack: false
    .vgpr_count:     45
    .vgpr_spill_count: 0
    .wavefront_size: 32
    .workgroup_processor_mode: 1
  - .args:
      - .offset:         0
        .size:           4
        .value_kind:     by_value
      - .offset:         4
        .size:           4
        .value_kind:     by_value
      - .offset:         8
        .size:           4
        .value_kind:     by_value
      - .offset:         12
        .size:           4
        .value_kind:     by_value
      - .offset:         16
        .size:           4
        .value_kind:     by_value
      - .offset:         20
        .size:           4
        .value_kind:     by_value
      - .address_space:  global
        .offset:         24
        .size:           8
        .value_kind:     global_buffer
      - .offset:         32
        .size:           8
        .value_kind:     by_value
      - .offset:         40
        .size:           4
        .value_kind:     by_value
      - .offset:         48
        .size:           8
        .value_kind:     by_value
      - .address_space:  global
        .offset:         56
        .size:           8
        .value_kind:     global_buffer
      - .offset:         64
        .size:           8
        .value_kind:     by_value
      - .offset:         72
        .size:           4
        .value_kind:     by_value
      - .offset:         80
        .size:           8
        .value_kind:     by_value
      - .offset:         88
        .size:           4
        .value_kind:     by_value
      - .offset:         96
        .size:           4
        .value_kind:     hidden_block_count_x
      - .offset:         100
        .size:           4
        .value_kind:     hidden_block_count_y
      - .offset:         104
        .size:           4
        .value_kind:     hidden_block_count_z
      - .offset:         108
        .size:           2
        .value_kind:     hidden_group_size_x
      - .offset:         110
        .size:           2
        .value_kind:     hidden_group_size_y
      - .offset:         112
        .size:           2
        .value_kind:     hidden_group_size_z
      - .offset:         114
        .size:           2
        .value_kind:     hidden_remainder_x
      - .offset:         116
        .size:           2
        .value_kind:     hidden_remainder_y
      - .offset:         118
        .size:           2
        .value_kind:     hidden_remainder_z
      - .offset:         136
        .size:           8
        .value_kind:     hidden_global_offset_x
      - .offset:         144
        .size:           8
        .value_kind:     hidden_global_offset_y
      - .offset:         152
        .size:           8
        .value_kind:     hidden_global_offset_z
      - .offset:         160
        .size:           2
        .value_kind:     hidden_grid_dims
    .group_segment_fixed_size: 1024
    .kernarg_segment_align: 8
    .kernarg_segment_size: 352
    .language:       OpenCL C
    .language_version:
      - 2
      - 0
    .max_flat_workgroup_size: 16
    .name:           _ZL30rocblas_trsm_small_left_deviceILi16ELi16ELb0EffPKPKfPKPfEv13rocblas_fill_18rocblas_operation_17rocblas_diagonal_iiT3_T4_lilT5_lili
    .private_segment_fixed_size: 0
    .sgpr_count:     46
    .sgpr_spill_count: 0
    .symbol:         _ZL30rocblas_trsm_small_left_deviceILi16ELi16ELb0EffPKPKfPKPfEv13rocblas_fill_18rocblas_operation_17rocblas_diagonal_iiT3_T4_lilT5_lili.kd
    .uniform_work_group_size: 1
    .uses_dynamic_stack: false
    .vgpr_count:     51
    .vgpr_spill_count: 0
    .wavefront_size: 32
    .workgroup_processor_mode: 1
  - .args:
      - .offset:         0
        .size:           4
        .value_kind:     by_value
      - .offset:         4
        .size:           4
        .value_kind:     by_value
      - .offset:         8
        .size:           4
        .value_kind:     by_value
      - .offset:         12
        .size:           4
        .value_kind:     by_value
      - .offset:         16
        .size:           4
        .value_kind:     by_value
      - .offset:         20
        .size:           4
        .value_kind:     by_value
      - .address_space:  global
        .offset:         24
        .size:           8
        .value_kind:     global_buffer
      - .offset:         32
        .size:           8
        .value_kind:     by_value
      - .offset:         40
        .size:           4
        .value_kind:     by_value
      - .offset:         48
        .size:           8
        .value_kind:     by_value
      - .address_space:  global
        .offset:         56
        .size:           8
        .value_kind:     global_buffer
      - .offset:         64
        .size:           8
        .value_kind:     by_value
      - .offset:         72
        .size:           4
        .value_kind:     by_value
      - .offset:         80
        .size:           8
        .value_kind:     by_value
      - .offset:         88
        .size:           4
        .value_kind:     by_value
      - .offset:         96
        .size:           4
        .value_kind:     hidden_block_count_x
      - .offset:         100
        .size:           4
        .value_kind:     hidden_block_count_y
      - .offset:         104
        .size:           4
        .value_kind:     hidden_block_count_z
      - .offset:         108
        .size:           2
        .value_kind:     hidden_group_size_x
      - .offset:         110
        .size:           2
        .value_kind:     hidden_group_size_y
      - .offset:         112
        .size:           2
        .value_kind:     hidden_group_size_z
      - .offset:         114
        .size:           2
        .value_kind:     hidden_remainder_x
      - .offset:         116
        .size:           2
        .value_kind:     hidden_remainder_y
      - .offset:         118
        .size:           2
        .value_kind:     hidden_remainder_z
      - .offset:         136
        .size:           8
        .value_kind:     hidden_global_offset_x
      - .offset:         144
        .size:           8
        .value_kind:     hidden_global_offset_y
      - .offset:         152
        .size:           8
        .value_kind:     hidden_global_offset_z
      - .offset:         160
        .size:           2
        .value_kind:     hidden_grid_dims
    .group_segment_fixed_size: 2048
    .kernarg_segment_align: 8
    .kernarg_segment_size: 352
    .language:       OpenCL C
    .language_version:
      - 2
      - 0
    .max_flat_workgroup_size: 16
    .name:           _ZL38rocblas_trsm_small_left_device_sharedBILi16ELi16ELb1EffPKPKfPKPfEv13rocblas_fill_18rocblas_operation_17rocblas_diagonal_iiT3_T4_lilT5_lili
    .private_segment_fixed_size: 0
    .sgpr_count:     45
    .sgpr_spill_count: 0
    .symbol:         _ZL38rocblas_trsm_small_left_device_sharedBILi16ELi16ELb1EffPKPKfPKPfEv13rocblas_fill_18rocblas_operation_17rocblas_diagonal_iiT3_T4_lilT5_lili.kd
    .uniform_work_group_size: 1
    .uses_dynamic_stack: false
    .vgpr_count:     45
    .vgpr_spill_count: 0
    .wavefront_size: 32
    .workgroup_processor_mode: 1
  - .args:
      - .offset:         0
        .size:           4
        .value_kind:     by_value
      - .offset:         4
        .size:           4
        .value_kind:     by_value
      - .offset:         8
        .size:           4
        .value_kind:     by_value
      - .offset:         12
        .size:           4
        .value_kind:     by_value
      - .offset:         16
        .size:           4
        .value_kind:     by_value
      - .offset:         20
        .size:           4
        .value_kind:     by_value
      - .address_space:  global
        .offset:         24
        .size:           8
        .value_kind:     global_buffer
      - .offset:         32
        .size:           8
        .value_kind:     by_value
      - .offset:         40
        .size:           4
        .value_kind:     by_value
      - .offset:         48
        .size:           8
        .value_kind:     by_value
      - .address_space:  global
        .offset:         56
        .size:           8
        .value_kind:     global_buffer
      - .offset:         64
        .size:           8
        .value_kind:     by_value
      - .offset:         72
        .size:           4
        .value_kind:     by_value
      - .offset:         80
        .size:           8
        .value_kind:     by_value
      - .offset:         88
        .size:           4
        .value_kind:     by_value
      - .offset:         96
        .size:           4
        .value_kind:     hidden_block_count_x
      - .offset:         100
        .size:           4
        .value_kind:     hidden_block_count_y
      - .offset:         104
        .size:           4
        .value_kind:     hidden_block_count_z
      - .offset:         108
        .size:           2
        .value_kind:     hidden_group_size_x
      - .offset:         110
        .size:           2
        .value_kind:     hidden_group_size_y
      - .offset:         112
        .size:           2
        .value_kind:     hidden_group_size_z
      - .offset:         114
        .size:           2
        .value_kind:     hidden_remainder_x
      - .offset:         116
        .size:           2
        .value_kind:     hidden_remainder_y
      - .offset:         118
        .size:           2
        .value_kind:     hidden_remainder_z
      - .offset:         136
        .size:           8
        .value_kind:     hidden_global_offset_x
      - .offset:         144
        .size:           8
        .value_kind:     hidden_global_offset_y
      - .offset:         152
        .size:           8
        .value_kind:     hidden_global_offset_z
      - .offset:         160
        .size:           2
        .value_kind:     hidden_grid_dims
    .group_segment_fixed_size: 1024
    .kernarg_segment_align: 8
    .kernarg_segment_size: 352
    .language:       OpenCL C
    .language_version:
      - 2
      - 0
    .max_flat_workgroup_size: 16
    .name:           _ZL30rocblas_trsm_small_left_deviceILi16ELi16ELb1EffPKPKfPKPfEv13rocblas_fill_18rocblas_operation_17rocblas_diagonal_iiT3_T4_lilT5_lili
    .private_segment_fixed_size: 0
    .sgpr_count:     45
    .sgpr_spill_count: 0
    .symbol:         _ZL30rocblas_trsm_small_left_deviceILi16ELi16ELb1EffPKPKfPKPfEv13rocblas_fill_18rocblas_operation_17rocblas_diagonal_iiT3_T4_lilT5_lili.kd
    .uniform_work_group_size: 1
    .uses_dynamic_stack: false
    .vgpr_count:     49
    .vgpr_spill_count: 0
    .wavefront_size: 32
    .workgroup_processor_mode: 1
  - .args:
      - .offset:         0
        .size:           4
        .value_kind:     by_value
      - .offset:         4
        .size:           4
        .value_kind:     by_value
      - .offset:         8
        .size:           4
        .value_kind:     by_value
      - .offset:         12
        .size:           4
        .value_kind:     by_value
      - .offset:         16
        .size:           4
        .value_kind:     by_value
      - .offset:         20
        .size:           4
        .value_kind:     by_value
      - .address_space:  global
        .offset:         24
        .size:           8
        .value_kind:     global_buffer
      - .offset:         32
        .size:           8
        .value_kind:     by_value
      - .offset:         40
        .size:           4
        .value_kind:     by_value
      - .offset:         48
        .size:           8
        .value_kind:     by_value
      - .address_space:  global
        .offset:         56
        .size:           8
        .value_kind:     global_buffer
      - .offset:         64
        .size:           8
        .value_kind:     by_value
      - .offset:         72
        .size:           4
        .value_kind:     by_value
      - .offset:         80
        .size:           8
        .value_kind:     by_value
      - .offset:         88
        .size:           4
        .value_kind:     by_value
      - .offset:         96
        .size:           4
        .value_kind:     hidden_block_count_x
      - .offset:         100
        .size:           4
        .value_kind:     hidden_block_count_y
      - .offset:         104
        .size:           4
        .value_kind:     hidden_block_count_z
      - .offset:         108
        .size:           2
        .value_kind:     hidden_group_size_x
      - .offset:         110
        .size:           2
        .value_kind:     hidden_group_size_y
      - .offset:         112
        .size:           2
        .value_kind:     hidden_group_size_z
      - .offset:         114
        .size:           2
        .value_kind:     hidden_remainder_x
      - .offset:         116
        .size:           2
        .value_kind:     hidden_remainder_y
      - .offset:         118
        .size:           2
        .value_kind:     hidden_remainder_z
      - .offset:         136
        .size:           8
        .value_kind:     hidden_global_offset_x
      - .offset:         144
        .size:           8
        .value_kind:     hidden_global_offset_y
      - .offset:         152
        .size:           8
        .value_kind:     hidden_global_offset_z
      - .offset:         160
        .size:           2
        .value_kind:     hidden_grid_dims
    .group_segment_fixed_size: 2048
    .kernarg_segment_align: 8
    .kernarg_segment_size: 352
    .language:       OpenCL C
    .language_version:
      - 2
      - 0
    .max_flat_workgroup_size: 16
    .name:           _ZL31rocblas_trsm_small_right_deviceIffPKPKfPKPfLi16EEv13rocblas_fill_18rocblas_operation_17rocblas_diagonal_iiT0_T1_lilT2_lili
    .private_segment_fixed_size: 0
    .sgpr_count:     45
    .sgpr_spill_count: 0
    .symbol:         _ZL31rocblas_trsm_small_right_deviceIffPKPKfPKPfLi16EEv13rocblas_fill_18rocblas_operation_17rocblas_diagonal_iiT0_T1_lilT2_lili.kd
    .uniform_work_group_size: 1
    .uses_dynamic_stack: false
    .vgpr_count:     30
    .vgpr_spill_count: 0
    .wavefront_size: 32
    .workgroup_processor_mode: 1
  - .args:
      - .offset:         0
        .size:           4
        .value_kind:     by_value
      - .offset:         4
        .size:           4
        .value_kind:     by_value
      - .offset:         8
        .size:           4
        .value_kind:     by_value
      - .offset:         12
        .size:           4
        .value_kind:     by_value
      - .offset:         16
        .size:           4
        .value_kind:     by_value
      - .offset:         20
        .size:           4
        .value_kind:     by_value
      - .address_space:  global
        .offset:         24
        .size:           8
        .value_kind:     global_buffer
      - .offset:         32
        .size:           8
        .value_kind:     by_value
      - .offset:         40
        .size:           4
        .value_kind:     by_value
      - .offset:         48
        .size:           8
        .value_kind:     by_value
      - .address_space:  global
        .offset:         56
        .size:           8
        .value_kind:     global_buffer
      - .offset:         64
        .size:           8
        .value_kind:     by_value
      - .offset:         72
        .size:           4
        .value_kind:     by_value
      - .offset:         80
        .size:           8
        .value_kind:     by_value
      - .offset:         88
        .size:           4
        .value_kind:     by_value
      - .offset:         96
        .size:           4
        .value_kind:     hidden_block_count_x
      - .offset:         100
        .size:           4
        .value_kind:     hidden_block_count_y
      - .offset:         104
        .size:           4
        .value_kind:     hidden_block_count_z
      - .offset:         108
        .size:           2
        .value_kind:     hidden_group_size_x
      - .offset:         110
        .size:           2
        .value_kind:     hidden_group_size_y
      - .offset:         112
        .size:           2
        .value_kind:     hidden_group_size_z
      - .offset:         114
        .size:           2
        .value_kind:     hidden_remainder_x
      - .offset:         116
        .size:           2
        .value_kind:     hidden_remainder_y
      - .offset:         118
        .size:           2
        .value_kind:     hidden_remainder_z
      - .offset:         136
        .size:           8
        .value_kind:     hidden_global_offset_x
      - .offset:         144
        .size:           8
        .value_kind:     hidden_global_offset_y
      - .offset:         152
        .size:           8
        .value_kind:     hidden_global_offset_z
      - .offset:         160
        .size:           2
        .value_kind:     hidden_grid_dims
    .group_segment_fixed_size: 3200
    .kernarg_segment_align: 8
    .kernarg_segment_size: 352
    .language:       OpenCL C
    .language_version:
      - 2
      - 0
    .max_flat_workgroup_size: 20
    .name:           _ZL38rocblas_trsm_small_left_device_sharedBILi20ELi20ELb0EffPKPKfPKPfEv13rocblas_fill_18rocblas_operation_17rocblas_diagonal_iiT3_T4_lilT5_lili
    .private_segment_fixed_size: 0
    .sgpr_count:     45
    .sgpr_spill_count: 0
    .symbol:         _ZL38rocblas_trsm_small_left_device_sharedBILi20ELi20ELb0EffPKPKfPKPfEv13rocblas_fill_18rocblas_operation_17rocblas_diagonal_iiT3_T4_lilT5_lili.kd
    .uniform_work_group_size: 1
    .uses_dynamic_stack: false
    .vgpr_count:     77
    .vgpr_spill_count: 0
    .wavefront_size: 32
    .workgroup_processor_mode: 1
  - .args:
      - .offset:         0
        .size:           4
        .value_kind:     by_value
      - .offset:         4
        .size:           4
        .value_kind:     by_value
      - .offset:         8
        .size:           4
        .value_kind:     by_value
      - .offset:         12
        .size:           4
        .value_kind:     by_value
      - .offset:         16
        .size:           4
        .value_kind:     by_value
      - .offset:         20
        .size:           4
        .value_kind:     by_value
      - .address_space:  global
        .offset:         24
        .size:           8
        .value_kind:     global_buffer
      - .offset:         32
        .size:           8
        .value_kind:     by_value
      - .offset:         40
        .size:           4
        .value_kind:     by_value
      - .offset:         48
        .size:           8
        .value_kind:     by_value
      - .address_space:  global
        .offset:         56
        .size:           8
        .value_kind:     global_buffer
      - .offset:         64
        .size:           8
        .value_kind:     by_value
      - .offset:         72
        .size:           4
        .value_kind:     by_value
      - .offset:         80
        .size:           8
        .value_kind:     by_value
      - .offset:         88
        .size:           4
        .value_kind:     by_value
      - .offset:         96
        .size:           4
        .value_kind:     hidden_block_count_x
      - .offset:         100
        .size:           4
        .value_kind:     hidden_block_count_y
      - .offset:         104
        .size:           4
        .value_kind:     hidden_block_count_z
      - .offset:         108
        .size:           2
        .value_kind:     hidden_group_size_x
      - .offset:         110
        .size:           2
        .value_kind:     hidden_group_size_y
      - .offset:         112
        .size:           2
        .value_kind:     hidden_group_size_z
      - .offset:         114
        .size:           2
        .value_kind:     hidden_remainder_x
      - .offset:         116
        .size:           2
        .value_kind:     hidden_remainder_y
      - .offset:         118
        .size:           2
        .value_kind:     hidden_remainder_z
      - .offset:         136
        .size:           8
        .value_kind:     hidden_global_offset_x
      - .offset:         144
        .size:           8
        .value_kind:     hidden_global_offset_y
      - .offset:         152
        .size:           8
        .value_kind:     hidden_global_offset_z
      - .offset:         160
        .size:           2
        .value_kind:     hidden_grid_dims
    .group_segment_fixed_size: 1600
    .kernarg_segment_align: 8
    .kernarg_segment_size: 352
    .language:       OpenCL C
    .language_version:
      - 2
      - 0
    .max_flat_workgroup_size: 20
    .name:           _ZL30rocblas_trsm_small_left_deviceILi20ELi20ELb0EffPKPKfPKPfEv13rocblas_fill_18rocblas_operation_17rocblas_diagonal_iiT3_T4_lilT5_lili
    .private_segment_fixed_size: 0
    .sgpr_count:     46
    .sgpr_spill_count: 0
    .symbol:         _ZL30rocblas_trsm_small_left_deviceILi20ELi20ELb0EffPKPKfPKPfEv13rocblas_fill_18rocblas_operation_17rocblas_diagonal_iiT3_T4_lilT5_lili.kd
    .uniform_work_group_size: 1
    .uses_dynamic_stack: false
    .vgpr_count:     83
    .vgpr_spill_count: 0
    .wavefront_size: 32
    .workgroup_processor_mode: 1
  - .args:
      - .offset:         0
        .size:           4
        .value_kind:     by_value
      - .offset:         4
        .size:           4
        .value_kind:     by_value
      - .offset:         8
        .size:           4
        .value_kind:     by_value
      - .offset:         12
        .size:           4
        .value_kind:     by_value
      - .offset:         16
        .size:           4
        .value_kind:     by_value
      - .offset:         20
        .size:           4
        .value_kind:     by_value
      - .address_space:  global
        .offset:         24
        .size:           8
        .value_kind:     global_buffer
      - .offset:         32
        .size:           8
        .value_kind:     by_value
      - .offset:         40
        .size:           4
        .value_kind:     by_value
      - .offset:         48
        .size:           8
        .value_kind:     by_value
      - .address_space:  global
        .offset:         56
        .size:           8
        .value_kind:     global_buffer
      - .offset:         64
        .size:           8
        .value_kind:     by_value
      - .offset:         72
        .size:           4
        .value_kind:     by_value
      - .offset:         80
        .size:           8
        .value_kind:     by_value
      - .offset:         88
        .size:           4
        .value_kind:     by_value
      - .offset:         96
        .size:           4
        .value_kind:     hidden_block_count_x
      - .offset:         100
        .size:           4
        .value_kind:     hidden_block_count_y
      - .offset:         104
        .size:           4
        .value_kind:     hidden_block_count_z
      - .offset:         108
        .size:           2
        .value_kind:     hidden_group_size_x
      - .offset:         110
        .size:           2
        .value_kind:     hidden_group_size_y
      - .offset:         112
        .size:           2
        .value_kind:     hidden_group_size_z
      - .offset:         114
        .size:           2
        .value_kind:     hidden_remainder_x
      - .offset:         116
        .size:           2
        .value_kind:     hidden_remainder_y
      - .offset:         118
        .size:           2
        .value_kind:     hidden_remainder_z
      - .offset:         136
        .size:           8
        .value_kind:     hidden_global_offset_x
      - .offset:         144
        .size:           8
        .value_kind:     hidden_global_offset_y
      - .offset:         152
        .size:           8
        .value_kind:     hidden_global_offset_z
      - .offset:         160
        .size:           2
        .value_kind:     hidden_grid_dims
    .group_segment_fixed_size: 3200
    .kernarg_segment_align: 8
    .kernarg_segment_size: 352
    .language:       OpenCL C
    .language_version:
      - 2
      - 0
    .max_flat_workgroup_size: 20
    .name:           _ZL38rocblas_trsm_small_left_device_sharedBILi20ELi20ELb1EffPKPKfPKPfEv13rocblas_fill_18rocblas_operation_17rocblas_diagonal_iiT3_T4_lilT5_lili
    .private_segment_fixed_size: 0
    .sgpr_count:     45
    .sgpr_spill_count: 0
    .symbol:         _ZL38rocblas_trsm_small_left_device_sharedBILi20ELi20ELb1EffPKPKfPKPfEv13rocblas_fill_18rocblas_operation_17rocblas_diagonal_iiT3_T4_lilT5_lili.kd
    .uniform_work_group_size: 1
    .uses_dynamic_stack: false
    .vgpr_count:     77
    .vgpr_spill_count: 0
    .wavefront_size: 32
    .workgroup_processor_mode: 1
  - .args:
      - .offset:         0
        .size:           4
        .value_kind:     by_value
      - .offset:         4
        .size:           4
        .value_kind:     by_value
      - .offset:         8
        .size:           4
        .value_kind:     by_value
      - .offset:         12
        .size:           4
        .value_kind:     by_value
      - .offset:         16
        .size:           4
        .value_kind:     by_value
      - .offset:         20
        .size:           4
        .value_kind:     by_value
      - .address_space:  global
        .offset:         24
        .size:           8
        .value_kind:     global_buffer
      - .offset:         32
        .size:           8
        .value_kind:     by_value
      - .offset:         40
        .size:           4
        .value_kind:     by_value
      - .offset:         48
        .size:           8
        .value_kind:     by_value
      - .address_space:  global
        .offset:         56
        .size:           8
        .value_kind:     global_buffer
      - .offset:         64
        .size:           8
        .value_kind:     by_value
      - .offset:         72
        .size:           4
        .value_kind:     by_value
      - .offset:         80
        .size:           8
        .value_kind:     by_value
      - .offset:         88
        .size:           4
        .value_kind:     by_value
      - .offset:         96
        .size:           4
        .value_kind:     hidden_block_count_x
      - .offset:         100
        .size:           4
        .value_kind:     hidden_block_count_y
      - .offset:         104
        .size:           4
        .value_kind:     hidden_block_count_z
      - .offset:         108
        .size:           2
        .value_kind:     hidden_group_size_x
      - .offset:         110
        .size:           2
        .value_kind:     hidden_group_size_y
      - .offset:         112
        .size:           2
        .value_kind:     hidden_group_size_z
      - .offset:         114
        .size:           2
        .value_kind:     hidden_remainder_x
      - .offset:         116
        .size:           2
        .value_kind:     hidden_remainder_y
      - .offset:         118
        .size:           2
        .value_kind:     hidden_remainder_z
      - .offset:         136
        .size:           8
        .value_kind:     hidden_global_offset_x
      - .offset:         144
        .size:           8
        .value_kind:     hidden_global_offset_y
      - .offset:         152
        .size:           8
        .value_kind:     hidden_global_offset_z
      - .offset:         160
        .size:           2
        .value_kind:     hidden_grid_dims
    .group_segment_fixed_size: 1600
    .kernarg_segment_align: 8
    .kernarg_segment_size: 352
    .language:       OpenCL C
    .language_version:
      - 2
      - 0
    .max_flat_workgroup_size: 20
    .name:           _ZL30rocblas_trsm_small_left_deviceILi20ELi20ELb1EffPKPKfPKPfEv13rocblas_fill_18rocblas_operation_17rocblas_diagonal_iiT3_T4_lilT5_lili
    .private_segment_fixed_size: 0
    .sgpr_count:     45
    .sgpr_spill_count: 0
    .symbol:         _ZL30rocblas_trsm_small_left_deviceILi20ELi20ELb1EffPKPKfPKPfEv13rocblas_fill_18rocblas_operation_17rocblas_diagonal_iiT3_T4_lilT5_lili.kd
    .uniform_work_group_size: 1
    .uses_dynamic_stack: false
    .vgpr_count:     81
    .vgpr_spill_count: 0
    .wavefront_size: 32
    .workgroup_processor_mode: 1
  - .args:
      - .offset:         0
        .size:           4
        .value_kind:     by_value
      - .offset:         4
        .size:           4
        .value_kind:     by_value
      - .offset:         8
        .size:           4
        .value_kind:     by_value
      - .offset:         12
        .size:           4
        .value_kind:     by_value
      - .offset:         16
        .size:           4
        .value_kind:     by_value
      - .offset:         20
        .size:           4
        .value_kind:     by_value
      - .address_space:  global
        .offset:         24
        .size:           8
        .value_kind:     global_buffer
      - .offset:         32
        .size:           8
        .value_kind:     by_value
      - .offset:         40
        .size:           4
        .value_kind:     by_value
      - .offset:         48
        .size:           8
        .value_kind:     by_value
      - .address_space:  global
        .offset:         56
        .size:           8
        .value_kind:     global_buffer
      - .offset:         64
        .size:           8
        .value_kind:     by_value
      - .offset:         72
        .size:           4
        .value_kind:     by_value
      - .offset:         80
        .size:           8
        .value_kind:     by_value
      - .offset:         88
        .size:           4
        .value_kind:     by_value
      - .offset:         96
        .size:           4
        .value_kind:     hidden_block_count_x
      - .offset:         100
        .size:           4
        .value_kind:     hidden_block_count_y
      - .offset:         104
        .size:           4
        .value_kind:     hidden_block_count_z
      - .offset:         108
        .size:           2
        .value_kind:     hidden_group_size_x
      - .offset:         110
        .size:           2
        .value_kind:     hidden_group_size_y
      - .offset:         112
        .size:           2
        .value_kind:     hidden_group_size_z
      - .offset:         114
        .size:           2
        .value_kind:     hidden_remainder_x
      - .offset:         116
        .size:           2
        .value_kind:     hidden_remainder_y
      - .offset:         118
        .size:           2
        .value_kind:     hidden_remainder_z
      - .offset:         136
        .size:           8
        .value_kind:     hidden_global_offset_x
      - .offset:         144
        .size:           8
        .value_kind:     hidden_global_offset_y
      - .offset:         152
        .size:           8
        .value_kind:     hidden_global_offset_z
      - .offset:         160
        .size:           2
        .value_kind:     hidden_grid_dims
    .group_segment_fixed_size: 3200
    .kernarg_segment_align: 8
    .kernarg_segment_size: 352
    .language:       OpenCL C
    .language_version:
      - 2
      - 0
    .max_flat_workgroup_size: 20
    .name:           _ZL31rocblas_trsm_small_right_deviceIffPKPKfPKPfLi20EEv13rocblas_fill_18rocblas_operation_17rocblas_diagonal_iiT0_T1_lilT2_lili
    .private_segment_fixed_size: 0
    .sgpr_count:     44
    .sgpr_spill_count: 0
    .symbol:         _ZL31rocblas_trsm_small_right_deviceIffPKPKfPKPfLi20EEv13rocblas_fill_18rocblas_operation_17rocblas_diagonal_iiT0_T1_lilT2_lili.kd
    .uniform_work_group_size: 1
    .uses_dynamic_stack: false
    .vgpr_count:     30
    .vgpr_spill_count: 0
    .wavefront_size: 32
    .workgroup_processor_mode: 1
  - .args:
      - .offset:         0
        .size:           4
        .value_kind:     by_value
      - .offset:         4
        .size:           4
        .value_kind:     by_value
      - .offset:         8
        .size:           4
        .value_kind:     by_value
      - .offset:         12
        .size:           4
        .value_kind:     by_value
      - .offset:         16
        .size:           4
        .value_kind:     by_value
      - .offset:         20
        .size:           4
        .value_kind:     by_value
      - .address_space:  global
        .offset:         24
        .size:           8
        .value_kind:     global_buffer
      - .offset:         32
        .size:           8
        .value_kind:     by_value
      - .offset:         40
        .size:           4
        .value_kind:     by_value
      - .offset:         48
        .size:           8
        .value_kind:     by_value
      - .address_space:  global
        .offset:         56
        .size:           8
        .value_kind:     global_buffer
      - .offset:         64
        .size:           8
        .value_kind:     by_value
      - .offset:         72
        .size:           4
        .value_kind:     by_value
      - .offset:         80
        .size:           8
        .value_kind:     by_value
      - .offset:         88
        .size:           4
        .value_kind:     by_value
      - .offset:         96
        .size:           4
        .value_kind:     hidden_block_count_x
      - .offset:         100
        .size:           4
        .value_kind:     hidden_block_count_y
      - .offset:         104
        .size:           4
        .value_kind:     hidden_block_count_z
      - .offset:         108
        .size:           2
        .value_kind:     hidden_group_size_x
      - .offset:         110
        .size:           2
        .value_kind:     hidden_group_size_y
      - .offset:         112
        .size:           2
        .value_kind:     hidden_group_size_z
      - .offset:         114
        .size:           2
        .value_kind:     hidden_remainder_x
      - .offset:         116
        .size:           2
        .value_kind:     hidden_remainder_y
      - .offset:         118
        .size:           2
        .value_kind:     hidden_remainder_z
      - .offset:         136
        .size:           8
        .value_kind:     hidden_global_offset_x
      - .offset:         144
        .size:           8
        .value_kind:     hidden_global_offset_y
      - .offset:         152
        .size:           8
        .value_kind:     hidden_global_offset_z
      - .offset:         160
        .size:           2
        .value_kind:     hidden_grid_dims
    .group_segment_fixed_size: 4608
    .kernarg_segment_align: 8
    .kernarg_segment_size: 352
    .language:       OpenCL C
    .language_version:
      - 2
      - 0
    .max_flat_workgroup_size: 24
    .name:           _ZL38rocblas_trsm_small_left_device_sharedBILi24ELi24ELb0EffPKPKfPKPfEv13rocblas_fill_18rocblas_operation_17rocblas_diagonal_iiT3_T4_lilT5_lili
    .private_segment_fixed_size: 0
    .sgpr_count:     45
    .sgpr_spill_count: 0
    .symbol:         _ZL38rocblas_trsm_small_left_device_sharedBILi24ELi24ELb0EffPKPKfPKPfEv13rocblas_fill_18rocblas_operation_17rocblas_diagonal_iiT3_T4_lilT5_lili.kd
    .uniform_work_group_size: 1
    .uses_dynamic_stack: false
    .vgpr_count:     77
    .vgpr_spill_count: 0
    .wavefront_size: 32
    .workgroup_processor_mode: 1
  - .args:
      - .offset:         0
        .size:           4
        .value_kind:     by_value
      - .offset:         4
        .size:           4
        .value_kind:     by_value
      - .offset:         8
        .size:           4
        .value_kind:     by_value
      - .offset:         12
        .size:           4
        .value_kind:     by_value
      - .offset:         16
        .size:           4
        .value_kind:     by_value
      - .offset:         20
        .size:           4
        .value_kind:     by_value
      - .address_space:  global
        .offset:         24
        .size:           8
        .value_kind:     global_buffer
      - .offset:         32
        .size:           8
        .value_kind:     by_value
      - .offset:         40
        .size:           4
        .value_kind:     by_value
      - .offset:         48
        .size:           8
        .value_kind:     by_value
      - .address_space:  global
        .offset:         56
        .size:           8
        .value_kind:     global_buffer
      - .offset:         64
        .size:           8
        .value_kind:     by_value
      - .offset:         72
        .size:           4
        .value_kind:     by_value
      - .offset:         80
        .size:           8
        .value_kind:     by_value
      - .offset:         88
        .size:           4
        .value_kind:     by_value
      - .offset:         96
        .size:           4
        .value_kind:     hidden_block_count_x
      - .offset:         100
        .size:           4
        .value_kind:     hidden_block_count_y
      - .offset:         104
        .size:           4
        .value_kind:     hidden_block_count_z
      - .offset:         108
        .size:           2
        .value_kind:     hidden_group_size_x
      - .offset:         110
        .size:           2
        .value_kind:     hidden_group_size_y
      - .offset:         112
        .size:           2
        .value_kind:     hidden_group_size_z
      - .offset:         114
        .size:           2
        .value_kind:     hidden_remainder_x
      - .offset:         116
        .size:           2
        .value_kind:     hidden_remainder_y
      - .offset:         118
        .size:           2
        .value_kind:     hidden_remainder_z
      - .offset:         136
        .size:           8
        .value_kind:     hidden_global_offset_x
      - .offset:         144
        .size:           8
        .value_kind:     hidden_global_offset_y
      - .offset:         152
        .size:           8
        .value_kind:     hidden_global_offset_z
      - .offset:         160
        .size:           2
        .value_kind:     hidden_grid_dims
    .group_segment_fixed_size: 2304
    .kernarg_segment_align: 8
    .kernarg_segment_size: 352
    .language:       OpenCL C
    .language_version:
      - 2
      - 0
    .max_flat_workgroup_size: 24
    .name:           _ZL30rocblas_trsm_small_left_deviceILi24ELi24ELb0EffPKPKfPKPfEv13rocblas_fill_18rocblas_operation_17rocblas_diagonal_iiT3_T4_lilT5_lili
    .private_segment_fixed_size: 0
    .sgpr_count:     46
    .sgpr_spill_count: 0
    .symbol:         _ZL30rocblas_trsm_small_left_deviceILi24ELi24ELb0EffPKPKfPKPfEv13rocblas_fill_18rocblas_operation_17rocblas_diagonal_iiT3_T4_lilT5_lili.kd
    .uniform_work_group_size: 1
    .uses_dynamic_stack: false
    .vgpr_count:     83
    .vgpr_spill_count: 0
    .wavefront_size: 32
    .workgroup_processor_mode: 1
  - .args:
      - .offset:         0
        .size:           4
        .value_kind:     by_value
      - .offset:         4
        .size:           4
        .value_kind:     by_value
      - .offset:         8
        .size:           4
        .value_kind:     by_value
      - .offset:         12
        .size:           4
        .value_kind:     by_value
      - .offset:         16
        .size:           4
        .value_kind:     by_value
      - .offset:         20
        .size:           4
        .value_kind:     by_value
      - .address_space:  global
        .offset:         24
        .size:           8
        .value_kind:     global_buffer
      - .offset:         32
        .size:           8
        .value_kind:     by_value
      - .offset:         40
        .size:           4
        .value_kind:     by_value
      - .offset:         48
        .size:           8
        .value_kind:     by_value
      - .address_space:  global
        .offset:         56
        .size:           8
        .value_kind:     global_buffer
      - .offset:         64
        .size:           8
        .value_kind:     by_value
      - .offset:         72
        .size:           4
        .value_kind:     by_value
      - .offset:         80
        .size:           8
        .value_kind:     by_value
      - .offset:         88
        .size:           4
        .value_kind:     by_value
      - .offset:         96
        .size:           4
        .value_kind:     hidden_block_count_x
      - .offset:         100
        .size:           4
        .value_kind:     hidden_block_count_y
      - .offset:         104
        .size:           4
        .value_kind:     hidden_block_count_z
      - .offset:         108
        .size:           2
        .value_kind:     hidden_group_size_x
      - .offset:         110
        .size:           2
        .value_kind:     hidden_group_size_y
      - .offset:         112
        .size:           2
        .value_kind:     hidden_group_size_z
      - .offset:         114
        .size:           2
        .value_kind:     hidden_remainder_x
      - .offset:         116
        .size:           2
        .value_kind:     hidden_remainder_y
      - .offset:         118
        .size:           2
        .value_kind:     hidden_remainder_z
      - .offset:         136
        .size:           8
        .value_kind:     hidden_global_offset_x
      - .offset:         144
        .size:           8
        .value_kind:     hidden_global_offset_y
      - .offset:         152
        .size:           8
        .value_kind:     hidden_global_offset_z
      - .offset:         160
        .size:           2
        .value_kind:     hidden_grid_dims
    .group_segment_fixed_size: 4608
    .kernarg_segment_align: 8
    .kernarg_segment_size: 352
    .language:       OpenCL C
    .language_version:
      - 2
      - 0
    .max_flat_workgroup_size: 24
    .name:           _ZL38rocblas_trsm_small_left_device_sharedBILi24ELi24ELb1EffPKPKfPKPfEv13rocblas_fill_18rocblas_operation_17rocblas_diagonal_iiT3_T4_lilT5_lili
    .private_segment_fixed_size: 0
    .sgpr_count:     45
    .sgpr_spill_count: 0
    .symbol:         _ZL38rocblas_trsm_small_left_device_sharedBILi24ELi24ELb1EffPKPKfPKPfEv13rocblas_fill_18rocblas_operation_17rocblas_diagonal_iiT3_T4_lilT5_lili.kd
    .uniform_work_group_size: 1
    .uses_dynamic_stack: false
    .vgpr_count:     77
    .vgpr_spill_count: 0
    .wavefront_size: 32
    .workgroup_processor_mode: 1
  - .args:
      - .offset:         0
        .size:           4
        .value_kind:     by_value
      - .offset:         4
        .size:           4
        .value_kind:     by_value
      - .offset:         8
        .size:           4
        .value_kind:     by_value
      - .offset:         12
        .size:           4
        .value_kind:     by_value
      - .offset:         16
        .size:           4
        .value_kind:     by_value
      - .offset:         20
        .size:           4
        .value_kind:     by_value
      - .address_space:  global
        .offset:         24
        .size:           8
        .value_kind:     global_buffer
      - .offset:         32
        .size:           8
        .value_kind:     by_value
      - .offset:         40
        .size:           4
        .value_kind:     by_value
      - .offset:         48
        .size:           8
        .value_kind:     by_value
      - .address_space:  global
        .offset:         56
        .size:           8
        .value_kind:     global_buffer
      - .offset:         64
        .size:           8
        .value_kind:     by_value
      - .offset:         72
        .size:           4
        .value_kind:     by_value
      - .offset:         80
        .size:           8
        .value_kind:     by_value
      - .offset:         88
        .size:           4
        .value_kind:     by_value
      - .offset:         96
        .size:           4
        .value_kind:     hidden_block_count_x
      - .offset:         100
        .size:           4
        .value_kind:     hidden_block_count_y
      - .offset:         104
        .size:           4
        .value_kind:     hidden_block_count_z
      - .offset:         108
        .size:           2
        .value_kind:     hidden_group_size_x
      - .offset:         110
        .size:           2
        .value_kind:     hidden_group_size_y
      - .offset:         112
        .size:           2
        .value_kind:     hidden_group_size_z
      - .offset:         114
        .size:           2
        .value_kind:     hidden_remainder_x
      - .offset:         116
        .size:           2
        .value_kind:     hidden_remainder_y
      - .offset:         118
        .size:           2
        .value_kind:     hidden_remainder_z
      - .offset:         136
        .size:           8
        .value_kind:     hidden_global_offset_x
      - .offset:         144
        .size:           8
        .value_kind:     hidden_global_offset_y
      - .offset:         152
        .size:           8
        .value_kind:     hidden_global_offset_z
      - .offset:         160
        .size:           2
        .value_kind:     hidden_grid_dims
    .group_segment_fixed_size: 2304
    .kernarg_segment_align: 8
    .kernarg_segment_size: 352
    .language:       OpenCL C
    .language_version:
      - 2
      - 0
    .max_flat_workgroup_size: 24
    .name:           _ZL30rocblas_trsm_small_left_deviceILi24ELi24ELb1EffPKPKfPKPfEv13rocblas_fill_18rocblas_operation_17rocblas_diagonal_iiT3_T4_lilT5_lili
    .private_segment_fixed_size: 0
    .sgpr_count:     45
    .sgpr_spill_count: 0
    .symbol:         _ZL30rocblas_trsm_small_left_deviceILi24ELi24ELb1EffPKPKfPKPfEv13rocblas_fill_18rocblas_operation_17rocblas_diagonal_iiT3_T4_lilT5_lili.kd
    .uniform_work_group_size: 1
    .uses_dynamic_stack: false
    .vgpr_count:     81
    .vgpr_spill_count: 0
    .wavefront_size: 32
    .workgroup_processor_mode: 1
  - .args:
      - .offset:         0
        .size:           4
        .value_kind:     by_value
      - .offset:         4
        .size:           4
        .value_kind:     by_value
      - .offset:         8
        .size:           4
        .value_kind:     by_value
      - .offset:         12
        .size:           4
        .value_kind:     by_value
      - .offset:         16
        .size:           4
        .value_kind:     by_value
      - .offset:         20
        .size:           4
        .value_kind:     by_value
      - .address_space:  global
        .offset:         24
        .size:           8
        .value_kind:     global_buffer
      - .offset:         32
        .size:           8
        .value_kind:     by_value
      - .offset:         40
        .size:           4
        .value_kind:     by_value
      - .offset:         48
        .size:           8
        .value_kind:     by_value
      - .address_space:  global
        .offset:         56
        .size:           8
        .value_kind:     global_buffer
      - .offset:         64
        .size:           8
        .value_kind:     by_value
      - .offset:         72
        .size:           4
        .value_kind:     by_value
      - .offset:         80
        .size:           8
        .value_kind:     by_value
      - .offset:         88
        .size:           4
        .value_kind:     by_value
      - .offset:         96
        .size:           4
        .value_kind:     hidden_block_count_x
      - .offset:         100
        .size:           4
        .value_kind:     hidden_block_count_y
      - .offset:         104
        .size:           4
        .value_kind:     hidden_block_count_z
      - .offset:         108
        .size:           2
        .value_kind:     hidden_group_size_x
      - .offset:         110
        .size:           2
        .value_kind:     hidden_group_size_y
      - .offset:         112
        .size:           2
        .value_kind:     hidden_group_size_z
      - .offset:         114
        .size:           2
        .value_kind:     hidden_remainder_x
      - .offset:         116
        .size:           2
        .value_kind:     hidden_remainder_y
      - .offset:         118
        .size:           2
        .value_kind:     hidden_remainder_z
      - .offset:         136
        .size:           8
        .value_kind:     hidden_global_offset_x
      - .offset:         144
        .size:           8
        .value_kind:     hidden_global_offset_y
      - .offset:         152
        .size:           8
        .value_kind:     hidden_global_offset_z
      - .offset:         160
        .size:           2
        .value_kind:     hidden_grid_dims
    .group_segment_fixed_size: 4608
    .kernarg_segment_align: 8
    .kernarg_segment_size: 352
    .language:       OpenCL C
    .language_version:
      - 2
      - 0
    .max_flat_workgroup_size: 24
    .name:           _ZL31rocblas_trsm_small_right_deviceIffPKPKfPKPfLi24EEv13rocblas_fill_18rocblas_operation_17rocblas_diagonal_iiT0_T1_lilT2_lili
    .private_segment_fixed_size: 0
    .sgpr_count:     44
    .sgpr_spill_count: 0
    .symbol:         _ZL31rocblas_trsm_small_right_deviceIffPKPKfPKPfLi24EEv13rocblas_fill_18rocblas_operation_17rocblas_diagonal_iiT0_T1_lilT2_lili.kd
    .uniform_work_group_size: 1
    .uses_dynamic_stack: false
    .vgpr_count:     30
    .vgpr_spill_count: 0
    .wavefront_size: 32
    .workgroup_processor_mode: 1
  - .args:
      - .offset:         0
        .size:           4
        .value_kind:     by_value
      - .offset:         4
        .size:           4
        .value_kind:     by_value
      - .offset:         8
        .size:           4
        .value_kind:     by_value
      - .offset:         12
        .size:           4
        .value_kind:     by_value
      - .offset:         16
        .size:           4
        .value_kind:     by_value
      - .offset:         20
        .size:           4
        .value_kind:     by_value
      - .address_space:  global
        .offset:         24
        .size:           8
        .value_kind:     global_buffer
      - .offset:         32
        .size:           8
        .value_kind:     by_value
      - .offset:         40
        .size:           4
        .value_kind:     by_value
      - .offset:         48
        .size:           8
        .value_kind:     by_value
      - .address_space:  global
        .offset:         56
        .size:           8
        .value_kind:     global_buffer
      - .offset:         64
        .size:           8
        .value_kind:     by_value
      - .offset:         72
        .size:           4
        .value_kind:     by_value
      - .offset:         80
        .size:           8
        .value_kind:     by_value
      - .offset:         88
        .size:           4
        .value_kind:     by_value
      - .offset:         96
        .size:           4
        .value_kind:     hidden_block_count_x
      - .offset:         100
        .size:           4
        .value_kind:     hidden_block_count_y
      - .offset:         104
        .size:           4
        .value_kind:     hidden_block_count_z
      - .offset:         108
        .size:           2
        .value_kind:     hidden_group_size_x
      - .offset:         110
        .size:           2
        .value_kind:     hidden_group_size_y
      - .offset:         112
        .size:           2
        .value_kind:     hidden_group_size_z
      - .offset:         114
        .size:           2
        .value_kind:     hidden_remainder_x
      - .offset:         116
        .size:           2
        .value_kind:     hidden_remainder_y
      - .offset:         118
        .size:           2
        .value_kind:     hidden_remainder_z
      - .offset:         136
        .size:           8
        .value_kind:     hidden_global_offset_x
      - .offset:         144
        .size:           8
        .value_kind:     hidden_global_offset_y
      - .offset:         152
        .size:           8
        .value_kind:     hidden_global_offset_z
      - .offset:         160
        .size:           2
        .value_kind:     hidden_grid_dims
    .group_segment_fixed_size: 6272
    .kernarg_segment_align: 8
    .kernarg_segment_size: 352
    .language:       OpenCL C
    .language_version:
      - 2
      - 0
    .max_flat_workgroup_size: 28
    .name:           _ZL38rocblas_trsm_small_left_device_sharedBILi28ELi28ELb0EffPKPKfPKPfEv13rocblas_fill_18rocblas_operation_17rocblas_diagonal_iiT3_T4_lilT5_lili
    .private_segment_fixed_size: 0
    .sgpr_count:     45
    .sgpr_spill_count: 0
    .symbol:         _ZL38rocblas_trsm_small_left_device_sharedBILi28ELi28ELb0EffPKPKfPKPfEv13rocblas_fill_18rocblas_operation_17rocblas_diagonal_iiT3_T4_lilT5_lili.kd
    .uniform_work_group_size: 1
    .uses_dynamic_stack: false
    .vgpr_count:     77
    .vgpr_spill_count: 0
    .wavefront_size: 32
    .workgroup_processor_mode: 1
  - .args:
      - .offset:         0
        .size:           4
        .value_kind:     by_value
      - .offset:         4
        .size:           4
        .value_kind:     by_value
      - .offset:         8
        .size:           4
        .value_kind:     by_value
      - .offset:         12
        .size:           4
        .value_kind:     by_value
      - .offset:         16
        .size:           4
        .value_kind:     by_value
      - .offset:         20
        .size:           4
        .value_kind:     by_value
      - .address_space:  global
        .offset:         24
        .size:           8
        .value_kind:     global_buffer
      - .offset:         32
        .size:           8
        .value_kind:     by_value
      - .offset:         40
        .size:           4
        .value_kind:     by_value
      - .offset:         48
        .size:           8
        .value_kind:     by_value
      - .address_space:  global
        .offset:         56
        .size:           8
        .value_kind:     global_buffer
      - .offset:         64
        .size:           8
        .value_kind:     by_value
      - .offset:         72
        .size:           4
        .value_kind:     by_value
      - .offset:         80
        .size:           8
        .value_kind:     by_value
      - .offset:         88
        .size:           4
        .value_kind:     by_value
      - .offset:         96
        .size:           4
        .value_kind:     hidden_block_count_x
      - .offset:         100
        .size:           4
        .value_kind:     hidden_block_count_y
      - .offset:         104
        .size:           4
        .value_kind:     hidden_block_count_z
      - .offset:         108
        .size:           2
        .value_kind:     hidden_group_size_x
      - .offset:         110
        .size:           2
        .value_kind:     hidden_group_size_y
      - .offset:         112
        .size:           2
        .value_kind:     hidden_group_size_z
      - .offset:         114
        .size:           2
        .value_kind:     hidden_remainder_x
      - .offset:         116
        .size:           2
        .value_kind:     hidden_remainder_y
      - .offset:         118
        .size:           2
        .value_kind:     hidden_remainder_z
      - .offset:         136
        .size:           8
        .value_kind:     hidden_global_offset_x
      - .offset:         144
        .size:           8
        .value_kind:     hidden_global_offset_y
      - .offset:         152
        .size:           8
        .value_kind:     hidden_global_offset_z
      - .offset:         160
        .size:           2
        .value_kind:     hidden_grid_dims
    .group_segment_fixed_size: 3136
    .kernarg_segment_align: 8
    .kernarg_segment_size: 352
    .language:       OpenCL C
    .language_version:
      - 2
      - 0
    .max_flat_workgroup_size: 28
    .name:           _ZL30rocblas_trsm_small_left_deviceILi28ELi28ELb0EffPKPKfPKPfEv13rocblas_fill_18rocblas_operation_17rocblas_diagonal_iiT3_T4_lilT5_lili
    .private_segment_fixed_size: 0
    .sgpr_count:     46
    .sgpr_spill_count: 0
    .symbol:         _ZL30rocblas_trsm_small_left_deviceILi28ELi28ELb0EffPKPKfPKPfEv13rocblas_fill_18rocblas_operation_17rocblas_diagonal_iiT3_T4_lilT5_lili.kd
    .uniform_work_group_size: 1
    .uses_dynamic_stack: false
    .vgpr_count:     83
    .vgpr_spill_count: 0
    .wavefront_size: 32
    .workgroup_processor_mode: 1
  - .args:
      - .offset:         0
        .size:           4
        .value_kind:     by_value
      - .offset:         4
        .size:           4
        .value_kind:     by_value
      - .offset:         8
        .size:           4
        .value_kind:     by_value
      - .offset:         12
        .size:           4
        .value_kind:     by_value
      - .offset:         16
        .size:           4
        .value_kind:     by_value
      - .offset:         20
        .size:           4
        .value_kind:     by_value
      - .address_space:  global
        .offset:         24
        .size:           8
        .value_kind:     global_buffer
      - .offset:         32
        .size:           8
        .value_kind:     by_value
      - .offset:         40
        .size:           4
        .value_kind:     by_value
      - .offset:         48
        .size:           8
        .value_kind:     by_value
      - .address_space:  global
        .offset:         56
        .size:           8
        .value_kind:     global_buffer
      - .offset:         64
        .size:           8
        .value_kind:     by_value
      - .offset:         72
        .size:           4
        .value_kind:     by_value
      - .offset:         80
        .size:           8
        .value_kind:     by_value
      - .offset:         88
        .size:           4
        .value_kind:     by_value
      - .offset:         96
        .size:           4
        .value_kind:     hidden_block_count_x
      - .offset:         100
        .size:           4
        .value_kind:     hidden_block_count_y
      - .offset:         104
        .size:           4
        .value_kind:     hidden_block_count_z
      - .offset:         108
        .size:           2
        .value_kind:     hidden_group_size_x
      - .offset:         110
        .size:           2
        .value_kind:     hidden_group_size_y
      - .offset:         112
        .size:           2
        .value_kind:     hidden_group_size_z
      - .offset:         114
        .size:           2
        .value_kind:     hidden_remainder_x
      - .offset:         116
        .size:           2
        .value_kind:     hidden_remainder_y
      - .offset:         118
        .size:           2
        .value_kind:     hidden_remainder_z
      - .offset:         136
        .size:           8
        .value_kind:     hidden_global_offset_x
      - .offset:         144
        .size:           8
        .value_kind:     hidden_global_offset_y
      - .offset:         152
        .size:           8
        .value_kind:     hidden_global_offset_z
      - .offset:         160
        .size:           2
        .value_kind:     hidden_grid_dims
    .group_segment_fixed_size: 6272
    .kernarg_segment_align: 8
    .kernarg_segment_size: 352
    .language:       OpenCL C
    .language_version:
      - 2
      - 0
    .max_flat_workgroup_size: 28
    .name:           _ZL38rocblas_trsm_small_left_device_sharedBILi28ELi28ELb1EffPKPKfPKPfEv13rocblas_fill_18rocblas_operation_17rocblas_diagonal_iiT3_T4_lilT5_lili
    .private_segment_fixed_size: 0
    .sgpr_count:     45
    .sgpr_spill_count: 0
    .symbol:         _ZL38rocblas_trsm_small_left_device_sharedBILi28ELi28ELb1EffPKPKfPKPfEv13rocblas_fill_18rocblas_operation_17rocblas_diagonal_iiT3_T4_lilT5_lili.kd
    .uniform_work_group_size: 1
    .uses_dynamic_stack: false
    .vgpr_count:     77
    .vgpr_spill_count: 0
    .wavefront_size: 32
    .workgroup_processor_mode: 1
  - .args:
      - .offset:         0
        .size:           4
        .value_kind:     by_value
      - .offset:         4
        .size:           4
        .value_kind:     by_value
      - .offset:         8
        .size:           4
        .value_kind:     by_value
      - .offset:         12
        .size:           4
        .value_kind:     by_value
      - .offset:         16
        .size:           4
        .value_kind:     by_value
      - .offset:         20
        .size:           4
        .value_kind:     by_value
      - .address_space:  global
        .offset:         24
        .size:           8
        .value_kind:     global_buffer
      - .offset:         32
        .size:           8
        .value_kind:     by_value
      - .offset:         40
        .size:           4
        .value_kind:     by_value
      - .offset:         48
        .size:           8
        .value_kind:     by_value
      - .address_space:  global
        .offset:         56
        .size:           8
        .value_kind:     global_buffer
      - .offset:         64
        .size:           8
        .value_kind:     by_value
      - .offset:         72
        .size:           4
        .value_kind:     by_value
      - .offset:         80
        .size:           8
        .value_kind:     by_value
      - .offset:         88
        .size:           4
        .value_kind:     by_value
      - .offset:         96
        .size:           4
        .value_kind:     hidden_block_count_x
      - .offset:         100
        .size:           4
        .value_kind:     hidden_block_count_y
      - .offset:         104
        .size:           4
        .value_kind:     hidden_block_count_z
      - .offset:         108
        .size:           2
        .value_kind:     hidden_group_size_x
      - .offset:         110
        .size:           2
        .value_kind:     hidden_group_size_y
      - .offset:         112
        .size:           2
        .value_kind:     hidden_group_size_z
      - .offset:         114
        .size:           2
        .value_kind:     hidden_remainder_x
      - .offset:         116
        .size:           2
        .value_kind:     hidden_remainder_y
      - .offset:         118
        .size:           2
        .value_kind:     hidden_remainder_z
      - .offset:         136
        .size:           8
        .value_kind:     hidden_global_offset_x
      - .offset:         144
        .size:           8
        .value_kind:     hidden_global_offset_y
      - .offset:         152
        .size:           8
        .value_kind:     hidden_global_offset_z
      - .offset:         160
        .size:           2
        .value_kind:     hidden_grid_dims
    .group_segment_fixed_size: 3136
    .kernarg_segment_align: 8
    .kernarg_segment_size: 352
    .language:       OpenCL C
    .language_version:
      - 2
      - 0
    .max_flat_workgroup_size: 28
    .name:           _ZL30rocblas_trsm_small_left_deviceILi28ELi28ELb1EffPKPKfPKPfEv13rocblas_fill_18rocblas_operation_17rocblas_diagonal_iiT3_T4_lilT5_lili
    .private_segment_fixed_size: 0
    .sgpr_count:     45
    .sgpr_spill_count: 0
    .symbol:         _ZL30rocblas_trsm_small_left_deviceILi28ELi28ELb1EffPKPKfPKPfEv13rocblas_fill_18rocblas_operation_17rocblas_diagonal_iiT3_T4_lilT5_lili.kd
    .uniform_work_group_size: 1
    .uses_dynamic_stack: false
    .vgpr_count:     81
    .vgpr_spill_count: 0
    .wavefront_size: 32
    .workgroup_processor_mode: 1
  - .args:
      - .offset:         0
        .size:           4
        .value_kind:     by_value
      - .offset:         4
        .size:           4
        .value_kind:     by_value
      - .offset:         8
        .size:           4
        .value_kind:     by_value
      - .offset:         12
        .size:           4
        .value_kind:     by_value
      - .offset:         16
        .size:           4
        .value_kind:     by_value
      - .offset:         20
        .size:           4
        .value_kind:     by_value
      - .address_space:  global
        .offset:         24
        .size:           8
        .value_kind:     global_buffer
      - .offset:         32
        .size:           8
        .value_kind:     by_value
      - .offset:         40
        .size:           4
        .value_kind:     by_value
      - .offset:         48
        .size:           8
        .value_kind:     by_value
      - .address_space:  global
        .offset:         56
        .size:           8
        .value_kind:     global_buffer
      - .offset:         64
        .size:           8
        .value_kind:     by_value
      - .offset:         72
        .size:           4
        .value_kind:     by_value
      - .offset:         80
        .size:           8
        .value_kind:     by_value
      - .offset:         88
        .size:           4
        .value_kind:     by_value
      - .offset:         96
        .size:           4
        .value_kind:     hidden_block_count_x
      - .offset:         100
        .size:           4
        .value_kind:     hidden_block_count_y
      - .offset:         104
        .size:           4
        .value_kind:     hidden_block_count_z
      - .offset:         108
        .size:           2
        .value_kind:     hidden_group_size_x
      - .offset:         110
        .size:           2
        .value_kind:     hidden_group_size_y
      - .offset:         112
        .size:           2
        .value_kind:     hidden_group_size_z
      - .offset:         114
        .size:           2
        .value_kind:     hidden_remainder_x
      - .offset:         116
        .size:           2
        .value_kind:     hidden_remainder_y
      - .offset:         118
        .size:           2
        .value_kind:     hidden_remainder_z
      - .offset:         136
        .size:           8
        .value_kind:     hidden_global_offset_x
      - .offset:         144
        .size:           8
        .value_kind:     hidden_global_offset_y
      - .offset:         152
        .size:           8
        .value_kind:     hidden_global_offset_z
      - .offset:         160
        .size:           2
        .value_kind:     hidden_grid_dims
    .group_segment_fixed_size: 6272
    .kernarg_segment_align: 8
    .kernarg_segment_size: 352
    .language:       OpenCL C
    .language_version:
      - 2
      - 0
    .max_flat_workgroup_size: 28
    .name:           _ZL31rocblas_trsm_small_right_deviceIffPKPKfPKPfLi28EEv13rocblas_fill_18rocblas_operation_17rocblas_diagonal_iiT0_T1_lilT2_lili
    .private_segment_fixed_size: 0
    .sgpr_count:     44
    .sgpr_spill_count: 0
    .symbol:         _ZL31rocblas_trsm_small_right_deviceIffPKPKfPKPfLi28EEv13rocblas_fill_18rocblas_operation_17rocblas_diagonal_iiT0_T1_lilT2_lili.kd
    .uniform_work_group_size: 1
    .uses_dynamic_stack: false
    .vgpr_count:     30
    .vgpr_spill_count: 0
    .wavefront_size: 32
    .workgroup_processor_mode: 1
  - .args:
      - .offset:         0
        .size:           4
        .value_kind:     by_value
      - .offset:         4
        .size:           4
        .value_kind:     by_value
      - .offset:         8
        .size:           4
        .value_kind:     by_value
      - .offset:         12
        .size:           4
        .value_kind:     by_value
      - .offset:         16
        .size:           4
        .value_kind:     by_value
      - .offset:         20
        .size:           4
        .value_kind:     by_value
      - .address_space:  global
        .offset:         24
        .size:           8
        .value_kind:     global_buffer
      - .offset:         32
        .size:           8
        .value_kind:     by_value
      - .offset:         40
        .size:           4
        .value_kind:     by_value
      - .offset:         48
        .size:           8
        .value_kind:     by_value
      - .address_space:  global
        .offset:         56
        .size:           8
        .value_kind:     global_buffer
      - .offset:         64
        .size:           8
        .value_kind:     by_value
      - .offset:         72
        .size:           4
        .value_kind:     by_value
      - .offset:         80
        .size:           8
        .value_kind:     by_value
      - .offset:         88
        .size:           4
        .value_kind:     by_value
      - .offset:         96
        .size:           4
        .value_kind:     hidden_block_count_x
      - .offset:         100
        .size:           4
        .value_kind:     hidden_block_count_y
      - .offset:         104
        .size:           4
        .value_kind:     hidden_block_count_z
      - .offset:         108
        .size:           2
        .value_kind:     hidden_group_size_x
      - .offset:         110
        .size:           2
        .value_kind:     hidden_group_size_y
      - .offset:         112
        .size:           2
        .value_kind:     hidden_group_size_z
      - .offset:         114
        .size:           2
        .value_kind:     hidden_remainder_x
      - .offset:         116
        .size:           2
        .value_kind:     hidden_remainder_y
      - .offset:         118
        .size:           2
        .value_kind:     hidden_remainder_z
      - .offset:         136
        .size:           8
        .value_kind:     hidden_global_offset_x
      - .offset:         144
        .size:           8
        .value_kind:     hidden_global_offset_y
      - .offset:         152
        .size:           8
        .value_kind:     hidden_global_offset_z
      - .offset:         160
        .size:           2
        .value_kind:     hidden_grid_dims
    .group_segment_fixed_size: 8192
    .kernarg_segment_align: 8
    .kernarg_segment_size: 352
    .language:       OpenCL C
    .language_version:
      - 2
      - 0
    .max_flat_workgroup_size: 32
    .name:           _ZL38rocblas_trsm_small_left_device_sharedBILi32ELi32ELb0EffPKPKfPKPfEv13rocblas_fill_18rocblas_operation_17rocblas_diagonal_iiT3_T4_lilT5_lili
    .private_segment_fixed_size: 0
    .sgpr_count:     45
    .sgpr_spill_count: 0
    .symbol:         _ZL38rocblas_trsm_small_left_device_sharedBILi32ELi32ELb0EffPKPKfPKPfEv13rocblas_fill_18rocblas_operation_17rocblas_diagonal_iiT3_T4_lilT5_lili.kd
    .uniform_work_group_size: 1
    .uses_dynamic_stack: false
    .vgpr_count:     77
    .vgpr_spill_count: 0
    .wavefront_size: 32
    .workgroup_processor_mode: 1
  - .args:
      - .offset:         0
        .size:           4
        .value_kind:     by_value
      - .offset:         4
        .size:           4
        .value_kind:     by_value
      - .offset:         8
        .size:           4
        .value_kind:     by_value
      - .offset:         12
        .size:           4
        .value_kind:     by_value
      - .offset:         16
        .size:           4
        .value_kind:     by_value
      - .offset:         20
        .size:           4
        .value_kind:     by_value
      - .address_space:  global
        .offset:         24
        .size:           8
        .value_kind:     global_buffer
      - .offset:         32
        .size:           8
        .value_kind:     by_value
      - .offset:         40
        .size:           4
        .value_kind:     by_value
      - .offset:         48
        .size:           8
        .value_kind:     by_value
      - .address_space:  global
        .offset:         56
        .size:           8
        .value_kind:     global_buffer
      - .offset:         64
        .size:           8
        .value_kind:     by_value
      - .offset:         72
        .size:           4
        .value_kind:     by_value
      - .offset:         80
        .size:           8
        .value_kind:     by_value
      - .offset:         88
        .size:           4
        .value_kind:     by_value
      - .offset:         96
        .size:           4
        .value_kind:     hidden_block_count_x
      - .offset:         100
        .size:           4
        .value_kind:     hidden_block_count_y
      - .offset:         104
        .size:           4
        .value_kind:     hidden_block_count_z
      - .offset:         108
        .size:           2
        .value_kind:     hidden_group_size_x
      - .offset:         110
        .size:           2
        .value_kind:     hidden_group_size_y
      - .offset:         112
        .size:           2
        .value_kind:     hidden_group_size_z
      - .offset:         114
        .size:           2
        .value_kind:     hidden_remainder_x
      - .offset:         116
        .size:           2
        .value_kind:     hidden_remainder_y
      - .offset:         118
        .size:           2
        .value_kind:     hidden_remainder_z
      - .offset:         136
        .size:           8
        .value_kind:     hidden_global_offset_x
      - .offset:         144
        .size:           8
        .value_kind:     hidden_global_offset_y
      - .offset:         152
        .size:           8
        .value_kind:     hidden_global_offset_z
      - .offset:         160
        .size:           2
        .value_kind:     hidden_grid_dims
    .group_segment_fixed_size: 4096
    .kernarg_segment_align: 8
    .kernarg_segment_size: 352
    .language:       OpenCL C
    .language_version:
      - 2
      - 0
    .max_flat_workgroup_size: 32
    .name:           _ZL30rocblas_trsm_small_left_deviceILi32ELi32ELb0EffPKPKfPKPfEv13rocblas_fill_18rocblas_operation_17rocblas_diagonal_iiT3_T4_lilT5_lili
    .private_segment_fixed_size: 0
    .sgpr_count:     46
    .sgpr_spill_count: 0
    .symbol:         _ZL30rocblas_trsm_small_left_deviceILi32ELi32ELb0EffPKPKfPKPfEv13rocblas_fill_18rocblas_operation_17rocblas_diagonal_iiT3_T4_lilT5_lili.kd
    .uniform_work_group_size: 1
    .uses_dynamic_stack: false
    .vgpr_count:     83
    .vgpr_spill_count: 0
    .wavefront_size: 32
    .workgroup_processor_mode: 1
  - .args:
      - .offset:         0
        .size:           4
        .value_kind:     by_value
      - .offset:         4
        .size:           4
        .value_kind:     by_value
      - .offset:         8
        .size:           4
        .value_kind:     by_value
      - .offset:         12
        .size:           4
        .value_kind:     by_value
      - .offset:         16
        .size:           4
        .value_kind:     by_value
      - .offset:         20
        .size:           4
        .value_kind:     by_value
      - .address_space:  global
        .offset:         24
        .size:           8
        .value_kind:     global_buffer
      - .offset:         32
        .size:           8
        .value_kind:     by_value
      - .offset:         40
        .size:           4
        .value_kind:     by_value
      - .offset:         48
        .size:           8
        .value_kind:     by_value
      - .address_space:  global
        .offset:         56
        .size:           8
        .value_kind:     global_buffer
      - .offset:         64
        .size:           8
        .value_kind:     by_value
      - .offset:         72
        .size:           4
        .value_kind:     by_value
      - .offset:         80
        .size:           8
        .value_kind:     by_value
      - .offset:         88
        .size:           4
        .value_kind:     by_value
      - .offset:         96
        .size:           4
        .value_kind:     hidden_block_count_x
      - .offset:         100
        .size:           4
        .value_kind:     hidden_block_count_y
      - .offset:         104
        .size:           4
        .value_kind:     hidden_block_count_z
      - .offset:         108
        .size:           2
        .value_kind:     hidden_group_size_x
      - .offset:         110
        .size:           2
        .value_kind:     hidden_group_size_y
      - .offset:         112
        .size:           2
        .value_kind:     hidden_group_size_z
      - .offset:         114
        .size:           2
        .value_kind:     hidden_remainder_x
      - .offset:         116
        .size:           2
        .value_kind:     hidden_remainder_y
      - .offset:         118
        .size:           2
        .value_kind:     hidden_remainder_z
      - .offset:         136
        .size:           8
        .value_kind:     hidden_global_offset_x
      - .offset:         144
        .size:           8
        .value_kind:     hidden_global_offset_y
      - .offset:         152
        .size:           8
        .value_kind:     hidden_global_offset_z
      - .offset:         160
        .size:           2
        .value_kind:     hidden_grid_dims
    .group_segment_fixed_size: 8192
    .kernarg_segment_align: 8
    .kernarg_segment_size: 352
    .language:       OpenCL C
    .language_version:
      - 2
      - 0
    .max_flat_workgroup_size: 32
    .name:           _ZL38rocblas_trsm_small_left_device_sharedBILi32ELi32ELb1EffPKPKfPKPfEv13rocblas_fill_18rocblas_operation_17rocblas_diagonal_iiT3_T4_lilT5_lili
    .private_segment_fixed_size: 0
    .sgpr_count:     45
    .sgpr_spill_count: 0
    .symbol:         _ZL38rocblas_trsm_small_left_device_sharedBILi32ELi32ELb1EffPKPKfPKPfEv13rocblas_fill_18rocblas_operation_17rocblas_diagonal_iiT3_T4_lilT5_lili.kd
    .uniform_work_group_size: 1
    .uses_dynamic_stack: false
    .vgpr_count:     77
    .vgpr_spill_count: 0
    .wavefront_size: 32
    .workgroup_processor_mode: 1
  - .args:
      - .offset:         0
        .size:           4
        .value_kind:     by_value
      - .offset:         4
        .size:           4
        .value_kind:     by_value
      - .offset:         8
        .size:           4
        .value_kind:     by_value
      - .offset:         12
        .size:           4
        .value_kind:     by_value
      - .offset:         16
        .size:           4
        .value_kind:     by_value
      - .offset:         20
        .size:           4
        .value_kind:     by_value
      - .address_space:  global
        .offset:         24
        .size:           8
        .value_kind:     global_buffer
      - .offset:         32
        .size:           8
        .value_kind:     by_value
      - .offset:         40
        .size:           4
        .value_kind:     by_value
      - .offset:         48
        .size:           8
        .value_kind:     by_value
      - .address_space:  global
        .offset:         56
        .size:           8
        .value_kind:     global_buffer
      - .offset:         64
        .size:           8
        .value_kind:     by_value
      - .offset:         72
        .size:           4
        .value_kind:     by_value
      - .offset:         80
        .size:           8
        .value_kind:     by_value
      - .offset:         88
        .size:           4
        .value_kind:     by_value
      - .offset:         96
        .size:           4
        .value_kind:     hidden_block_count_x
      - .offset:         100
        .size:           4
        .value_kind:     hidden_block_count_y
      - .offset:         104
        .size:           4
        .value_kind:     hidden_block_count_z
      - .offset:         108
        .size:           2
        .value_kind:     hidden_group_size_x
      - .offset:         110
        .size:           2
        .value_kind:     hidden_group_size_y
      - .offset:         112
        .size:           2
        .value_kind:     hidden_group_size_z
      - .offset:         114
        .size:           2
        .value_kind:     hidden_remainder_x
      - .offset:         116
        .size:           2
        .value_kind:     hidden_remainder_y
      - .offset:         118
        .size:           2
        .value_kind:     hidden_remainder_z
      - .offset:         136
        .size:           8
        .value_kind:     hidden_global_offset_x
      - .offset:         144
        .size:           8
        .value_kind:     hidden_global_offset_y
      - .offset:         152
        .size:           8
        .value_kind:     hidden_global_offset_z
      - .offset:         160
        .size:           2
        .value_kind:     hidden_grid_dims
    .group_segment_fixed_size: 4096
    .kernarg_segment_align: 8
    .kernarg_segment_size: 352
    .language:       OpenCL C
    .language_version:
      - 2
      - 0
    .max_flat_workgroup_size: 32
    .name:           _ZL30rocblas_trsm_small_left_deviceILi32ELi32ELb1EffPKPKfPKPfEv13rocblas_fill_18rocblas_operation_17rocblas_diagonal_iiT3_T4_lilT5_lili
    .private_segment_fixed_size: 0
    .sgpr_count:     45
    .sgpr_spill_count: 0
    .symbol:         _ZL30rocblas_trsm_small_left_deviceILi32ELi32ELb1EffPKPKfPKPfEv13rocblas_fill_18rocblas_operation_17rocblas_diagonal_iiT3_T4_lilT5_lili.kd
    .uniform_work_group_size: 1
    .uses_dynamic_stack: false
    .vgpr_count:     81
    .vgpr_spill_count: 0
    .wavefront_size: 32
    .workgroup_processor_mode: 1
  - .args:
      - .offset:         0
        .size:           4
        .value_kind:     by_value
      - .offset:         4
        .size:           4
        .value_kind:     by_value
      - .offset:         8
        .size:           4
        .value_kind:     by_value
      - .offset:         12
        .size:           4
        .value_kind:     by_value
      - .offset:         16
        .size:           4
        .value_kind:     by_value
      - .offset:         20
        .size:           4
        .value_kind:     by_value
      - .address_space:  global
        .offset:         24
        .size:           8
        .value_kind:     global_buffer
      - .offset:         32
        .size:           8
        .value_kind:     by_value
      - .offset:         40
        .size:           4
        .value_kind:     by_value
      - .offset:         48
        .size:           8
        .value_kind:     by_value
      - .address_space:  global
        .offset:         56
        .size:           8
        .value_kind:     global_buffer
      - .offset:         64
        .size:           8
        .value_kind:     by_value
      - .offset:         72
        .size:           4
        .value_kind:     by_value
      - .offset:         80
        .size:           8
        .value_kind:     by_value
      - .offset:         88
        .size:           4
        .value_kind:     by_value
      - .offset:         96
        .size:           4
        .value_kind:     hidden_block_count_x
      - .offset:         100
        .size:           4
        .value_kind:     hidden_block_count_y
      - .offset:         104
        .size:           4
        .value_kind:     hidden_block_count_z
      - .offset:         108
        .size:           2
        .value_kind:     hidden_group_size_x
      - .offset:         110
        .size:           2
        .value_kind:     hidden_group_size_y
      - .offset:         112
        .size:           2
        .value_kind:     hidden_group_size_z
      - .offset:         114
        .size:           2
        .value_kind:     hidden_remainder_x
      - .offset:         116
        .size:           2
        .value_kind:     hidden_remainder_y
      - .offset:         118
        .size:           2
        .value_kind:     hidden_remainder_z
      - .offset:         136
        .size:           8
        .value_kind:     hidden_global_offset_x
      - .offset:         144
        .size:           8
        .value_kind:     hidden_global_offset_y
      - .offset:         152
        .size:           8
        .value_kind:     hidden_global_offset_z
      - .offset:         160
        .size:           2
        .value_kind:     hidden_grid_dims
    .group_segment_fixed_size: 8192
    .kernarg_segment_align: 8
    .kernarg_segment_size: 352
    .language:       OpenCL C
    .language_version:
      - 2
      - 0
    .max_flat_workgroup_size: 32
    .name:           _ZL31rocblas_trsm_small_right_deviceIffPKPKfPKPfLi32EEv13rocblas_fill_18rocblas_operation_17rocblas_diagonal_iiT0_T1_lilT2_lili
    .private_segment_fixed_size: 0
    .sgpr_count:     45
    .sgpr_spill_count: 0
    .symbol:         _ZL31rocblas_trsm_small_right_deviceIffPKPKfPKPfLi32EEv13rocblas_fill_18rocblas_operation_17rocblas_diagonal_iiT0_T1_lilT2_lili.kd
    .uniform_work_group_size: 1
    .uses_dynamic_stack: false
    .vgpr_count:     30
    .vgpr_spill_count: 0
    .wavefront_size: 32
    .workgroup_processor_mode: 1
  - .args:
      - .offset:         0
        .size:           4
        .value_kind:     by_value
      - .offset:         4
        .size:           4
        .value_kind:     by_value
      - .offset:         8
        .size:           4
        .value_kind:     by_value
      - .offset:         12
        .size:           4
        .value_kind:     by_value
      - .offset:         16
        .size:           4
        .value_kind:     by_value
      - .offset:         20
        .size:           4
        .value_kind:     by_value
      - .address_space:  global
        .offset:         24
        .size:           8
        .value_kind:     global_buffer
      - .offset:         32
        .size:           8
        .value_kind:     by_value
      - .offset:         40
        .size:           4
        .value_kind:     by_value
      - .offset:         48
        .size:           8
        .value_kind:     by_value
      - .address_space:  global
        .offset:         56
        .size:           8
        .value_kind:     global_buffer
      - .offset:         64
        .size:           8
        .value_kind:     by_value
      - .offset:         72
        .size:           4
        .value_kind:     by_value
      - .offset:         80
        .size:           8
        .value_kind:     by_value
      - .offset:         88
        .size:           4
        .value_kind:     by_value
      - .offset:         96
        .size:           4
        .value_kind:     hidden_block_count_x
      - .offset:         100
        .size:           4
        .value_kind:     hidden_block_count_y
      - .offset:         104
        .size:           4
        .value_kind:     hidden_block_count_z
      - .offset:         108
        .size:           2
        .value_kind:     hidden_group_size_x
      - .offset:         110
        .size:           2
        .value_kind:     hidden_group_size_y
      - .offset:         112
        .size:           2
        .value_kind:     hidden_group_size_z
      - .offset:         114
        .size:           2
        .value_kind:     hidden_remainder_x
      - .offset:         116
        .size:           2
        .value_kind:     hidden_remainder_y
      - .offset:         118
        .size:           2
        .value_kind:     hidden_remainder_z
      - .offset:         136
        .size:           8
        .value_kind:     hidden_global_offset_x
      - .offset:         144
        .size:           8
        .value_kind:     hidden_global_offset_y
      - .offset:         152
        .size:           8
        .value_kind:     hidden_global_offset_z
      - .offset:         160
        .size:           2
        .value_kind:     hidden_grid_dims
    .group_segment_fixed_size: 32768
    .kernarg_segment_align: 8
    .kernarg_segment_size: 352
    .language:       OpenCL C
    .language_version:
      - 2
      - 0
    .max_flat_workgroup_size: 64
    .name:           _ZL38rocblas_trsm_small_left_device_sharedBILi64ELi32ELb0EffPKPKfPKPfEv13rocblas_fill_18rocblas_operation_17rocblas_diagonal_iiT3_T4_lilT5_lili
    .private_segment_fixed_size: 0
    .sgpr_count:     45
    .sgpr_spill_count: 0
    .symbol:         _ZL38rocblas_trsm_small_left_device_sharedBILi64ELi32ELb0EffPKPKfPKPfEv13rocblas_fill_18rocblas_operation_17rocblas_diagonal_iiT3_T4_lilT5_lili.kd
    .uniform_work_group_size: 1
    .uses_dynamic_stack: false
    .vgpr_count:     77
    .vgpr_spill_count: 0
    .wavefront_size: 32
    .workgroup_processor_mode: 1
  - .args:
      - .offset:         0
        .size:           4
        .value_kind:     by_value
      - .offset:         4
        .size:           4
        .value_kind:     by_value
      - .offset:         8
        .size:           4
        .value_kind:     by_value
      - .offset:         12
        .size:           4
        .value_kind:     by_value
      - .offset:         16
        .size:           4
        .value_kind:     by_value
      - .offset:         20
        .size:           4
        .value_kind:     by_value
      - .address_space:  global
        .offset:         24
        .size:           8
        .value_kind:     global_buffer
      - .offset:         32
        .size:           8
        .value_kind:     by_value
      - .offset:         40
        .size:           4
        .value_kind:     by_value
      - .offset:         48
        .size:           8
        .value_kind:     by_value
      - .address_space:  global
        .offset:         56
        .size:           8
        .value_kind:     global_buffer
      - .offset:         64
        .size:           8
        .value_kind:     by_value
      - .offset:         72
        .size:           4
        .value_kind:     by_value
      - .offset:         80
        .size:           8
        .value_kind:     by_value
      - .offset:         88
        .size:           4
        .value_kind:     by_value
      - .offset:         96
        .size:           4
        .value_kind:     hidden_block_count_x
      - .offset:         100
        .size:           4
        .value_kind:     hidden_block_count_y
      - .offset:         104
        .size:           4
        .value_kind:     hidden_block_count_z
      - .offset:         108
        .size:           2
        .value_kind:     hidden_group_size_x
      - .offset:         110
        .size:           2
        .value_kind:     hidden_group_size_y
      - .offset:         112
        .size:           2
        .value_kind:     hidden_group_size_z
      - .offset:         114
        .size:           2
        .value_kind:     hidden_remainder_x
      - .offset:         116
        .size:           2
        .value_kind:     hidden_remainder_y
      - .offset:         118
        .size:           2
        .value_kind:     hidden_remainder_z
      - .offset:         136
        .size:           8
        .value_kind:     hidden_global_offset_x
      - .offset:         144
        .size:           8
        .value_kind:     hidden_global_offset_y
      - .offset:         152
        .size:           8
        .value_kind:     hidden_global_offset_z
      - .offset:         160
        .size:           2
        .value_kind:     hidden_grid_dims
    .group_segment_fixed_size: 16384
    .kernarg_segment_align: 8
    .kernarg_segment_size: 352
    .language:       OpenCL C
    .language_version:
      - 2
      - 0
    .max_flat_workgroup_size: 64
    .name:           _ZL30rocblas_trsm_small_left_deviceILi64ELi32ELb0EffPKPKfPKPfEv13rocblas_fill_18rocblas_operation_17rocblas_diagonal_iiT3_T4_lilT5_lili
    .private_segment_fixed_size: 0
    .sgpr_count:     46
    .sgpr_spill_count: 0
    .symbol:         _ZL30rocblas_trsm_small_left_deviceILi64ELi32ELb0EffPKPKfPKPfEv13rocblas_fill_18rocblas_operation_17rocblas_diagonal_iiT3_T4_lilT5_lili.kd
    .uniform_work_group_size: 1
    .uses_dynamic_stack: false
    .vgpr_count:     83
    .vgpr_spill_count: 0
    .wavefront_size: 32
    .workgroup_processor_mode: 1
  - .args:
      - .offset:         0
        .size:           4
        .value_kind:     by_value
      - .offset:         4
        .size:           4
        .value_kind:     by_value
      - .offset:         8
        .size:           4
        .value_kind:     by_value
      - .offset:         12
        .size:           4
        .value_kind:     by_value
      - .offset:         16
        .size:           4
        .value_kind:     by_value
      - .offset:         20
        .size:           4
        .value_kind:     by_value
      - .address_space:  global
        .offset:         24
        .size:           8
        .value_kind:     global_buffer
      - .offset:         32
        .size:           8
        .value_kind:     by_value
      - .offset:         40
        .size:           4
        .value_kind:     by_value
      - .offset:         48
        .size:           8
        .value_kind:     by_value
      - .address_space:  global
        .offset:         56
        .size:           8
        .value_kind:     global_buffer
      - .offset:         64
        .size:           8
        .value_kind:     by_value
      - .offset:         72
        .size:           4
        .value_kind:     by_value
      - .offset:         80
        .size:           8
        .value_kind:     by_value
      - .offset:         88
        .size:           4
        .value_kind:     by_value
      - .offset:         96
        .size:           4
        .value_kind:     hidden_block_count_x
      - .offset:         100
        .size:           4
        .value_kind:     hidden_block_count_y
      - .offset:         104
        .size:           4
        .value_kind:     hidden_block_count_z
      - .offset:         108
        .size:           2
        .value_kind:     hidden_group_size_x
      - .offset:         110
        .size:           2
        .value_kind:     hidden_group_size_y
      - .offset:         112
        .size:           2
        .value_kind:     hidden_group_size_z
      - .offset:         114
        .size:           2
        .value_kind:     hidden_remainder_x
      - .offset:         116
        .size:           2
        .value_kind:     hidden_remainder_y
      - .offset:         118
        .size:           2
        .value_kind:     hidden_remainder_z
      - .offset:         136
        .size:           8
        .value_kind:     hidden_global_offset_x
      - .offset:         144
        .size:           8
        .value_kind:     hidden_global_offset_y
      - .offset:         152
        .size:           8
        .value_kind:     hidden_global_offset_z
      - .offset:         160
        .size:           2
        .value_kind:     hidden_grid_dims
    .group_segment_fixed_size: 32768
    .kernarg_segment_align: 8
    .kernarg_segment_size: 352
    .language:       OpenCL C
    .language_version:
      - 2
      - 0
    .max_flat_workgroup_size: 64
    .name:           _ZL38rocblas_trsm_small_left_device_sharedBILi64ELi32ELb1EffPKPKfPKPfEv13rocblas_fill_18rocblas_operation_17rocblas_diagonal_iiT3_T4_lilT5_lili
    .private_segment_fixed_size: 0
    .sgpr_count:     45
    .sgpr_spill_count: 0
    .symbol:         _ZL38rocblas_trsm_small_left_device_sharedBILi64ELi32ELb1EffPKPKfPKPfEv13rocblas_fill_18rocblas_operation_17rocblas_diagonal_iiT3_T4_lilT5_lili.kd
    .uniform_work_group_size: 1
    .uses_dynamic_stack: false
    .vgpr_count:     77
    .vgpr_spill_count: 0
    .wavefront_size: 32
    .workgroup_processor_mode: 1
  - .args:
      - .offset:         0
        .size:           4
        .value_kind:     by_value
      - .offset:         4
        .size:           4
        .value_kind:     by_value
      - .offset:         8
        .size:           4
        .value_kind:     by_value
      - .offset:         12
        .size:           4
        .value_kind:     by_value
      - .offset:         16
        .size:           4
        .value_kind:     by_value
      - .offset:         20
        .size:           4
        .value_kind:     by_value
      - .address_space:  global
        .offset:         24
        .size:           8
        .value_kind:     global_buffer
      - .offset:         32
        .size:           8
        .value_kind:     by_value
      - .offset:         40
        .size:           4
        .value_kind:     by_value
      - .offset:         48
        .size:           8
        .value_kind:     by_value
      - .address_space:  global
        .offset:         56
        .size:           8
        .value_kind:     global_buffer
      - .offset:         64
        .size:           8
        .value_kind:     by_value
      - .offset:         72
        .size:           4
        .value_kind:     by_value
      - .offset:         80
        .size:           8
        .value_kind:     by_value
      - .offset:         88
        .size:           4
        .value_kind:     by_value
      - .offset:         96
        .size:           4
        .value_kind:     hidden_block_count_x
      - .offset:         100
        .size:           4
        .value_kind:     hidden_block_count_y
      - .offset:         104
        .size:           4
        .value_kind:     hidden_block_count_z
      - .offset:         108
        .size:           2
        .value_kind:     hidden_group_size_x
      - .offset:         110
        .size:           2
        .value_kind:     hidden_group_size_y
      - .offset:         112
        .size:           2
        .value_kind:     hidden_group_size_z
      - .offset:         114
        .size:           2
        .value_kind:     hidden_remainder_x
      - .offset:         116
        .size:           2
        .value_kind:     hidden_remainder_y
      - .offset:         118
        .size:           2
        .value_kind:     hidden_remainder_z
      - .offset:         136
        .size:           8
        .value_kind:     hidden_global_offset_x
      - .offset:         144
        .size:           8
        .value_kind:     hidden_global_offset_y
      - .offset:         152
        .size:           8
        .value_kind:     hidden_global_offset_z
      - .offset:         160
        .size:           2
        .value_kind:     hidden_grid_dims
    .group_segment_fixed_size: 16384
    .kernarg_segment_align: 8
    .kernarg_segment_size: 352
    .language:       OpenCL C
    .language_version:
      - 2
      - 0
    .max_flat_workgroup_size: 64
    .name:           _ZL30rocblas_trsm_small_left_deviceILi64ELi32ELb1EffPKPKfPKPfEv13rocblas_fill_18rocblas_operation_17rocblas_diagonal_iiT3_T4_lilT5_lili
    .private_segment_fixed_size: 0
    .sgpr_count:     45
    .sgpr_spill_count: 0
    .symbol:         _ZL30rocblas_trsm_small_left_deviceILi64ELi32ELb1EffPKPKfPKPfEv13rocblas_fill_18rocblas_operation_17rocblas_diagonal_iiT3_T4_lilT5_lili.kd
    .uniform_work_group_size: 1
    .uses_dynamic_stack: false
    .vgpr_count:     81
    .vgpr_spill_count: 0
    .wavefront_size: 32
    .workgroup_processor_mode: 1
  - .args:
      - .offset:         0
        .size:           4
        .value_kind:     by_value
      - .offset:         4
        .size:           4
        .value_kind:     by_value
      - .offset:         8
        .size:           4
        .value_kind:     by_value
      - .offset:         12
        .size:           4
        .value_kind:     by_value
      - .offset:         16
        .size:           4
        .value_kind:     by_value
      - .offset:         20
        .size:           4
        .value_kind:     by_value
      - .address_space:  global
        .offset:         24
        .size:           8
        .value_kind:     global_buffer
      - .offset:         32
        .size:           8
        .value_kind:     by_value
      - .offset:         40
        .size:           4
        .value_kind:     by_value
      - .offset:         48
        .size:           8
        .value_kind:     by_value
      - .address_space:  global
        .offset:         56
        .size:           8
        .value_kind:     global_buffer
      - .offset:         64
        .size:           8
        .value_kind:     by_value
      - .offset:         72
        .size:           4
        .value_kind:     by_value
      - .offset:         80
        .size:           8
        .value_kind:     by_value
      - .offset:         88
        .size:           4
        .value_kind:     by_value
      - .offset:         96
        .size:           4
        .value_kind:     hidden_block_count_x
      - .offset:         100
        .size:           4
        .value_kind:     hidden_block_count_y
      - .offset:         104
        .size:           4
        .value_kind:     hidden_block_count_z
      - .offset:         108
        .size:           2
        .value_kind:     hidden_group_size_x
      - .offset:         110
        .size:           2
        .value_kind:     hidden_group_size_y
      - .offset:         112
        .size:           2
        .value_kind:     hidden_group_size_z
      - .offset:         114
        .size:           2
        .value_kind:     hidden_remainder_x
      - .offset:         116
        .size:           2
        .value_kind:     hidden_remainder_y
      - .offset:         118
        .size:           2
        .value_kind:     hidden_remainder_z
      - .offset:         136
        .size:           8
        .value_kind:     hidden_global_offset_x
      - .offset:         144
        .size:           8
        .value_kind:     hidden_global_offset_y
      - .offset:         152
        .size:           8
        .value_kind:     hidden_global_offset_z
      - .offset:         160
        .size:           2
        .value_kind:     hidden_grid_dims
    .group_segment_fixed_size: 32768
    .kernarg_segment_align: 8
    .kernarg_segment_size: 352
    .language:       OpenCL C
    .language_version:
      - 2
      - 0
    .max_flat_workgroup_size: 64
    .name:           _ZL31rocblas_trsm_small_right_deviceIffPKPKfPKPfLi64EEv13rocblas_fill_18rocblas_operation_17rocblas_diagonal_iiT0_T1_lilT2_lili
    .private_segment_fixed_size: 0
    .sgpr_count:     45
    .sgpr_spill_count: 0
    .symbol:         _ZL31rocblas_trsm_small_right_deviceIffPKPKfPKPfLi64EEv13rocblas_fill_18rocblas_operation_17rocblas_diagonal_iiT0_T1_lilT2_lili.kd
    .uniform_work_group_size: 1
    .uses_dynamic_stack: false
    .vgpr_count:     30
    .vgpr_spill_count: 0
    .wavefront_size: 32
    .workgroup_processor_mode: 1
  - .args:
      - .offset:         0
        .size:           4
        .value_kind:     by_value
      - .offset:         8
        .size:           8
        .value_kind:     by_value
      - .offset:         16
        .size:           8
        .value_kind:     by_value
      - .offset:         24
        .size:           4
        .value_kind:     by_value
      - .address_space:  global
        .offset:         32
        .size:           8
        .value_kind:     global_buffer
      - .offset:         40
        .size:           8
        .value_kind:     by_value
      - .offset:         48
        .size:           8
        .value_kind:     by_value
      - .offset:         56
        .size:           8
        .value_kind:     by_value
      - .address_space:  global
        .offset:         64
        .size:           8
        .value_kind:     global_buffer
      - .offset:         72
        .size:           8
        .value_kind:     by_value
      - .offset:         80
        .size:           8
        .value_kind:     by_value
      - .offset:         88
        .size:           8
        .value_kind:     by_value
      - .offset:         96
        .size:           4
        .value_kind:     by_value
      - .offset:         100
        .size:           1
        .value_kind:     by_value
      - .offset:         104
        .size:           4
        .value_kind:     hidden_block_count_x
      - .offset:         108
        .size:           4
        .value_kind:     hidden_block_count_y
      - .offset:         112
        .size:           4
        .value_kind:     hidden_block_count_z
      - .offset:         116
        .size:           2
        .value_kind:     hidden_group_size_x
      - .offset:         118
        .size:           2
        .value_kind:     hidden_group_size_y
      - .offset:         120
        .size:           2
        .value_kind:     hidden_group_size_z
      - .offset:         122
        .size:           2
        .value_kind:     hidden_remainder_x
      - .offset:         124
        .size:           2
        .value_kind:     hidden_remainder_y
      - .offset:         126
        .size:           2
        .value_kind:     hidden_remainder_z
      - .offset:         144
        .size:           8
        .value_kind:     hidden_global_offset_x
      - .offset:         152
        .size:           8
        .value_kind:     hidden_global_offset_y
      - .offset:         160
        .size:           8
        .value_kind:     hidden_global_offset_z
      - .offset:         168
        .size:           2
        .value_kind:     hidden_grid_dims
      - .offset:         224
        .size:           4
        .value_kind:     hidden_dynamic_lds_size
    .group_segment_fixed_size: 0
    .kernarg_segment_align: 8
    .kernarg_segment_size: 360
    .language:       OpenCL C
    .language_version:
      - 2
      - 0
    .max_flat_workgroup_size: 1024
    .name:           _ZL39rocblas_trsm_block_forward_substitutionIffPKPKfPKPfLb0ELb0ELb0EEv18rocblas_operation_llT0_T1_lllT2_lllib
    .private_segment_fixed_size: 0
    .sgpr_count:     38
    .sgpr_spill_count: 0
    .symbol:         _ZL39rocblas_trsm_block_forward_substitutionIffPKPKfPKPfLb0ELb0ELb0EEv18rocblas_operation_llT0_T1_lllT2_lllib.kd
    .uniform_work_group_size: 1
    .uses_dynamic_stack: false
    .vgpr_count:     23
    .vgpr_spill_count: 0
    .wavefront_size: 32
    .workgroup_processor_mode: 1
  - .args:
      - .offset:         0
        .size:           4
        .value_kind:     by_value
      - .offset:         8
        .size:           8
        .value_kind:     by_value
      - .offset:         16
        .size:           8
        .value_kind:     by_value
      - .offset:         24
        .size:           4
        .value_kind:     by_value
      - .address_space:  global
        .offset:         32
        .size:           8
        .value_kind:     global_buffer
      - .offset:         40
        .size:           8
        .value_kind:     by_value
      - .offset:         48
        .size:           8
        .value_kind:     by_value
      - .offset:         56
        .size:           8
        .value_kind:     by_value
      - .address_space:  global
        .offset:         64
        .size:           8
        .value_kind:     global_buffer
      - .offset:         72
        .size:           8
        .value_kind:     by_value
      - .offset:         80
        .size:           8
        .value_kind:     by_value
      - .offset:         88
        .size:           8
        .value_kind:     by_value
      - .offset:         96
        .size:           4
        .value_kind:     by_value
      - .offset:         100
        .size:           1
        .value_kind:     by_value
      - .offset:         104
        .size:           4
        .value_kind:     hidden_block_count_x
      - .offset:         108
        .size:           4
        .value_kind:     hidden_block_count_y
      - .offset:         112
        .size:           4
        .value_kind:     hidden_block_count_z
      - .offset:         116
        .size:           2
        .value_kind:     hidden_group_size_x
      - .offset:         118
        .size:           2
        .value_kind:     hidden_group_size_y
      - .offset:         120
        .size:           2
        .value_kind:     hidden_group_size_z
      - .offset:         122
        .size:           2
        .value_kind:     hidden_remainder_x
      - .offset:         124
        .size:           2
        .value_kind:     hidden_remainder_y
      - .offset:         126
        .size:           2
        .value_kind:     hidden_remainder_z
      - .offset:         144
        .size:           8
        .value_kind:     hidden_global_offset_x
      - .offset:         152
        .size:           8
        .value_kind:     hidden_global_offset_y
      - .offset:         160
        .size:           8
        .value_kind:     hidden_global_offset_z
      - .offset:         168
        .size:           2
        .value_kind:     hidden_grid_dims
      - .offset:         224
        .size:           4
        .value_kind:     hidden_dynamic_lds_size
    .group_segment_fixed_size: 0
    .kernarg_segment_align: 8
    .kernarg_segment_size: 360
    .language:       OpenCL C
    .language_version:
      - 2
      - 0
    .max_flat_workgroup_size: 1024
    .name:           _ZL40rocblas_trsm_block_backward_substitutionIffPKPKfPKPfLb0ELb0ELb0EEv18rocblas_operation_llT0_T1_lllT2_lllib
    .private_segment_fixed_size: 0
    .sgpr_count:     48
    .sgpr_spill_count: 0
    .symbol:         _ZL40rocblas_trsm_block_backward_substitutionIffPKPKfPKPfLb0ELb0ELb0EEv18rocblas_operation_llT0_T1_lllT2_lllib.kd
    .uniform_work_group_size: 1
    .uses_dynamic_stack: false
    .vgpr_count:     28
    .vgpr_spill_count: 0
    .wavefront_size: 32
    .workgroup_processor_mode: 1
  - .args:
      - .offset:         0
        .size:           4
        .value_kind:     by_value
      - .offset:         8
        .size:           8
        .value_kind:     by_value
      - .offset:         16
        .size:           8
        .value_kind:     by_value
      - .offset:         24
        .size:           4
        .value_kind:     by_value
      - .address_space:  global
        .offset:         32
        .size:           8
        .value_kind:     global_buffer
      - .offset:         40
        .size:           8
        .value_kind:     by_value
      - .offset:         48
        .size:           8
        .value_kind:     by_value
      - .offset:         56
        .size:           8
        .value_kind:     by_value
      - .address_space:  global
        .offset:         64
        .size:           8
        .value_kind:     global_buffer
      - .offset:         72
        .size:           8
        .value_kind:     by_value
      - .offset:         80
        .size:           8
        .value_kind:     by_value
      - .offset:         88
        .size:           8
        .value_kind:     by_value
      - .offset:         96
        .size:           4
        .value_kind:     by_value
      - .offset:         100
        .size:           1
        .value_kind:     by_value
      - .offset:         104
        .size:           4
        .value_kind:     hidden_block_count_x
      - .offset:         108
        .size:           4
        .value_kind:     hidden_block_count_y
      - .offset:         112
        .size:           4
        .value_kind:     hidden_block_count_z
      - .offset:         116
        .size:           2
        .value_kind:     hidden_group_size_x
      - .offset:         118
        .size:           2
        .value_kind:     hidden_group_size_y
      - .offset:         120
        .size:           2
        .value_kind:     hidden_group_size_z
      - .offset:         122
        .size:           2
        .value_kind:     hidden_remainder_x
      - .offset:         124
        .size:           2
        .value_kind:     hidden_remainder_y
      - .offset:         126
        .size:           2
        .value_kind:     hidden_remainder_z
      - .offset:         144
        .size:           8
        .value_kind:     hidden_global_offset_x
      - .offset:         152
        .size:           8
        .value_kind:     hidden_global_offset_y
      - .offset:         160
        .size:           8
        .value_kind:     hidden_global_offset_z
      - .offset:         168
        .size:           2
        .value_kind:     hidden_grid_dims
      - .offset:         224
        .size:           4
        .value_kind:     hidden_dynamic_lds_size
    .group_segment_fixed_size: 0
    .kernarg_segment_align: 8
    .kernarg_segment_size: 360
    .language:       OpenCL C
    .language_version:
      - 2
      - 0
    .max_flat_workgroup_size: 1024
    .name:           _ZL39rocblas_trsm_block_forward_substitutionIffPKPKfPKPfLb0ELb0ELb1EEv18rocblas_operation_llT0_T1_lllT2_lllib
    .private_segment_fixed_size: 0
    .sgpr_count:     37
    .sgpr_spill_count: 0
    .symbol:         _ZL39rocblas_trsm_block_forward_substitutionIffPKPKfPKPfLb0ELb0ELb1EEv18rocblas_operation_llT0_T1_lllT2_lllib.kd
    .uniform_work_group_size: 1
    .uses_dynamic_stack: false
    .vgpr_count:     17
    .vgpr_spill_count: 0
    .wavefront_size: 32
    .workgroup_processor_mode: 1
  - .args:
      - .offset:         0
        .size:           4
        .value_kind:     by_value
      - .offset:         8
        .size:           8
        .value_kind:     by_value
      - .offset:         16
        .size:           8
        .value_kind:     by_value
      - .offset:         24
        .size:           4
        .value_kind:     by_value
      - .address_space:  global
        .offset:         32
        .size:           8
        .value_kind:     global_buffer
      - .offset:         40
        .size:           8
        .value_kind:     by_value
      - .offset:         48
        .size:           8
        .value_kind:     by_value
      - .offset:         56
        .size:           8
        .value_kind:     by_value
      - .address_space:  global
        .offset:         64
        .size:           8
        .value_kind:     global_buffer
      - .offset:         72
        .size:           8
        .value_kind:     by_value
      - .offset:         80
        .size:           8
        .value_kind:     by_value
      - .offset:         88
        .size:           8
        .value_kind:     by_value
      - .offset:         96
        .size:           4
        .value_kind:     by_value
      - .offset:         100
        .size:           1
        .value_kind:     by_value
      - .offset:         104
        .size:           4
        .value_kind:     hidden_block_count_x
      - .offset:         108
        .size:           4
        .value_kind:     hidden_block_count_y
      - .offset:         112
        .size:           4
        .value_kind:     hidden_block_count_z
      - .offset:         116
        .size:           2
        .value_kind:     hidden_group_size_x
      - .offset:         118
        .size:           2
        .value_kind:     hidden_group_size_y
      - .offset:         120
        .size:           2
        .value_kind:     hidden_group_size_z
      - .offset:         122
        .size:           2
        .value_kind:     hidden_remainder_x
      - .offset:         124
        .size:           2
        .value_kind:     hidden_remainder_y
      - .offset:         126
        .size:           2
        .value_kind:     hidden_remainder_z
      - .offset:         144
        .size:           8
        .value_kind:     hidden_global_offset_x
      - .offset:         152
        .size:           8
        .value_kind:     hidden_global_offset_y
      - .offset:         160
        .size:           8
        .value_kind:     hidden_global_offset_z
      - .offset:         168
        .size:           2
        .value_kind:     hidden_grid_dims
      - .offset:         224
        .size:           4
        .value_kind:     hidden_dynamic_lds_size
    .group_segment_fixed_size: 0
    .kernarg_segment_align: 8
    .kernarg_segment_size: 360
    .language:       OpenCL C
    .language_version:
      - 2
      - 0
    .max_flat_workgroup_size: 1024
    .name:           _ZL40rocblas_trsm_block_backward_substitutionIffPKPKfPKPfLb0ELb0ELb1EEv18rocblas_operation_llT0_T1_lllT2_lllib
    .private_segment_fixed_size: 0
    .sgpr_count:     40
    .sgpr_spill_count: 0
    .symbol:         _ZL40rocblas_trsm_block_backward_substitutionIffPKPKfPKPfLb0ELb0ELb1EEv18rocblas_operation_llT0_T1_lllT2_lllib.kd
    .uniform_work_group_size: 1
    .uses_dynamic_stack: false
    .vgpr_count:     20
    .vgpr_spill_count: 0
    .wavefront_size: 32
    .workgroup_processor_mode: 1
  - .args:
      - .offset:         0
        .size:           4
        .value_kind:     by_value
      - .offset:         8
        .size:           8
        .value_kind:     by_value
      - .offset:         16
        .size:           8
        .value_kind:     by_value
      - .offset:         24
        .size:           4
        .value_kind:     by_value
      - .address_space:  global
        .offset:         32
        .size:           8
        .value_kind:     global_buffer
      - .offset:         40
        .size:           8
        .value_kind:     by_value
      - .offset:         48
        .size:           8
        .value_kind:     by_value
      - .offset:         56
        .size:           8
        .value_kind:     by_value
      - .address_space:  global
        .offset:         64
        .size:           8
        .value_kind:     global_buffer
      - .offset:         72
        .size:           8
        .value_kind:     by_value
      - .offset:         80
        .size:           8
        .value_kind:     by_value
      - .offset:         88
        .size:           8
        .value_kind:     by_value
      - .offset:         96
        .size:           4
        .value_kind:     by_value
      - .offset:         100
        .size:           1
        .value_kind:     by_value
      - .offset:         104
        .size:           4
        .value_kind:     hidden_block_count_x
      - .offset:         108
        .size:           4
        .value_kind:     hidden_block_count_y
      - .offset:         112
        .size:           4
        .value_kind:     hidden_block_count_z
      - .offset:         116
        .size:           2
        .value_kind:     hidden_group_size_x
      - .offset:         118
        .size:           2
        .value_kind:     hidden_group_size_y
      - .offset:         120
        .size:           2
        .value_kind:     hidden_group_size_z
      - .offset:         122
        .size:           2
        .value_kind:     hidden_remainder_x
      - .offset:         124
        .size:           2
        .value_kind:     hidden_remainder_y
      - .offset:         126
        .size:           2
        .value_kind:     hidden_remainder_z
      - .offset:         144
        .size:           8
        .value_kind:     hidden_global_offset_x
      - .offset:         152
        .size:           8
        .value_kind:     hidden_global_offset_y
      - .offset:         160
        .size:           8
        .value_kind:     hidden_global_offset_z
      - .offset:         168
        .size:           2
        .value_kind:     hidden_grid_dims
      - .offset:         224
        .size:           4
        .value_kind:     hidden_dynamic_lds_size
    .group_segment_fixed_size: 0
    .kernarg_segment_align: 8
    .kernarg_segment_size: 360
    .language:       OpenCL C
    .language_version:
      - 2
      - 0
    .max_flat_workgroup_size: 1024
    .name:           _ZL39rocblas_trsm_block_forward_substitutionIffPKPKfPKPfLb0ELb1ELb0EEv18rocblas_operation_llT0_T1_lllT2_lllib
    .private_segment_fixed_size: 0
    .sgpr_count:     38
    .sgpr_spill_count: 0
    .symbol:         _ZL39rocblas_trsm_block_forward_substitutionIffPKPKfPKPfLb0ELb1ELb0EEv18rocblas_operation_llT0_T1_lllT2_lllib.kd
    .uniform_work_group_size: 1
    .uses_dynamic_stack: false
    .vgpr_count:     25
    .vgpr_spill_count: 0
    .wavefront_size: 32
    .workgroup_processor_mode: 1
  - .args:
      - .offset:         0
        .size:           4
        .value_kind:     by_value
      - .offset:         8
        .size:           8
        .value_kind:     by_value
      - .offset:         16
        .size:           8
        .value_kind:     by_value
      - .offset:         24
        .size:           4
        .value_kind:     by_value
      - .address_space:  global
        .offset:         32
        .size:           8
        .value_kind:     global_buffer
      - .offset:         40
        .size:           8
        .value_kind:     by_value
      - .offset:         48
        .size:           8
        .value_kind:     by_value
      - .offset:         56
        .size:           8
        .value_kind:     by_value
      - .address_space:  global
        .offset:         64
        .size:           8
        .value_kind:     global_buffer
      - .offset:         72
        .size:           8
        .value_kind:     by_value
      - .offset:         80
        .size:           8
        .value_kind:     by_value
      - .offset:         88
        .size:           8
        .value_kind:     by_value
      - .offset:         96
        .size:           4
        .value_kind:     by_value
      - .offset:         100
        .size:           1
        .value_kind:     by_value
      - .offset:         104
        .size:           4
        .value_kind:     hidden_block_count_x
      - .offset:         108
        .size:           4
        .value_kind:     hidden_block_count_y
      - .offset:         112
        .size:           4
        .value_kind:     hidden_block_count_z
      - .offset:         116
        .size:           2
        .value_kind:     hidden_group_size_x
      - .offset:         118
        .size:           2
        .value_kind:     hidden_group_size_y
      - .offset:         120
        .size:           2
        .value_kind:     hidden_group_size_z
      - .offset:         122
        .size:           2
        .value_kind:     hidden_remainder_x
      - .offset:         124
        .size:           2
        .value_kind:     hidden_remainder_y
      - .offset:         126
        .size:           2
        .value_kind:     hidden_remainder_z
      - .offset:         144
        .size:           8
        .value_kind:     hidden_global_offset_x
      - .offset:         152
        .size:           8
        .value_kind:     hidden_global_offset_y
      - .offset:         160
        .size:           8
        .value_kind:     hidden_global_offset_z
      - .offset:         168
        .size:           2
        .value_kind:     hidden_grid_dims
      - .offset:         224
        .size:           4
        .value_kind:     hidden_dynamic_lds_size
    .group_segment_fixed_size: 0
    .kernarg_segment_align: 8
    .kernarg_segment_size: 360
    .language:       OpenCL C
    .language_version:
      - 2
      - 0
    .max_flat_workgroup_size: 1024
    .name:           _ZL40rocblas_trsm_block_backward_substitutionIffPKPKfPKPfLb0ELb1ELb0EEv18rocblas_operation_llT0_T1_lllT2_lllib
    .private_segment_fixed_size: 0
    .sgpr_count:     48
    .sgpr_spill_count: 0
    .symbol:         _ZL40rocblas_trsm_block_backward_substitutionIffPKPKfPKPfLb0ELb1ELb0EEv18rocblas_operation_llT0_T1_lllT2_lllib.kd
    .uniform_work_group_size: 1
    .uses_dynamic_stack: false
    .vgpr_count:     26
    .vgpr_spill_count: 0
    .wavefront_size: 32
    .workgroup_processor_mode: 1
  - .args:
      - .offset:         0
        .size:           4
        .value_kind:     by_value
      - .offset:         8
        .size:           8
        .value_kind:     by_value
      - .offset:         16
        .size:           8
        .value_kind:     by_value
      - .offset:         24
        .size:           4
        .value_kind:     by_value
      - .address_space:  global
        .offset:         32
        .size:           8
        .value_kind:     global_buffer
      - .offset:         40
        .size:           8
        .value_kind:     by_value
      - .offset:         48
        .size:           8
        .value_kind:     by_value
      - .offset:         56
        .size:           8
        .value_kind:     by_value
      - .address_space:  global
        .offset:         64
        .size:           8
        .value_kind:     global_buffer
      - .offset:         72
        .size:           8
        .value_kind:     by_value
      - .offset:         80
        .size:           8
        .value_kind:     by_value
      - .offset:         88
        .size:           8
        .value_kind:     by_value
      - .offset:         96
        .size:           4
        .value_kind:     by_value
      - .offset:         100
        .size:           1
        .value_kind:     by_value
      - .offset:         104
        .size:           4
        .value_kind:     hidden_block_count_x
      - .offset:         108
        .size:           4
        .value_kind:     hidden_block_count_y
      - .offset:         112
        .size:           4
        .value_kind:     hidden_block_count_z
      - .offset:         116
        .size:           2
        .value_kind:     hidden_group_size_x
      - .offset:         118
        .size:           2
        .value_kind:     hidden_group_size_y
      - .offset:         120
        .size:           2
        .value_kind:     hidden_group_size_z
      - .offset:         122
        .size:           2
        .value_kind:     hidden_remainder_x
      - .offset:         124
        .size:           2
        .value_kind:     hidden_remainder_y
      - .offset:         126
        .size:           2
        .value_kind:     hidden_remainder_z
      - .offset:         144
        .size:           8
        .value_kind:     hidden_global_offset_x
      - .offset:         152
        .size:           8
        .value_kind:     hidden_global_offset_y
      - .offset:         160
        .size:           8
        .value_kind:     hidden_global_offset_z
      - .offset:         168
        .size:           2
        .value_kind:     hidden_grid_dims
      - .offset:         224
        .size:           4
        .value_kind:     hidden_dynamic_lds_size
    .group_segment_fixed_size: 0
    .kernarg_segment_align: 8
    .kernarg_segment_size: 360
    .language:       OpenCL C
    .language_version:
      - 2
      - 0
    .max_flat_workgroup_size: 1024
    .name:           _ZL39rocblas_trsm_block_forward_substitutionIffPKPKfPKPfLb0ELb1ELb1EEv18rocblas_operation_llT0_T1_lllT2_lllib
    .private_segment_fixed_size: 0
    .sgpr_count:     37
    .sgpr_spill_count: 0
    .symbol:         _ZL39rocblas_trsm_block_forward_substitutionIffPKPKfPKPfLb0ELb1ELb1EEv18rocblas_operation_llT0_T1_lllT2_lllib.kd
    .uniform_work_group_size: 1
    .uses_dynamic_stack: false
    .vgpr_count:     19
    .vgpr_spill_count: 0
    .wavefront_size: 32
    .workgroup_processor_mode: 1
  - .args:
      - .offset:         0
        .size:           4
        .value_kind:     by_value
      - .offset:         8
        .size:           8
        .value_kind:     by_value
      - .offset:         16
        .size:           8
        .value_kind:     by_value
      - .offset:         24
        .size:           4
        .value_kind:     by_value
      - .address_space:  global
        .offset:         32
        .size:           8
        .value_kind:     global_buffer
      - .offset:         40
        .size:           8
        .value_kind:     by_value
      - .offset:         48
        .size:           8
        .value_kind:     by_value
      - .offset:         56
        .size:           8
        .value_kind:     by_value
      - .address_space:  global
        .offset:         64
        .size:           8
        .value_kind:     global_buffer
      - .offset:         72
        .size:           8
        .value_kind:     by_value
      - .offset:         80
        .size:           8
        .value_kind:     by_value
      - .offset:         88
        .size:           8
        .value_kind:     by_value
      - .offset:         96
        .size:           4
        .value_kind:     by_value
      - .offset:         100
        .size:           1
        .value_kind:     by_value
      - .offset:         104
        .size:           4
        .value_kind:     hidden_block_count_x
      - .offset:         108
        .size:           4
        .value_kind:     hidden_block_count_y
      - .offset:         112
        .size:           4
        .value_kind:     hidden_block_count_z
      - .offset:         116
        .size:           2
        .value_kind:     hidden_group_size_x
      - .offset:         118
        .size:           2
        .value_kind:     hidden_group_size_y
      - .offset:         120
        .size:           2
        .value_kind:     hidden_group_size_z
      - .offset:         122
        .size:           2
        .value_kind:     hidden_remainder_x
      - .offset:         124
        .size:           2
        .value_kind:     hidden_remainder_y
      - .offset:         126
        .size:           2
        .value_kind:     hidden_remainder_z
      - .offset:         144
        .size:           8
        .value_kind:     hidden_global_offset_x
      - .offset:         152
        .size:           8
        .value_kind:     hidden_global_offset_y
      - .offset:         160
        .size:           8
        .value_kind:     hidden_global_offset_z
      - .offset:         168
        .size:           2
        .value_kind:     hidden_grid_dims
      - .offset:         224
        .size:           4
        .value_kind:     hidden_dynamic_lds_size
    .group_segment_fixed_size: 0
    .kernarg_segment_align: 8
    .kernarg_segment_size: 360
    .language:       OpenCL C
    .language_version:
      - 2
      - 0
    .max_flat_workgroup_size: 1024
    .name:           _ZL40rocblas_trsm_block_backward_substitutionIffPKPKfPKPfLb0ELb1ELb1EEv18rocblas_operation_llT0_T1_lllT2_lllib
    .private_segment_fixed_size: 0
    .sgpr_count:     40
    .sgpr_spill_count: 0
    .symbol:         _ZL40rocblas_trsm_block_backward_substitutionIffPKPKfPKPfLb0ELb1ELb1EEv18rocblas_operation_llT0_T1_lllT2_lllib.kd
    .uniform_work_group_size: 1
    .uses_dynamic_stack: false
    .vgpr_count:     19
    .vgpr_spill_count: 0
    .wavefront_size: 32
    .workgroup_processor_mode: 1
  - .args:
      - .offset:         0
        .size:           4
        .value_kind:     by_value
      - .offset:         8
        .size:           8
        .value_kind:     by_value
      - .offset:         16
        .size:           8
        .value_kind:     by_value
      - .offset:         24
        .size:           4
        .value_kind:     by_value
      - .address_space:  global
        .offset:         32
        .size:           8
        .value_kind:     global_buffer
      - .offset:         40
        .size:           8
        .value_kind:     by_value
      - .offset:         48
        .size:           8
        .value_kind:     by_value
      - .offset:         56
        .size:           8
        .value_kind:     by_value
      - .address_space:  global
        .offset:         64
        .size:           8
        .value_kind:     global_buffer
      - .offset:         72
        .size:           8
        .value_kind:     by_value
      - .offset:         80
        .size:           8
        .value_kind:     by_value
      - .offset:         88
        .size:           8
        .value_kind:     by_value
      - .offset:         96
        .size:           4
        .value_kind:     by_value
      - .offset:         100
        .size:           1
        .value_kind:     by_value
      - .offset:         104
        .size:           4
        .value_kind:     hidden_block_count_x
      - .offset:         108
        .size:           4
        .value_kind:     hidden_block_count_y
      - .offset:         112
        .size:           4
        .value_kind:     hidden_block_count_z
      - .offset:         116
        .size:           2
        .value_kind:     hidden_group_size_x
      - .offset:         118
        .size:           2
        .value_kind:     hidden_group_size_y
      - .offset:         120
        .size:           2
        .value_kind:     hidden_group_size_z
      - .offset:         122
        .size:           2
        .value_kind:     hidden_remainder_x
      - .offset:         124
        .size:           2
        .value_kind:     hidden_remainder_y
      - .offset:         126
        .size:           2
        .value_kind:     hidden_remainder_z
      - .offset:         144
        .size:           8
        .value_kind:     hidden_global_offset_x
      - .offset:         152
        .size:           8
        .value_kind:     hidden_global_offset_y
      - .offset:         160
        .size:           8
        .value_kind:     hidden_global_offset_z
      - .offset:         168
        .size:           2
        .value_kind:     hidden_grid_dims
      - .offset:         224
        .size:           4
        .value_kind:     hidden_dynamic_lds_size
    .group_segment_fixed_size: 0
    .kernarg_segment_align: 8
    .kernarg_segment_size: 360
    .language:       OpenCL C
    .language_version:
      - 2
      - 0
    .max_flat_workgroup_size: 1024
    .name:           _ZL39rocblas_trsm_block_forward_substitutionIffPKPKfPKPfLb1ELb1ELb0EEv18rocblas_operation_llT0_T1_lllT2_lllib
    .private_segment_fixed_size: 0
    .sgpr_count:     40
    .sgpr_spill_count: 0
    .symbol:         _ZL39rocblas_trsm_block_forward_substitutionIffPKPKfPKPfLb1ELb1ELb0EEv18rocblas_operation_llT0_T1_lllT2_lllib.kd
    .uniform_work_group_size: 1
    .uses_dynamic_stack: false
    .vgpr_count:     24
    .vgpr_spill_count: 0
    .wavefront_size: 32
    .workgroup_processor_mode: 1
  - .args:
      - .offset:         0
        .size:           4
        .value_kind:     by_value
      - .offset:         8
        .size:           8
        .value_kind:     by_value
      - .offset:         16
        .size:           8
        .value_kind:     by_value
      - .offset:         24
        .size:           4
        .value_kind:     by_value
      - .address_space:  global
        .offset:         32
        .size:           8
        .value_kind:     global_buffer
      - .offset:         40
        .size:           8
        .value_kind:     by_value
      - .offset:         48
        .size:           8
        .value_kind:     by_value
      - .offset:         56
        .size:           8
        .value_kind:     by_value
      - .address_space:  global
        .offset:         64
        .size:           8
        .value_kind:     global_buffer
      - .offset:         72
        .size:           8
        .value_kind:     by_value
      - .offset:         80
        .size:           8
        .value_kind:     by_value
      - .offset:         88
        .size:           8
        .value_kind:     by_value
      - .offset:         96
        .size:           4
        .value_kind:     by_value
      - .offset:         100
        .size:           1
        .value_kind:     by_value
      - .offset:         104
        .size:           4
        .value_kind:     hidden_block_count_x
      - .offset:         108
        .size:           4
        .value_kind:     hidden_block_count_y
      - .offset:         112
        .size:           4
        .value_kind:     hidden_block_count_z
      - .offset:         116
        .size:           2
        .value_kind:     hidden_group_size_x
      - .offset:         118
        .size:           2
        .value_kind:     hidden_group_size_y
      - .offset:         120
        .size:           2
        .value_kind:     hidden_group_size_z
      - .offset:         122
        .size:           2
        .value_kind:     hidden_remainder_x
      - .offset:         124
        .size:           2
        .value_kind:     hidden_remainder_y
      - .offset:         126
        .size:           2
        .value_kind:     hidden_remainder_z
      - .offset:         144
        .size:           8
        .value_kind:     hidden_global_offset_x
      - .offset:         152
        .size:           8
        .value_kind:     hidden_global_offset_y
      - .offset:         160
        .size:           8
        .value_kind:     hidden_global_offset_z
      - .offset:         168
        .size:           2
        .value_kind:     hidden_grid_dims
      - .offset:         224
        .size:           4
        .value_kind:     hidden_dynamic_lds_size
    .group_segment_fixed_size: 0
    .kernarg_segment_align: 8
    .kernarg_segment_size: 360
    .language:       OpenCL C
    .language_version:
      - 2
      - 0
    .max_flat_workgroup_size: 1024
    .name:           _ZL40rocblas_trsm_block_backward_substitutionIffPKPKfPKPfLb1ELb1ELb0EEv18rocblas_operation_llT0_T1_lllT2_lllib
    .private_segment_fixed_size: 0
    .sgpr_count:     46
    .sgpr_spill_count: 0
    .symbol:         _ZL40rocblas_trsm_block_backward_substitutionIffPKPKfPKPfLb1ELb1ELb0EEv18rocblas_operation_llT0_T1_lllT2_lllib.kd
    .uniform_work_group_size: 1
    .uses_dynamic_stack: false
    .vgpr_count:     26
    .vgpr_spill_count: 0
    .wavefront_size: 32
    .workgroup_processor_mode: 1
  - .args:
      - .offset:         0
        .size:           4
        .value_kind:     by_value
      - .offset:         8
        .size:           8
        .value_kind:     by_value
      - .offset:         16
        .size:           8
        .value_kind:     by_value
      - .offset:         24
        .size:           4
        .value_kind:     by_value
      - .address_space:  global
        .offset:         32
        .size:           8
        .value_kind:     global_buffer
      - .offset:         40
        .size:           8
        .value_kind:     by_value
      - .offset:         48
        .size:           8
        .value_kind:     by_value
      - .offset:         56
        .size:           8
        .value_kind:     by_value
      - .address_space:  global
        .offset:         64
        .size:           8
        .value_kind:     global_buffer
      - .offset:         72
        .size:           8
        .value_kind:     by_value
      - .offset:         80
        .size:           8
        .value_kind:     by_value
      - .offset:         88
        .size:           8
        .value_kind:     by_value
      - .offset:         96
        .size:           4
        .value_kind:     by_value
      - .offset:         100
        .size:           1
        .value_kind:     by_value
      - .offset:         104
        .size:           4
        .value_kind:     hidden_block_count_x
      - .offset:         108
        .size:           4
        .value_kind:     hidden_block_count_y
      - .offset:         112
        .size:           4
        .value_kind:     hidden_block_count_z
      - .offset:         116
        .size:           2
        .value_kind:     hidden_group_size_x
      - .offset:         118
        .size:           2
        .value_kind:     hidden_group_size_y
      - .offset:         120
        .size:           2
        .value_kind:     hidden_group_size_z
      - .offset:         122
        .size:           2
        .value_kind:     hidden_remainder_x
      - .offset:         124
        .size:           2
        .value_kind:     hidden_remainder_y
      - .offset:         126
        .size:           2
        .value_kind:     hidden_remainder_z
      - .offset:         144
        .size:           8
        .value_kind:     hidden_global_offset_x
      - .offset:         152
        .size:           8
        .value_kind:     hidden_global_offset_y
      - .offset:         160
        .size:           8
        .value_kind:     hidden_global_offset_z
      - .offset:         168
        .size:           2
        .value_kind:     hidden_grid_dims
      - .offset:         224
        .size:           4
        .value_kind:     hidden_dynamic_lds_size
    .group_segment_fixed_size: 0
    .kernarg_segment_align: 8
    .kernarg_segment_size: 360
    .language:       OpenCL C
    .language_version:
      - 2
      - 0
    .max_flat_workgroup_size: 1024
    .name:           _ZL39rocblas_trsm_block_forward_substitutionIffPKPKfPKPfLb1ELb1ELb1EEv18rocblas_operation_llT0_T1_lllT2_lllib
    .private_segment_fixed_size: 0
    .sgpr_count:     39
    .sgpr_spill_count: 0
    .symbol:         _ZL39rocblas_trsm_block_forward_substitutionIffPKPKfPKPfLb1ELb1ELb1EEv18rocblas_operation_llT0_T1_lllT2_lllib.kd
    .uniform_work_group_size: 1
    .uses_dynamic_stack: false
    .vgpr_count:     18
    .vgpr_spill_count: 0
    .wavefront_size: 32
    .workgroup_processor_mode: 1
  - .args:
      - .offset:         0
        .size:           4
        .value_kind:     by_value
      - .offset:         8
        .size:           8
        .value_kind:     by_value
      - .offset:         16
        .size:           8
        .value_kind:     by_value
      - .offset:         24
        .size:           4
        .value_kind:     by_value
      - .address_space:  global
        .offset:         32
        .size:           8
        .value_kind:     global_buffer
      - .offset:         40
        .size:           8
        .value_kind:     by_value
      - .offset:         48
        .size:           8
        .value_kind:     by_value
      - .offset:         56
        .size:           8
        .value_kind:     by_value
      - .address_space:  global
        .offset:         64
        .size:           8
        .value_kind:     global_buffer
      - .offset:         72
        .size:           8
        .value_kind:     by_value
      - .offset:         80
        .size:           8
        .value_kind:     by_value
      - .offset:         88
        .size:           8
        .value_kind:     by_value
      - .offset:         96
        .size:           4
        .value_kind:     by_value
      - .offset:         100
        .size:           1
        .value_kind:     by_value
      - .offset:         104
        .size:           4
        .value_kind:     hidden_block_count_x
      - .offset:         108
        .size:           4
        .value_kind:     hidden_block_count_y
      - .offset:         112
        .size:           4
        .value_kind:     hidden_block_count_z
      - .offset:         116
        .size:           2
        .value_kind:     hidden_group_size_x
      - .offset:         118
        .size:           2
        .value_kind:     hidden_group_size_y
      - .offset:         120
        .size:           2
        .value_kind:     hidden_group_size_z
      - .offset:         122
        .size:           2
        .value_kind:     hidden_remainder_x
      - .offset:         124
        .size:           2
        .value_kind:     hidden_remainder_y
      - .offset:         126
        .size:           2
        .value_kind:     hidden_remainder_z
      - .offset:         144
        .size:           8
        .value_kind:     hidden_global_offset_x
      - .offset:         152
        .size:           8
        .value_kind:     hidden_global_offset_y
      - .offset:         160
        .size:           8
        .value_kind:     hidden_global_offset_z
      - .offset:         168
        .size:           2
        .value_kind:     hidden_grid_dims
      - .offset:         224
        .size:           4
        .value_kind:     hidden_dynamic_lds_size
    .group_segment_fixed_size: 0
    .kernarg_segment_align: 8
    .kernarg_segment_size: 360
    .language:       OpenCL C
    .language_version:
      - 2
      - 0
    .max_flat_workgroup_size: 1024
    .name:           _ZL40rocblas_trsm_block_backward_substitutionIffPKPKfPKPfLb1ELb1ELb1EEv18rocblas_operation_llT0_T1_lllT2_lllib
    .private_segment_fixed_size: 0
    .sgpr_count:     40
    .sgpr_spill_count: 0
    .symbol:         _ZL40rocblas_trsm_block_backward_substitutionIffPKPKfPKPfLb1ELb1ELb1EEv18rocblas_operation_llT0_T1_lllT2_lllib.kd
    .uniform_work_group_size: 1
    .uses_dynamic_stack: false
    .vgpr_count:     18
    .vgpr_spill_count: 0
    .wavefront_size: 32
    .workgroup_processor_mode: 1
  - .args:
      - .offset:         0
        .size:           4
        .value_kind:     by_value
      - .offset:         8
        .size:           8
        .value_kind:     by_value
      - .offset:         16
        .size:           8
        .value_kind:     by_value
      - .offset:         24
        .size:           4
        .value_kind:     by_value
      - .address_space:  global
        .offset:         32
        .size:           8
        .value_kind:     global_buffer
      - .offset:         40
        .size:           8
        .value_kind:     by_value
      - .offset:         48
        .size:           8
        .value_kind:     by_value
      - .offset:         56
        .size:           8
        .value_kind:     by_value
      - .address_space:  global
        .offset:         64
        .size:           8
        .value_kind:     global_buffer
      - .offset:         72
        .size:           8
        .value_kind:     by_value
      - .offset:         80
        .size:           8
        .value_kind:     by_value
      - .offset:         88
        .size:           8
        .value_kind:     by_value
      - .offset:         96
        .size:           4
        .value_kind:     by_value
      - .offset:         100
        .size:           1
        .value_kind:     by_value
      - .offset:         104
        .size:           4
        .value_kind:     hidden_block_count_x
      - .offset:         108
        .size:           4
        .value_kind:     hidden_block_count_y
      - .offset:         112
        .size:           4
        .value_kind:     hidden_block_count_z
      - .offset:         116
        .size:           2
        .value_kind:     hidden_group_size_x
      - .offset:         118
        .size:           2
        .value_kind:     hidden_group_size_y
      - .offset:         120
        .size:           2
        .value_kind:     hidden_group_size_z
      - .offset:         122
        .size:           2
        .value_kind:     hidden_remainder_x
      - .offset:         124
        .size:           2
        .value_kind:     hidden_remainder_y
      - .offset:         126
        .size:           2
        .value_kind:     hidden_remainder_z
      - .offset:         144
        .size:           8
        .value_kind:     hidden_global_offset_x
      - .offset:         152
        .size:           8
        .value_kind:     hidden_global_offset_y
      - .offset:         160
        .size:           8
        .value_kind:     hidden_global_offset_z
      - .offset:         168
        .size:           2
        .value_kind:     hidden_grid_dims
      - .offset:         224
        .size:           4
        .value_kind:     hidden_dynamic_lds_size
    .group_segment_fixed_size: 0
    .kernarg_segment_align: 8
    .kernarg_segment_size: 360
    .language:       OpenCL C
    .language_version:
      - 2
      - 0
    .max_flat_workgroup_size: 1024
    .name:           _ZL39rocblas_trsm_block_forward_substitutionIffPKPKfPKPfLb1ELb0ELb0EEv18rocblas_operation_llT0_T1_lllT2_lllib
    .private_segment_fixed_size: 0
    .sgpr_count:     40
    .sgpr_spill_count: 0
    .symbol:         _ZL39rocblas_trsm_block_forward_substitutionIffPKPKfPKPfLb1ELb0ELb0EEv18rocblas_operation_llT0_T1_lllT2_lllib.kd
    .uniform_work_group_size: 1
    .uses_dynamic_stack: false
    .vgpr_count:     23
    .vgpr_spill_count: 0
    .wavefront_size: 32
    .workgroup_processor_mode: 1
  - .args:
      - .offset:         0
        .size:           4
        .value_kind:     by_value
      - .offset:         8
        .size:           8
        .value_kind:     by_value
      - .offset:         16
        .size:           8
        .value_kind:     by_value
      - .offset:         24
        .size:           4
        .value_kind:     by_value
      - .address_space:  global
        .offset:         32
        .size:           8
        .value_kind:     global_buffer
      - .offset:         40
        .size:           8
        .value_kind:     by_value
      - .offset:         48
        .size:           8
        .value_kind:     by_value
      - .offset:         56
        .size:           8
        .value_kind:     by_value
      - .address_space:  global
        .offset:         64
        .size:           8
        .value_kind:     global_buffer
      - .offset:         72
        .size:           8
        .value_kind:     by_value
      - .offset:         80
        .size:           8
        .value_kind:     by_value
      - .offset:         88
        .size:           8
        .value_kind:     by_value
      - .offset:         96
        .size:           4
        .value_kind:     by_value
      - .offset:         100
        .size:           1
        .value_kind:     by_value
      - .offset:         104
        .size:           4
        .value_kind:     hidden_block_count_x
      - .offset:         108
        .size:           4
        .value_kind:     hidden_block_count_y
      - .offset:         112
        .size:           4
        .value_kind:     hidden_block_count_z
      - .offset:         116
        .size:           2
        .value_kind:     hidden_group_size_x
      - .offset:         118
        .size:           2
        .value_kind:     hidden_group_size_y
      - .offset:         120
        .size:           2
        .value_kind:     hidden_group_size_z
      - .offset:         122
        .size:           2
        .value_kind:     hidden_remainder_x
      - .offset:         124
        .size:           2
        .value_kind:     hidden_remainder_y
      - .offset:         126
        .size:           2
        .value_kind:     hidden_remainder_z
      - .offset:         144
        .size:           8
        .value_kind:     hidden_global_offset_x
      - .offset:         152
        .size:           8
        .value_kind:     hidden_global_offset_y
      - .offset:         160
        .size:           8
        .value_kind:     hidden_global_offset_z
      - .offset:         168
        .size:           2
        .value_kind:     hidden_grid_dims
      - .offset:         224
        .size:           4
        .value_kind:     hidden_dynamic_lds_size
    .group_segment_fixed_size: 0
    .kernarg_segment_align: 8
    .kernarg_segment_size: 360
    .language:       OpenCL C
    .language_version:
      - 2
      - 0
    .max_flat_workgroup_size: 1024
    .name:           _ZL40rocblas_trsm_block_backward_substitutionIffPKPKfPKPfLb1ELb0ELb0EEv18rocblas_operation_llT0_T1_lllT2_lllib
    .private_segment_fixed_size: 0
    .sgpr_count:     46
    .sgpr_spill_count: 0
    .symbol:         _ZL40rocblas_trsm_block_backward_substitutionIffPKPKfPKPfLb1ELb0ELb0EEv18rocblas_operation_llT0_T1_lllT2_lllib.kd
    .uniform_work_group_size: 1
    .uses_dynamic_stack: false
    .vgpr_count:     28
    .vgpr_spill_count: 0
    .wavefront_size: 32
    .workgroup_processor_mode: 1
  - .args:
      - .offset:         0
        .size:           4
        .value_kind:     by_value
      - .offset:         8
        .size:           8
        .value_kind:     by_value
      - .offset:         16
        .size:           8
        .value_kind:     by_value
      - .offset:         24
        .size:           4
        .value_kind:     by_value
      - .address_space:  global
        .offset:         32
        .size:           8
        .value_kind:     global_buffer
      - .offset:         40
        .size:           8
        .value_kind:     by_value
      - .offset:         48
        .size:           8
        .value_kind:     by_value
      - .offset:         56
        .size:           8
        .value_kind:     by_value
      - .address_space:  global
        .offset:         64
        .size:           8
        .value_kind:     global_buffer
      - .offset:         72
        .size:           8
        .value_kind:     by_value
      - .offset:         80
        .size:           8
        .value_kind:     by_value
      - .offset:         88
        .size:           8
        .value_kind:     by_value
      - .offset:         96
        .size:           4
        .value_kind:     by_value
      - .offset:         100
        .size:           1
        .value_kind:     by_value
      - .offset:         104
        .size:           4
        .value_kind:     hidden_block_count_x
      - .offset:         108
        .size:           4
        .value_kind:     hidden_block_count_y
      - .offset:         112
        .size:           4
        .value_kind:     hidden_block_count_z
      - .offset:         116
        .size:           2
        .value_kind:     hidden_group_size_x
      - .offset:         118
        .size:           2
        .value_kind:     hidden_group_size_y
      - .offset:         120
        .size:           2
        .value_kind:     hidden_group_size_z
      - .offset:         122
        .size:           2
        .value_kind:     hidden_remainder_x
      - .offset:         124
        .size:           2
        .value_kind:     hidden_remainder_y
      - .offset:         126
        .size:           2
        .value_kind:     hidden_remainder_z
      - .offset:         144
        .size:           8
        .value_kind:     hidden_global_offset_x
      - .offset:         152
        .size:           8
        .value_kind:     hidden_global_offset_y
      - .offset:         160
        .size:           8
        .value_kind:     hidden_global_offset_z
      - .offset:         168
        .size:           2
        .value_kind:     hidden_grid_dims
      - .offset:         224
        .size:           4
        .value_kind:     hidden_dynamic_lds_size
    .group_segment_fixed_size: 0
    .kernarg_segment_align: 8
    .kernarg_segment_size: 360
    .language:       OpenCL C
    .language_version:
      - 2
      - 0
    .max_flat_workgroup_size: 1024
    .name:           _ZL39rocblas_trsm_block_forward_substitutionIffPKPKfPKPfLb1ELb0ELb1EEv18rocblas_operation_llT0_T1_lllT2_lllib
    .private_segment_fixed_size: 0
    .sgpr_count:     39
    .sgpr_spill_count: 0
    .symbol:         _ZL39rocblas_trsm_block_forward_substitutionIffPKPKfPKPfLb1ELb0ELb1EEv18rocblas_operation_llT0_T1_lllT2_lllib.kd
    .uniform_work_group_size: 1
    .uses_dynamic_stack: false
    .vgpr_count:     17
    .vgpr_spill_count: 0
    .wavefront_size: 32
    .workgroup_processor_mode: 1
  - .args:
      - .offset:         0
        .size:           4
        .value_kind:     by_value
      - .offset:         8
        .size:           8
        .value_kind:     by_value
      - .offset:         16
        .size:           8
        .value_kind:     by_value
      - .offset:         24
        .size:           4
        .value_kind:     by_value
      - .address_space:  global
        .offset:         32
        .size:           8
        .value_kind:     global_buffer
      - .offset:         40
        .size:           8
        .value_kind:     by_value
      - .offset:         48
        .size:           8
        .value_kind:     by_value
      - .offset:         56
        .size:           8
        .value_kind:     by_value
      - .address_space:  global
        .offset:         64
        .size:           8
        .value_kind:     global_buffer
      - .offset:         72
        .size:           8
        .value_kind:     by_value
      - .offset:         80
        .size:           8
        .value_kind:     by_value
      - .offset:         88
        .size:           8
        .value_kind:     by_value
      - .offset:         96
        .size:           4
        .value_kind:     by_value
      - .offset:         100
        .size:           1
        .value_kind:     by_value
      - .offset:         104
        .size:           4
        .value_kind:     hidden_block_count_x
      - .offset:         108
        .size:           4
        .value_kind:     hidden_block_count_y
      - .offset:         112
        .size:           4
        .value_kind:     hidden_block_count_z
      - .offset:         116
        .size:           2
        .value_kind:     hidden_group_size_x
      - .offset:         118
        .size:           2
        .value_kind:     hidden_group_size_y
      - .offset:         120
        .size:           2
        .value_kind:     hidden_group_size_z
      - .offset:         122
        .size:           2
        .value_kind:     hidden_remainder_x
      - .offset:         124
        .size:           2
        .value_kind:     hidden_remainder_y
      - .offset:         126
        .size:           2
        .value_kind:     hidden_remainder_z
      - .offset:         144
        .size:           8
        .value_kind:     hidden_global_offset_x
      - .offset:         152
        .size:           8
        .value_kind:     hidden_global_offset_y
      - .offset:         160
        .size:           8
        .value_kind:     hidden_global_offset_z
      - .offset:         168
        .size:           2
        .value_kind:     hidden_grid_dims
      - .offset:         224
        .size:           4
        .value_kind:     hidden_dynamic_lds_size
    .group_segment_fixed_size: 0
    .kernarg_segment_align: 8
    .kernarg_segment_size: 360
    .language:       OpenCL C
    .language_version:
      - 2
      - 0
    .max_flat_workgroup_size: 1024
    .name:           _ZL40rocblas_trsm_block_backward_substitutionIffPKPKfPKPfLb1ELb0ELb1EEv18rocblas_operation_llT0_T1_lllT2_lllib
    .private_segment_fixed_size: 0
    .sgpr_count:     40
    .sgpr_spill_count: 0
    .symbol:         _ZL40rocblas_trsm_block_backward_substitutionIffPKPKfPKPfLb1ELb0ELb1EEv18rocblas_operation_llT0_T1_lllT2_lllib.kd
    .uniform_work_group_size: 1
    .uses_dynamic_stack: false
    .vgpr_count:     20
    .vgpr_spill_count: 0
    .wavefront_size: 32
    .workgroup_processor_mode: 1
  - .args:
      - .address_space:  global
        .offset:         0
        .size:           8
        .value_kind:     global_buffer
      - .offset:         8
        .size:           8
        .value_kind:     by_value
      - .address_space:  global
        .offset:         16
        .size:           8
        .value_kind:     global_buffer
    .group_segment_fixed_size: 0
    .kernarg_segment_align: 8
    .kernarg_segment_size: 24
    .language:       OpenCL C
    .language_version:
      - 2
      - 0
    .max_flat_workgroup_size: 128
    .name:           _ZL26setup_batched_array_kernelILi128EfEvPT0_lPS1_
    .private_segment_fixed_size: 0
    .sgpr_count:     8
    .sgpr_spill_count: 0
    .symbol:         _ZL26setup_batched_array_kernelILi128EfEvPT0_lPS1_.kd
    .uniform_work_group_size: 1
    .uses_dynamic_stack: false
    .vgpr_count:     3
    .vgpr_spill_count: 0
    .wavefront_size: 32
    .workgroup_processor_mode: 1
  - .args:
      - .offset:         0
        .size:           4
        .value_kind:     by_value
      - .offset:         4
        .size:           4
        .value_kind:     by_value
      - .address_space:  global
        .offset:         8
        .size:           8
        .value_kind:     global_buffer
      - .offset:         16
        .size:           8
        .value_kind:     by_value
      - .offset:         24
        .size:           4
        .value_kind:     by_value
      - .offset:         32
        .size:           8
        .value_kind:     by_value
      - .address_space:  global
        .offset:         40
        .size:           8
        .value_kind:     global_buffer
      - .offset:         48
        .size:           8
        .value_kind:     by_value
      - .offset:         56
        .size:           8
        .value_kind:     by_value
      - .offset:         64
        .size:           4
        .value_kind:     by_value
    .group_segment_fixed_size: 4096
    .kernarg_segment_align: 8
    .kernarg_segment_size: 68
    .language:       OpenCL C
    .language_version:
      - 2
      - 0
    .max_flat_workgroup_size: 256
    .name:           _ZL25rocblas_trtri_trsm_kernelILi128ELi16ELi8EfPKPKfPKPfEv13rocblas_fill_17rocblas_diagonal_T3_lilT4_lli
    .private_segment_fixed_size: 0
    .sgpr_count:     100
    .sgpr_spill_count: 0
    .symbol:         _ZL25rocblas_trtri_trsm_kernelILi128ELi16ELi8EfPKPKfPKPfEv13rocblas_fill_17rocblas_diagonal_T3_lilT4_lli.kd
    .uniform_work_group_size: 1
    .uses_dynamic_stack: false
    .vgpr_count:     60
    .vgpr_spill_count: 0
    .wavefront_size: 32
    .workgroup_processor_mode: 1
  - .args:
      - .address_space:  global
        .offset:         0
        .size:           8
        .value_kind:     global_buffer
      - .offset:         8
        .size:           4
        .value_kind:     by_value
      - .offset:         12
        .size:           4
        .value_kind:     by_value
      - .offset:         16
        .size:           8
        .value_kind:     by_value
      - .offset:         24
        .size:           4
        .value_kind:     by_value
      - .offset:         32
        .size:           8
        .value_kind:     by_value
      - .address_space:  global
        .offset:         40
        .size:           8
        .value_kind:     global_buffer
      - .offset:         48
        .size:           8
        .value_kind:     by_value
      - .offset:         56
        .size:           8
        .value_kind:     by_value
      - .offset:         64
        .size:           4
        .value_kind:     by_value
      - .offset:         68
        .size:           4
        .value_kind:     by_value
      - .offset:         72
        .size:           4
        .value_kind:     hidden_block_count_x
      - .offset:         76
        .size:           4
        .value_kind:     hidden_block_count_y
      - .offset:         80
        .size:           4
        .value_kind:     hidden_block_count_z
      - .offset:         84
        .size:           2
        .value_kind:     hidden_group_size_x
      - .offset:         86
        .size:           2
        .value_kind:     hidden_group_size_y
      - .offset:         88
        .size:           2
        .value_kind:     hidden_group_size_z
      - .offset:         90
        .size:           2
        .value_kind:     hidden_remainder_x
      - .offset:         92
        .size:           2
        .value_kind:     hidden_remainder_y
      - .offset:         94
        .size:           2
        .value_kind:     hidden_remainder_z
      - .offset:         112
        .size:           8
        .value_kind:     hidden_global_offset_x
      - .offset:         120
        .size:           8
        .value_kind:     hidden_global_offset_y
      - .offset:         128
        .size:           8
        .value_kind:     hidden_global_offset_z
      - .offset:         136
        .size:           2
        .value_kind:     hidden_grid_dims
    .group_segment_fixed_size: 0
    .kernarg_segment_align: 8
    .kernarg_segment_size: 328
    .language:       OpenCL C
    .language_version:
      - 2
      - 0
    .max_flat_workgroup_size: 128
    .name:           _ZL18rocblas_trtri_fillILi128EfPKPfEvP15_rocblas_handle13rocblas_fill_ililT1_llii
    .private_segment_fixed_size: 0
    .sgpr_count:     49
    .sgpr_spill_count: 0
    .symbol:         _ZL18rocblas_trtri_fillILi128EfPKPfEvP15_rocblas_handle13rocblas_fill_ililT1_llii.kd
    .uniform_work_group_size: 1
    .uses_dynamic_stack: false
    .vgpr_count:     26
    .vgpr_spill_count: 0
    .wavefront_size: 32
    .workgroup_processor_mode: 1
  - .args:
      - .offset:         0
        .size:           4
        .value_kind:     by_value
      - .offset:         4
        .size:           4
        .value_kind:     by_value
      - .offset:         8
        .size:           4
        .value_kind:     by_value
      - .address_space:  global
        .offset:         16
        .size:           8
        .value_kind:     global_buffer
      - .offset:         24
        .size:           4
        .value_kind:     by_value
      - .offset:         32
        .size:           8
        .value_kind:     by_value
      - .address_space:  global
        .offset:         40
        .size:           8
        .value_kind:     global_buffer
      - .offset:         48
        .size:           4
        .value_kind:     by_value
      - .offset:         56
        .size:           8
        .value_kind:     by_value
      - .offset:         64
        .size:           8
        .value_kind:     by_value
      - .offset:         72
        .size:           8
        .value_kind:     by_value
      - .offset:         80
        .size:           4
        .value_kind:     by_value
      - .offset:         88
        .size:           4
        .value_kind:     hidden_block_count_x
      - .offset:         92
        .size:           4
        .value_kind:     hidden_block_count_y
      - .offset:         96
        .size:           4
        .value_kind:     hidden_block_count_z
      - .offset:         100
        .size:           2
        .value_kind:     hidden_group_size_x
      - .offset:         102
        .size:           2
        .value_kind:     hidden_group_size_y
      - .offset:         104
        .size:           2
        .value_kind:     hidden_group_size_z
      - .offset:         106
        .size:           2
        .value_kind:     hidden_remainder_x
      - .offset:         108
        .size:           2
        .value_kind:     hidden_remainder_y
      - .offset:         110
        .size:           2
        .value_kind:     hidden_remainder_z
      - .offset:         128
        .size:           8
        .value_kind:     hidden_global_offset_x
      - .offset:         136
        .size:           8
        .value_kind:     hidden_global_offset_y
      - .offset:         144
        .size:           8
        .value_kind:     hidden_global_offset_z
      - .offset:         152
        .size:           2
        .value_kind:     hidden_grid_dims
    .group_segment_fixed_size: 0
    .kernarg_segment_align: 8
    .kernarg_segment_size: 344
    .language:       OpenCL C
    .language_version:
      - 2
      - 0
    .max_flat_workgroup_size: 1024
    .name:           _ZL24rocblas_copy_matrix_trsmILi128ELi8EfPKPKfPKPfEviiiT2_ilT3_illli
    .private_segment_fixed_size: 0
    .sgpr_count:     26
    .sgpr_spill_count: 0
    .symbol:         _ZL24rocblas_copy_matrix_trsmILi128ELi8EfPKPKfPKPfEviiiT2_ilT3_illli.kd
    .uniform_work_group_size: 1
    .uses_dynamic_stack: false
    .vgpr_count:     13
    .vgpr_spill_count: 0
    .wavefront_size: 32
    .workgroup_processor_mode: 1
  - .args:
      - .offset:         0
        .size:           8
        .value_kind:     by_value
      - .offset:         8
        .size:           8
        .value_kind:     by_value
      - .offset:         16
        .size:           4
        .value_kind:     by_value
      - .address_space:  global
        .offset:         24
        .size:           8
        .value_kind:     global_buffer
      - .offset:         32
        .size:           8
        .value_kind:     by_value
      - .offset:         40
        .size:           8
        .value_kind:     by_value
      - .offset:         48
        .size:           8
        .value_kind:     by_value
      - .offset:         56
        .size:           8
        .value_kind:     by_value
      - .offset:         64
        .size:           4
        .value_kind:     by_value
    .group_segment_fixed_size: 0
    .kernarg_segment_align: 8
    .kernarg_segment_size: 68
    .language:       OpenCL C
    .language_version:
      - 2
      - 0
    .max_flat_workgroup_size: 1024
    .name:           _ZL23rocblas_set_matrix_trsmILi128ELi8EdPKPdEvlliT2_llT1_li
    .private_segment_fixed_size: 0
    .sgpr_count:     18
    .sgpr_spill_count: 0
    .symbol:         _ZL23rocblas_set_matrix_trsmILi128ELi8EdPKPdEvlliT2_llT1_li.kd
    .uniform_work_group_size: 1
    .uses_dynamic_stack: false
    .vgpr_count:     8
    .vgpr_spill_count: 0
    .wavefront_size: 32
    .workgroup_processor_mode: 1
  - .args:
      - .offset:         0
        .size:           4
        .value_kind:     by_value
      - .offset:         4
        .size:           4
        .value_kind:     by_value
      - .offset:         8
        .size:           4
        .value_kind:     by_value
      - .offset:         12
        .size:           4
        .value_kind:     by_value
      - .offset:         16
        .size:           4
        .value_kind:     by_value
      - .offset:         24
        .size:           8
        .value_kind:     by_value
      - .address_space:  global
        .offset:         32
        .size:           8
        .value_kind:     global_buffer
      - .offset:         40
        .size:           8
        .value_kind:     by_value
      - .offset:         48
        .size:           4
        .value_kind:     by_value
      - .offset:         56
        .size:           8
        .value_kind:     by_value
      - .address_space:  global
        .offset:         64
        .size:           8
        .value_kind:     global_buffer
      - .offset:         72
        .size:           8
        .value_kind:     by_value
      - .offset:         80
        .size:           4
        .value_kind:     by_value
      - .offset:         88
        .size:           8
        .value_kind:     by_value
      - .offset:         96
        .size:           4
        .value_kind:     by_value
      - .offset:         104
        .size:           4
        .value_kind:     hidden_block_count_x
      - .offset:         108
        .size:           4
        .value_kind:     hidden_block_count_y
      - .offset:         112
        .size:           4
        .value_kind:     hidden_block_count_z
      - .offset:         116
        .size:           2
        .value_kind:     hidden_group_size_x
      - .offset:         118
        .size:           2
        .value_kind:     hidden_group_size_y
      - .offset:         120
        .size:           2
        .value_kind:     hidden_group_size_z
      - .offset:         122
        .size:           2
        .value_kind:     hidden_remainder_x
      - .offset:         124
        .size:           2
        .value_kind:     hidden_remainder_y
      - .offset:         126
        .size:           2
        .value_kind:     hidden_remainder_z
      - .offset:         144
        .size:           8
        .value_kind:     hidden_global_offset_x
      - .offset:         152
        .size:           8
        .value_kind:     hidden_global_offset_y
      - .offset:         160
        .size:           8
        .value_kind:     hidden_global_offset_z
      - .offset:         168
        .size:           2
        .value_kind:     hidden_grid_dims
    .group_segment_fixed_size: 256
    .kernarg_segment_align: 8
    .kernarg_segment_size: 360
    .language:       OpenCL C
    .language_version:
      - 2
      - 0
    .max_flat_workgroup_size: 4
    .name:           _ZL38rocblas_trsm_small_left_device_sharedBILi4ELi4ELb0EddPKPKdPKPdEv13rocblas_fill_18rocblas_operation_17rocblas_diagonal_iiT3_T4_lilT5_lili
    .private_segment_fixed_size: 0
    .sgpr_count:     48
    .sgpr_spill_count: 0
    .symbol:         _ZL38rocblas_trsm_small_left_device_sharedBILi4ELi4ELb0EddPKPKdPKPdEv13rocblas_fill_18rocblas_operation_17rocblas_diagonal_iiT3_T4_lilT5_lili.kd
    .uniform_work_group_size: 1
    .uses_dynamic_stack: false
    .vgpr_count:     33
    .vgpr_spill_count: 0
    .wavefront_size: 32
    .workgroup_processor_mode: 1
  - .args:
      - .offset:         0
        .size:           4
        .value_kind:     by_value
      - .offset:         4
        .size:           4
        .value_kind:     by_value
      - .offset:         8
        .size:           4
        .value_kind:     by_value
      - .offset:         12
        .size:           4
        .value_kind:     by_value
      - .offset:         16
        .size:           4
        .value_kind:     by_value
      - .offset:         24
        .size:           8
        .value_kind:     by_value
      - .address_space:  global
        .offset:         32
        .size:           8
        .value_kind:     global_buffer
      - .offset:         40
        .size:           8
        .value_kind:     by_value
      - .offset:         48
        .size:           4
        .value_kind:     by_value
      - .offset:         56
        .size:           8
        .value_kind:     by_value
      - .address_space:  global
        .offset:         64
        .size:           8
        .value_kind:     global_buffer
      - .offset:         72
        .size:           8
        .value_kind:     by_value
      - .offset:         80
        .size:           4
        .value_kind:     by_value
      - .offset:         88
        .size:           8
        .value_kind:     by_value
      - .offset:         96
        .size:           4
        .value_kind:     by_value
      - .offset:         104
        .size:           4
        .value_kind:     hidden_block_count_x
      - .offset:         108
        .size:           4
        .value_kind:     hidden_block_count_y
      - .offset:         112
        .size:           4
        .value_kind:     hidden_block_count_z
      - .offset:         116
        .size:           2
        .value_kind:     hidden_group_size_x
      - .offset:         118
        .size:           2
        .value_kind:     hidden_group_size_y
      - .offset:         120
        .size:           2
        .value_kind:     hidden_group_size_z
      - .offset:         122
        .size:           2
        .value_kind:     hidden_remainder_x
      - .offset:         124
        .size:           2
        .value_kind:     hidden_remainder_y
      - .offset:         126
        .size:           2
        .value_kind:     hidden_remainder_z
      - .offset:         144
        .size:           8
        .value_kind:     hidden_global_offset_x
      - .offset:         152
        .size:           8
        .value_kind:     hidden_global_offset_y
      - .offset:         160
        .size:           8
        .value_kind:     hidden_global_offset_z
      - .offset:         168
        .size:           2
        .value_kind:     hidden_grid_dims
    .group_segment_fixed_size: 128
    .kernarg_segment_align: 8
    .kernarg_segment_size: 360
    .language:       OpenCL C
    .language_version:
      - 2
      - 0
    .max_flat_workgroup_size: 4
    .name:           _ZL30rocblas_trsm_small_left_deviceILi4ELi4ELb0EddPKPKdPKPdEv13rocblas_fill_18rocblas_operation_17rocblas_diagonal_iiT3_T4_lilT5_lili
    .private_segment_fixed_size: 0
    .sgpr_count:     49
    .sgpr_spill_count: 0
    .symbol:         _ZL30rocblas_trsm_small_left_deviceILi4ELi4ELb0EddPKPKdPKPdEv13rocblas_fill_18rocblas_operation_17rocblas_diagonal_iiT3_T4_lilT5_lili.kd
    .uniform_work_group_size: 1
    .uses_dynamic_stack: false
    .vgpr_count:     39
    .vgpr_spill_count: 0
    .wavefront_size: 32
    .workgroup_processor_mode: 1
  - .args:
      - .offset:         0
        .size:           4
        .value_kind:     by_value
      - .offset:         4
        .size:           4
        .value_kind:     by_value
      - .offset:         8
        .size:           4
        .value_kind:     by_value
      - .offset:         12
        .size:           4
        .value_kind:     by_value
      - .offset:         16
        .size:           4
        .value_kind:     by_value
      - .offset:         24
        .size:           8
        .value_kind:     by_value
      - .address_space:  global
        .offset:         32
        .size:           8
        .value_kind:     global_buffer
      - .offset:         40
        .size:           8
        .value_kind:     by_value
      - .offset:         48
        .size:           4
        .value_kind:     by_value
      - .offset:         56
        .size:           8
        .value_kind:     by_value
      - .address_space:  global
        .offset:         64
        .size:           8
        .value_kind:     global_buffer
      - .offset:         72
        .size:           8
        .value_kind:     by_value
      - .offset:         80
        .size:           4
        .value_kind:     by_value
      - .offset:         88
        .size:           8
        .value_kind:     by_value
      - .offset:         96
        .size:           4
        .value_kind:     by_value
      - .offset:         104
        .size:           4
        .value_kind:     hidden_block_count_x
      - .offset:         108
        .size:           4
        .value_kind:     hidden_block_count_y
      - .offset:         112
        .size:           4
        .value_kind:     hidden_block_count_z
      - .offset:         116
        .size:           2
        .value_kind:     hidden_group_size_x
      - .offset:         118
        .size:           2
        .value_kind:     hidden_group_size_y
      - .offset:         120
        .size:           2
        .value_kind:     hidden_group_size_z
      - .offset:         122
        .size:           2
        .value_kind:     hidden_remainder_x
      - .offset:         124
        .size:           2
        .value_kind:     hidden_remainder_y
      - .offset:         126
        .size:           2
        .value_kind:     hidden_remainder_z
      - .offset:         144
        .size:           8
        .value_kind:     hidden_global_offset_x
      - .offset:         152
        .size:           8
        .value_kind:     hidden_global_offset_y
      - .offset:         160
        .size:           8
        .value_kind:     hidden_global_offset_z
      - .offset:         168
        .size:           2
        .value_kind:     hidden_grid_dims
    .group_segment_fixed_size: 256
    .kernarg_segment_align: 8
    .kernarg_segment_size: 360
    .language:       OpenCL C
    .language_version:
      - 2
      - 0
    .max_flat_workgroup_size: 4
    .name:           _ZL38rocblas_trsm_small_left_device_sharedBILi4ELi4ELb1EddPKPKdPKPdEv13rocblas_fill_18rocblas_operation_17rocblas_diagonal_iiT3_T4_lilT5_lili
    .private_segment_fixed_size: 0
    .sgpr_count:     48
    .sgpr_spill_count: 0
    .symbol:         _ZL38rocblas_trsm_small_left_device_sharedBILi4ELi4ELb1EddPKPKdPKPdEv13rocblas_fill_18rocblas_operation_17rocblas_diagonal_iiT3_T4_lilT5_lili.kd
    .uniform_work_group_size: 1
    .uses_dynamic_stack: false
    .vgpr_count:     33
    .vgpr_spill_count: 0
    .wavefront_size: 32
    .workgroup_processor_mode: 1
  - .args:
      - .offset:         0
        .size:           4
        .value_kind:     by_value
      - .offset:         4
        .size:           4
        .value_kind:     by_value
      - .offset:         8
        .size:           4
        .value_kind:     by_value
      - .offset:         12
        .size:           4
        .value_kind:     by_value
      - .offset:         16
        .size:           4
        .value_kind:     by_value
      - .offset:         24
        .size:           8
        .value_kind:     by_value
      - .address_space:  global
        .offset:         32
        .size:           8
        .value_kind:     global_buffer
      - .offset:         40
        .size:           8
        .value_kind:     by_value
      - .offset:         48
        .size:           4
        .value_kind:     by_value
      - .offset:         56
        .size:           8
        .value_kind:     by_value
      - .address_space:  global
        .offset:         64
        .size:           8
        .value_kind:     global_buffer
      - .offset:         72
        .size:           8
        .value_kind:     by_value
      - .offset:         80
        .size:           4
        .value_kind:     by_value
      - .offset:         88
        .size:           8
        .value_kind:     by_value
      - .offset:         96
        .size:           4
        .value_kind:     by_value
      - .offset:         104
        .size:           4
        .value_kind:     hidden_block_count_x
      - .offset:         108
        .size:           4
        .value_kind:     hidden_block_count_y
      - .offset:         112
        .size:           4
        .value_kind:     hidden_block_count_z
      - .offset:         116
        .size:           2
        .value_kind:     hidden_group_size_x
      - .offset:         118
        .size:           2
        .value_kind:     hidden_group_size_y
      - .offset:         120
        .size:           2
        .value_kind:     hidden_group_size_z
      - .offset:         122
        .size:           2
        .value_kind:     hidden_remainder_x
      - .offset:         124
        .size:           2
        .value_kind:     hidden_remainder_y
      - .offset:         126
        .size:           2
        .value_kind:     hidden_remainder_z
      - .offset:         144
        .size:           8
        .value_kind:     hidden_global_offset_x
      - .offset:         152
        .size:           8
        .value_kind:     hidden_global_offset_y
      - .offset:         160
        .size:           8
        .value_kind:     hidden_global_offset_z
      - .offset:         168
        .size:           2
        .value_kind:     hidden_grid_dims
    .group_segment_fixed_size: 128
    .kernarg_segment_align: 8
    .kernarg_segment_size: 360
    .language:       OpenCL C
    .language_version:
      - 2
      - 0
    .max_flat_workgroup_size: 4
    .name:           _ZL30rocblas_trsm_small_left_deviceILi4ELi4ELb1EddPKPKdPKPdEv13rocblas_fill_18rocblas_operation_17rocblas_diagonal_iiT3_T4_lilT5_lili
    .private_segment_fixed_size: 0
    .sgpr_count:     47
    .sgpr_spill_count: 0
    .symbol:         _ZL30rocblas_trsm_small_left_deviceILi4ELi4ELb1EddPKPKdPKPdEv13rocblas_fill_18rocblas_operation_17rocblas_diagonal_iiT3_T4_lilT5_lili.kd
    .uniform_work_group_size: 1
    .uses_dynamic_stack: false
    .vgpr_count:     37
    .vgpr_spill_count: 0
    .wavefront_size: 32
    .workgroup_processor_mode: 1
  - .args:
      - .offset:         0
        .size:           4
        .value_kind:     by_value
      - .offset:         4
        .size:           4
        .value_kind:     by_value
      - .offset:         8
        .size:           4
        .value_kind:     by_value
      - .offset:         12
        .size:           4
        .value_kind:     by_value
      - .offset:         16
        .size:           4
        .value_kind:     by_value
      - .offset:         24
        .size:           8
        .value_kind:     by_value
      - .address_space:  global
        .offset:         32
        .size:           8
        .value_kind:     global_buffer
      - .offset:         40
        .size:           8
        .value_kind:     by_value
      - .offset:         48
        .size:           4
        .value_kind:     by_value
      - .offset:         56
        .size:           8
        .value_kind:     by_value
      - .address_space:  global
        .offset:         64
        .size:           8
        .value_kind:     global_buffer
      - .offset:         72
        .size:           8
        .value_kind:     by_value
      - .offset:         80
        .size:           4
        .value_kind:     by_value
      - .offset:         88
        .size:           8
        .value_kind:     by_value
      - .offset:         96
        .size:           4
        .value_kind:     by_value
      - .offset:         104
        .size:           4
        .value_kind:     hidden_block_count_x
      - .offset:         108
        .size:           4
        .value_kind:     hidden_block_count_y
      - .offset:         112
        .size:           4
        .value_kind:     hidden_block_count_z
      - .offset:         116
        .size:           2
        .value_kind:     hidden_group_size_x
      - .offset:         118
        .size:           2
        .value_kind:     hidden_group_size_y
      - .offset:         120
        .size:           2
        .value_kind:     hidden_group_size_z
      - .offset:         122
        .size:           2
        .value_kind:     hidden_remainder_x
      - .offset:         124
        .size:           2
        .value_kind:     hidden_remainder_y
      - .offset:         126
        .size:           2
        .value_kind:     hidden_remainder_z
      - .offset:         144
        .size:           8
        .value_kind:     hidden_global_offset_x
      - .offset:         152
        .size:           8
        .value_kind:     hidden_global_offset_y
      - .offset:         160
        .size:           8
        .value_kind:     hidden_global_offset_z
      - .offset:         168
        .size:           2
        .value_kind:     hidden_grid_dims
    .group_segment_fixed_size: 256
    .kernarg_segment_align: 8
    .kernarg_segment_size: 360
    .language:       OpenCL C
    .language_version:
      - 2
      - 0
    .max_flat_workgroup_size: 4
    .name:           _ZL31rocblas_trsm_small_right_deviceIddPKPKdPKPdLi4EEv13rocblas_fill_18rocblas_operation_17rocblas_diagonal_iiT0_T1_lilT2_lili
    .private_segment_fixed_size: 0
    .sgpr_count:     57
    .sgpr_spill_count: 0
    .symbol:         _ZL31rocblas_trsm_small_right_deviceIddPKPKdPKPdLi4EEv13rocblas_fill_18rocblas_operation_17rocblas_diagonal_iiT0_T1_lilT2_lili.kd
    .uniform_work_group_size: 1
    .uses_dynamic_stack: false
    .vgpr_count:     40
    .vgpr_spill_count: 0
    .wavefront_size: 32
    .workgroup_processor_mode: 1
  - .args:
      - .offset:         0
        .size:           4
        .value_kind:     by_value
      - .offset:         4
        .size:           4
        .value_kind:     by_value
      - .offset:         8
        .size:           4
        .value_kind:     by_value
      - .offset:         12
        .size:           4
        .value_kind:     by_value
      - .offset:         16
        .size:           4
        .value_kind:     by_value
      - .offset:         24
        .size:           8
        .value_kind:     by_value
      - .address_space:  global
        .offset:         32
        .size:           8
        .value_kind:     global_buffer
      - .offset:         40
        .size:           8
        .value_kind:     by_value
      - .offset:         48
        .size:           4
        .value_kind:     by_value
      - .offset:         56
        .size:           8
        .value_kind:     by_value
      - .address_space:  global
        .offset:         64
        .size:           8
        .value_kind:     global_buffer
      - .offset:         72
        .size:           8
        .value_kind:     by_value
      - .offset:         80
        .size:           4
        .value_kind:     by_value
      - .offset:         88
        .size:           8
        .value_kind:     by_value
      - .offset:         96
        .size:           4
        .value_kind:     by_value
      - .offset:         104
        .size:           4
        .value_kind:     hidden_block_count_x
      - .offset:         108
        .size:           4
        .value_kind:     hidden_block_count_y
      - .offset:         112
        .size:           4
        .value_kind:     hidden_block_count_z
      - .offset:         116
        .size:           2
        .value_kind:     hidden_group_size_x
      - .offset:         118
        .size:           2
        .value_kind:     hidden_group_size_y
      - .offset:         120
        .size:           2
        .value_kind:     hidden_group_size_z
      - .offset:         122
        .size:           2
        .value_kind:     hidden_remainder_x
      - .offset:         124
        .size:           2
        .value_kind:     hidden_remainder_y
      - .offset:         126
        .size:           2
        .value_kind:     hidden_remainder_z
      - .offset:         144
        .size:           8
        .value_kind:     hidden_global_offset_x
      - .offset:         152
        .size:           8
        .value_kind:     hidden_global_offset_y
      - .offset:         160
        .size:           8
        .value_kind:     hidden_global_offset_z
      - .offset:         168
        .size:           2
        .value_kind:     hidden_grid_dims
    .group_segment_fixed_size: 1024
    .kernarg_segment_align: 8
    .kernarg_segment_size: 360
    .language:       OpenCL C
    .language_version:
      - 2
      - 0
    .max_flat_workgroup_size: 8
    .name:           _ZL38rocblas_trsm_small_left_device_sharedBILi8ELi8ELb0EddPKPKdPKPdEv13rocblas_fill_18rocblas_operation_17rocblas_diagonal_iiT3_T4_lilT5_lili
    .private_segment_fixed_size: 0
    .sgpr_count:     47
    .sgpr_spill_count: 0
    .symbol:         _ZL38rocblas_trsm_small_left_device_sharedBILi8ELi8ELb0EddPKPKdPKPdEv13rocblas_fill_18rocblas_operation_17rocblas_diagonal_iiT3_T4_lilT5_lili.kd
    .uniform_work_group_size: 1
    .uses_dynamic_stack: false
    .vgpr_count:     48
    .vgpr_spill_count: 0
    .wavefront_size: 32
    .workgroup_processor_mode: 1
  - .args:
      - .offset:         0
        .size:           4
        .value_kind:     by_value
      - .offset:         4
        .size:           4
        .value_kind:     by_value
      - .offset:         8
        .size:           4
        .value_kind:     by_value
      - .offset:         12
        .size:           4
        .value_kind:     by_value
      - .offset:         16
        .size:           4
        .value_kind:     by_value
      - .offset:         24
        .size:           8
        .value_kind:     by_value
      - .address_space:  global
        .offset:         32
        .size:           8
        .value_kind:     global_buffer
      - .offset:         40
        .size:           8
        .value_kind:     by_value
      - .offset:         48
        .size:           4
        .value_kind:     by_value
      - .offset:         56
        .size:           8
        .value_kind:     by_value
      - .address_space:  global
        .offset:         64
        .size:           8
        .value_kind:     global_buffer
      - .offset:         72
        .size:           8
        .value_kind:     by_value
      - .offset:         80
        .size:           4
        .value_kind:     by_value
      - .offset:         88
        .size:           8
        .value_kind:     by_value
      - .offset:         96
        .size:           4
        .value_kind:     by_value
      - .offset:         104
        .size:           4
        .value_kind:     hidden_block_count_x
      - .offset:         108
        .size:           4
        .value_kind:     hidden_block_count_y
      - .offset:         112
        .size:           4
        .value_kind:     hidden_block_count_z
      - .offset:         116
        .size:           2
        .value_kind:     hidden_group_size_x
      - .offset:         118
        .size:           2
        .value_kind:     hidden_group_size_y
      - .offset:         120
        .size:           2
        .value_kind:     hidden_group_size_z
      - .offset:         122
        .size:           2
        .value_kind:     hidden_remainder_x
      - .offset:         124
        .size:           2
        .value_kind:     hidden_remainder_y
      - .offset:         126
        .size:           2
        .value_kind:     hidden_remainder_z
      - .offset:         144
        .size:           8
        .value_kind:     hidden_global_offset_x
      - .offset:         152
        .size:           8
        .value_kind:     hidden_global_offset_y
      - .offset:         160
        .size:           8
        .value_kind:     hidden_global_offset_z
      - .offset:         168
        .size:           2
        .value_kind:     hidden_grid_dims
    .group_segment_fixed_size: 512
    .kernarg_segment_align: 8
    .kernarg_segment_size: 360
    .language:       OpenCL C
    .language_version:
      - 2
      - 0
    .max_flat_workgroup_size: 8
    .name:           _ZL30rocblas_trsm_small_left_deviceILi8ELi8ELb0EddPKPKdPKPdEv13rocblas_fill_18rocblas_operation_17rocblas_diagonal_iiT3_T4_lilT5_lili
    .private_segment_fixed_size: 0
    .sgpr_count:     47
    .sgpr_spill_count: 0
    .symbol:         _ZL30rocblas_trsm_small_left_deviceILi8ELi8ELb0EddPKPKdPKPdEv13rocblas_fill_18rocblas_operation_17rocblas_diagonal_iiT3_T4_lilT5_lili.kd
    .uniform_work_group_size: 1
    .uses_dynamic_stack: false
    .vgpr_count:     54
    .vgpr_spill_count: 0
    .wavefront_size: 32
    .workgroup_processor_mode: 1
  - .args:
      - .offset:         0
        .size:           4
        .value_kind:     by_value
      - .offset:         4
        .size:           4
        .value_kind:     by_value
      - .offset:         8
        .size:           4
        .value_kind:     by_value
      - .offset:         12
        .size:           4
        .value_kind:     by_value
      - .offset:         16
        .size:           4
        .value_kind:     by_value
      - .offset:         24
        .size:           8
        .value_kind:     by_value
      - .address_space:  global
        .offset:         32
        .size:           8
        .value_kind:     global_buffer
      - .offset:         40
        .size:           8
        .value_kind:     by_value
      - .offset:         48
        .size:           4
        .value_kind:     by_value
      - .offset:         56
        .size:           8
        .value_kind:     by_value
      - .address_space:  global
        .offset:         64
        .size:           8
        .value_kind:     global_buffer
      - .offset:         72
        .size:           8
        .value_kind:     by_value
      - .offset:         80
        .size:           4
        .value_kind:     by_value
      - .offset:         88
        .size:           8
        .value_kind:     by_value
      - .offset:         96
        .size:           4
        .value_kind:     by_value
      - .offset:         104
        .size:           4
        .value_kind:     hidden_block_count_x
      - .offset:         108
        .size:           4
        .value_kind:     hidden_block_count_y
      - .offset:         112
        .size:           4
        .value_kind:     hidden_block_count_z
      - .offset:         116
        .size:           2
        .value_kind:     hidden_group_size_x
      - .offset:         118
        .size:           2
        .value_kind:     hidden_group_size_y
      - .offset:         120
        .size:           2
        .value_kind:     hidden_group_size_z
      - .offset:         122
        .size:           2
        .value_kind:     hidden_remainder_x
      - .offset:         124
        .size:           2
        .value_kind:     hidden_remainder_y
      - .offset:         126
        .size:           2
        .value_kind:     hidden_remainder_z
      - .offset:         144
        .size:           8
        .value_kind:     hidden_global_offset_x
      - .offset:         152
        .size:           8
        .value_kind:     hidden_global_offset_y
      - .offset:         160
        .size:           8
        .value_kind:     hidden_global_offset_z
      - .offset:         168
        .size:           2
        .value_kind:     hidden_grid_dims
    .group_segment_fixed_size: 1024
    .kernarg_segment_align: 8
    .kernarg_segment_size: 360
    .language:       OpenCL C
    .language_version:
      - 2
      - 0
    .max_flat_workgroup_size: 8
    .name:           _ZL38rocblas_trsm_small_left_device_sharedBILi8ELi8ELb1EddPKPKdPKPdEv13rocblas_fill_18rocblas_operation_17rocblas_diagonal_iiT3_T4_lilT5_lili
    .private_segment_fixed_size: 0
    .sgpr_count:     47
    .sgpr_spill_count: 0
    .symbol:         _ZL38rocblas_trsm_small_left_device_sharedBILi8ELi8ELb1EddPKPKdPKPdEv13rocblas_fill_18rocblas_operation_17rocblas_diagonal_iiT3_T4_lilT5_lili.kd
    .uniform_work_group_size: 1
    .uses_dynamic_stack: false
    .vgpr_count:     48
    .vgpr_spill_count: 0
    .wavefront_size: 32
    .workgroup_processor_mode: 1
  - .args:
      - .offset:         0
        .size:           4
        .value_kind:     by_value
      - .offset:         4
        .size:           4
        .value_kind:     by_value
      - .offset:         8
        .size:           4
        .value_kind:     by_value
      - .offset:         12
        .size:           4
        .value_kind:     by_value
      - .offset:         16
        .size:           4
        .value_kind:     by_value
      - .offset:         24
        .size:           8
        .value_kind:     by_value
      - .address_space:  global
        .offset:         32
        .size:           8
        .value_kind:     global_buffer
      - .offset:         40
        .size:           8
        .value_kind:     by_value
      - .offset:         48
        .size:           4
        .value_kind:     by_value
      - .offset:         56
        .size:           8
        .value_kind:     by_value
      - .address_space:  global
        .offset:         64
        .size:           8
        .value_kind:     global_buffer
      - .offset:         72
        .size:           8
        .value_kind:     by_value
      - .offset:         80
        .size:           4
        .value_kind:     by_value
      - .offset:         88
        .size:           8
        .value_kind:     by_value
      - .offset:         96
        .size:           4
        .value_kind:     by_value
      - .offset:         104
        .size:           4
        .value_kind:     hidden_block_count_x
      - .offset:         108
        .size:           4
        .value_kind:     hidden_block_count_y
      - .offset:         112
        .size:           4
        .value_kind:     hidden_block_count_z
      - .offset:         116
        .size:           2
        .value_kind:     hidden_group_size_x
      - .offset:         118
        .size:           2
        .value_kind:     hidden_group_size_y
      - .offset:         120
        .size:           2
        .value_kind:     hidden_group_size_z
      - .offset:         122
        .size:           2
        .value_kind:     hidden_remainder_x
      - .offset:         124
        .size:           2
        .value_kind:     hidden_remainder_y
      - .offset:         126
        .size:           2
        .value_kind:     hidden_remainder_z
      - .offset:         144
        .size:           8
        .value_kind:     hidden_global_offset_x
      - .offset:         152
        .size:           8
        .value_kind:     hidden_global_offset_y
      - .offset:         160
        .size:           8
        .value_kind:     hidden_global_offset_z
      - .offset:         168
        .size:           2
        .value_kind:     hidden_grid_dims
    .group_segment_fixed_size: 512
    .kernarg_segment_align: 8
    .kernarg_segment_size: 360
    .language:       OpenCL C
    .language_version:
      - 2
      - 0
    .max_flat_workgroup_size: 8
    .name:           _ZL30rocblas_trsm_small_left_deviceILi8ELi8ELb1EddPKPKdPKPdEv13rocblas_fill_18rocblas_operation_17rocblas_diagonal_iiT3_T4_lilT5_lili
    .private_segment_fixed_size: 0
    .sgpr_count:     46
    .sgpr_spill_count: 0
    .symbol:         _ZL30rocblas_trsm_small_left_deviceILi8ELi8ELb1EddPKPKdPKPdEv13rocblas_fill_18rocblas_operation_17rocblas_diagonal_iiT3_T4_lilT5_lili.kd
    .uniform_work_group_size: 1
    .uses_dynamic_stack: false
    .vgpr_count:     52
    .vgpr_spill_count: 0
    .wavefront_size: 32
    .workgroup_processor_mode: 1
  - .args:
      - .offset:         0
        .size:           4
        .value_kind:     by_value
      - .offset:         4
        .size:           4
        .value_kind:     by_value
      - .offset:         8
        .size:           4
        .value_kind:     by_value
      - .offset:         12
        .size:           4
        .value_kind:     by_value
      - .offset:         16
        .size:           4
        .value_kind:     by_value
      - .offset:         24
        .size:           8
        .value_kind:     by_value
      - .address_space:  global
        .offset:         32
        .size:           8
        .value_kind:     global_buffer
      - .offset:         40
        .size:           8
        .value_kind:     by_value
      - .offset:         48
        .size:           4
        .value_kind:     by_value
      - .offset:         56
        .size:           8
        .value_kind:     by_value
      - .address_space:  global
        .offset:         64
        .size:           8
        .value_kind:     global_buffer
      - .offset:         72
        .size:           8
        .value_kind:     by_value
      - .offset:         80
        .size:           4
        .value_kind:     by_value
      - .offset:         88
        .size:           8
        .value_kind:     by_value
      - .offset:         96
        .size:           4
        .value_kind:     by_value
      - .offset:         104
        .size:           4
        .value_kind:     hidden_block_count_x
      - .offset:         108
        .size:           4
        .value_kind:     hidden_block_count_y
      - .offset:         112
        .size:           4
        .value_kind:     hidden_block_count_z
      - .offset:         116
        .size:           2
        .value_kind:     hidden_group_size_x
      - .offset:         118
        .size:           2
        .value_kind:     hidden_group_size_y
      - .offset:         120
        .size:           2
        .value_kind:     hidden_group_size_z
      - .offset:         122
        .size:           2
        .value_kind:     hidden_remainder_x
      - .offset:         124
        .size:           2
        .value_kind:     hidden_remainder_y
      - .offset:         126
        .size:           2
        .value_kind:     hidden_remainder_z
      - .offset:         144
        .size:           8
        .value_kind:     hidden_global_offset_x
      - .offset:         152
        .size:           8
        .value_kind:     hidden_global_offset_y
      - .offset:         160
        .size:           8
        .value_kind:     hidden_global_offset_z
      - .offset:         168
        .size:           2
        .value_kind:     hidden_grid_dims
    .group_segment_fixed_size: 1024
    .kernarg_segment_align: 8
    .kernarg_segment_size: 360
    .language:       OpenCL C
    .language_version:
      - 2
      - 0
    .max_flat_workgroup_size: 8
    .name:           _ZL31rocblas_trsm_small_right_deviceIddPKPKdPKPdLi8EEv13rocblas_fill_18rocblas_operation_17rocblas_diagonal_iiT0_T1_lilT2_lili
    .private_segment_fixed_size: 0
    .sgpr_count:     48
    .sgpr_spill_count: 0
    .symbol:         _ZL31rocblas_trsm_small_right_deviceIddPKPKdPKPdLi8EEv13rocblas_fill_18rocblas_operation_17rocblas_diagonal_iiT0_T1_lilT2_lili.kd
    .uniform_work_group_size: 1
    .uses_dynamic_stack: false
    .vgpr_count:     43
    .vgpr_spill_count: 0
    .wavefront_size: 32
    .workgroup_processor_mode: 1
  - .args:
      - .offset:         0
        .size:           4
        .value_kind:     by_value
      - .offset:         4
        .size:           4
        .value_kind:     by_value
      - .offset:         8
        .size:           4
        .value_kind:     by_value
      - .offset:         12
        .size:           4
        .value_kind:     by_value
      - .offset:         16
        .size:           4
        .value_kind:     by_value
      - .offset:         24
        .size:           8
        .value_kind:     by_value
      - .address_space:  global
        .offset:         32
        .size:           8
        .value_kind:     global_buffer
      - .offset:         40
        .size:           8
        .value_kind:     by_value
      - .offset:         48
        .size:           4
        .value_kind:     by_value
      - .offset:         56
        .size:           8
        .value_kind:     by_value
      - .address_space:  global
        .offset:         64
        .size:           8
        .value_kind:     global_buffer
      - .offset:         72
        .size:           8
        .value_kind:     by_value
      - .offset:         80
        .size:           4
        .value_kind:     by_value
      - .offset:         88
        .size:           8
        .value_kind:     by_value
      - .offset:         96
        .size:           4
        .value_kind:     by_value
      - .offset:         104
        .size:           4
        .value_kind:     hidden_block_count_x
      - .offset:         108
        .size:           4
        .value_kind:     hidden_block_count_y
      - .offset:         112
        .size:           4
        .value_kind:     hidden_block_count_z
      - .offset:         116
        .size:           2
        .value_kind:     hidden_group_size_x
      - .offset:         118
        .size:           2
        .value_kind:     hidden_group_size_y
      - .offset:         120
        .size:           2
        .value_kind:     hidden_group_size_z
      - .offset:         122
        .size:           2
        .value_kind:     hidden_remainder_x
      - .offset:         124
        .size:           2
        .value_kind:     hidden_remainder_y
      - .offset:         126
        .size:           2
        .value_kind:     hidden_remainder_z
      - .offset:         144
        .size:           8
        .value_kind:     hidden_global_offset_x
      - .offset:         152
        .size:           8
        .value_kind:     hidden_global_offset_y
      - .offset:         160
        .size:           8
        .value_kind:     hidden_global_offset_z
      - .offset:         168
        .size:           2
        .value_kind:     hidden_grid_dims
    .group_segment_fixed_size: 2304
    .kernarg_segment_align: 8
    .kernarg_segment_size: 360
    .language:       OpenCL C
    .language_version:
      - 2
      - 0
    .max_flat_workgroup_size: 12
    .name:           _ZL38rocblas_trsm_small_left_device_sharedBILi12ELi12ELb0EddPKPKdPKPdEv13rocblas_fill_18rocblas_operation_17rocblas_diagonal_iiT3_T4_lilT5_lili
    .private_segment_fixed_size: 0
    .sgpr_count:     47
    .sgpr_spill_count: 0
    .symbol:         _ZL38rocblas_trsm_small_left_device_sharedBILi12ELi12ELb0EddPKPKdPKPdEv13rocblas_fill_18rocblas_operation_17rocblas_diagonal_iiT3_T4_lilT5_lili.kd
    .uniform_work_group_size: 1
    .uses_dynamic_stack: false
    .vgpr_count:     80
    .vgpr_spill_count: 0
    .wavefront_size: 32
    .workgroup_processor_mode: 1
  - .args:
      - .offset:         0
        .size:           4
        .value_kind:     by_value
      - .offset:         4
        .size:           4
        .value_kind:     by_value
      - .offset:         8
        .size:           4
        .value_kind:     by_value
      - .offset:         12
        .size:           4
        .value_kind:     by_value
      - .offset:         16
        .size:           4
        .value_kind:     by_value
      - .offset:         24
        .size:           8
        .value_kind:     by_value
      - .address_space:  global
        .offset:         32
        .size:           8
        .value_kind:     global_buffer
      - .offset:         40
        .size:           8
        .value_kind:     by_value
      - .offset:         48
        .size:           4
        .value_kind:     by_value
      - .offset:         56
        .size:           8
        .value_kind:     by_value
      - .address_space:  global
        .offset:         64
        .size:           8
        .value_kind:     global_buffer
      - .offset:         72
        .size:           8
        .value_kind:     by_value
      - .offset:         80
        .size:           4
        .value_kind:     by_value
      - .offset:         88
        .size:           8
        .value_kind:     by_value
      - .offset:         96
        .size:           4
        .value_kind:     by_value
      - .offset:         104
        .size:           4
        .value_kind:     hidden_block_count_x
      - .offset:         108
        .size:           4
        .value_kind:     hidden_block_count_y
      - .offset:         112
        .size:           4
        .value_kind:     hidden_block_count_z
      - .offset:         116
        .size:           2
        .value_kind:     hidden_group_size_x
      - .offset:         118
        .size:           2
        .value_kind:     hidden_group_size_y
      - .offset:         120
        .size:           2
        .value_kind:     hidden_group_size_z
      - .offset:         122
        .size:           2
        .value_kind:     hidden_remainder_x
      - .offset:         124
        .size:           2
        .value_kind:     hidden_remainder_y
      - .offset:         126
        .size:           2
        .value_kind:     hidden_remainder_z
      - .offset:         144
        .size:           8
        .value_kind:     hidden_global_offset_x
      - .offset:         152
        .size:           8
        .value_kind:     hidden_global_offset_y
      - .offset:         160
        .size:           8
        .value_kind:     hidden_global_offset_z
      - .offset:         168
        .size:           2
        .value_kind:     hidden_grid_dims
    .group_segment_fixed_size: 1152
    .kernarg_segment_align: 8
    .kernarg_segment_size: 360
    .language:       OpenCL C
    .language_version:
      - 2
      - 0
    .max_flat_workgroup_size: 12
    .name:           _ZL30rocblas_trsm_small_left_deviceILi12ELi12ELb0EddPKPKdPKPdEv13rocblas_fill_18rocblas_operation_17rocblas_diagonal_iiT3_T4_lilT5_lili
    .private_segment_fixed_size: 0
    .sgpr_count:     47
    .sgpr_spill_count: 0
    .symbol:         _ZL30rocblas_trsm_small_left_deviceILi12ELi12ELb0EddPKPKdPKPdEv13rocblas_fill_18rocblas_operation_17rocblas_diagonal_iiT3_T4_lilT5_lili.kd
    .uniform_work_group_size: 1
    .uses_dynamic_stack: false
    .vgpr_count:     86
    .vgpr_spill_count: 0
    .wavefront_size: 32
    .workgroup_processor_mode: 1
  - .args:
      - .offset:         0
        .size:           4
        .value_kind:     by_value
      - .offset:         4
        .size:           4
        .value_kind:     by_value
      - .offset:         8
        .size:           4
        .value_kind:     by_value
      - .offset:         12
        .size:           4
        .value_kind:     by_value
      - .offset:         16
        .size:           4
        .value_kind:     by_value
      - .offset:         24
        .size:           8
        .value_kind:     by_value
      - .address_space:  global
        .offset:         32
        .size:           8
        .value_kind:     global_buffer
      - .offset:         40
        .size:           8
        .value_kind:     by_value
      - .offset:         48
        .size:           4
        .value_kind:     by_value
      - .offset:         56
        .size:           8
        .value_kind:     by_value
      - .address_space:  global
        .offset:         64
        .size:           8
        .value_kind:     global_buffer
      - .offset:         72
        .size:           8
        .value_kind:     by_value
      - .offset:         80
        .size:           4
        .value_kind:     by_value
      - .offset:         88
        .size:           8
        .value_kind:     by_value
      - .offset:         96
        .size:           4
        .value_kind:     by_value
      - .offset:         104
        .size:           4
        .value_kind:     hidden_block_count_x
      - .offset:         108
        .size:           4
        .value_kind:     hidden_block_count_y
      - .offset:         112
        .size:           4
        .value_kind:     hidden_block_count_z
      - .offset:         116
        .size:           2
        .value_kind:     hidden_group_size_x
      - .offset:         118
        .size:           2
        .value_kind:     hidden_group_size_y
      - .offset:         120
        .size:           2
        .value_kind:     hidden_group_size_z
      - .offset:         122
        .size:           2
        .value_kind:     hidden_remainder_x
      - .offset:         124
        .size:           2
        .value_kind:     hidden_remainder_y
      - .offset:         126
        .size:           2
        .value_kind:     hidden_remainder_z
      - .offset:         144
        .size:           8
        .value_kind:     hidden_global_offset_x
      - .offset:         152
        .size:           8
        .value_kind:     hidden_global_offset_y
      - .offset:         160
        .size:           8
        .value_kind:     hidden_global_offset_z
      - .offset:         168
        .size:           2
        .value_kind:     hidden_grid_dims
    .group_segment_fixed_size: 2304
    .kernarg_segment_align: 8
    .kernarg_segment_size: 360
    .language:       OpenCL C
    .language_version:
      - 2
      - 0
    .max_flat_workgroup_size: 12
    .name:           _ZL38rocblas_trsm_small_left_device_sharedBILi12ELi12ELb1EddPKPKdPKPdEv13rocblas_fill_18rocblas_operation_17rocblas_diagonal_iiT3_T4_lilT5_lili
    .private_segment_fixed_size: 0
    .sgpr_count:     47
    .sgpr_spill_count: 0
    .symbol:         _ZL38rocblas_trsm_small_left_device_sharedBILi12ELi12ELb1EddPKPKdPKPdEv13rocblas_fill_18rocblas_operation_17rocblas_diagonal_iiT3_T4_lilT5_lili.kd
    .uniform_work_group_size: 1
    .uses_dynamic_stack: false
    .vgpr_count:     80
    .vgpr_spill_count: 0
    .wavefront_size: 32
    .workgroup_processor_mode: 1
  - .args:
      - .offset:         0
        .size:           4
        .value_kind:     by_value
      - .offset:         4
        .size:           4
        .value_kind:     by_value
      - .offset:         8
        .size:           4
        .value_kind:     by_value
      - .offset:         12
        .size:           4
        .value_kind:     by_value
      - .offset:         16
        .size:           4
        .value_kind:     by_value
      - .offset:         24
        .size:           8
        .value_kind:     by_value
      - .address_space:  global
        .offset:         32
        .size:           8
        .value_kind:     global_buffer
      - .offset:         40
        .size:           8
        .value_kind:     by_value
      - .offset:         48
        .size:           4
        .value_kind:     by_value
      - .offset:         56
        .size:           8
        .value_kind:     by_value
      - .address_space:  global
        .offset:         64
        .size:           8
        .value_kind:     global_buffer
      - .offset:         72
        .size:           8
        .value_kind:     by_value
      - .offset:         80
        .size:           4
        .value_kind:     by_value
      - .offset:         88
        .size:           8
        .value_kind:     by_value
      - .offset:         96
        .size:           4
        .value_kind:     by_value
      - .offset:         104
        .size:           4
        .value_kind:     hidden_block_count_x
      - .offset:         108
        .size:           4
        .value_kind:     hidden_block_count_y
      - .offset:         112
        .size:           4
        .value_kind:     hidden_block_count_z
      - .offset:         116
        .size:           2
        .value_kind:     hidden_group_size_x
      - .offset:         118
        .size:           2
        .value_kind:     hidden_group_size_y
      - .offset:         120
        .size:           2
        .value_kind:     hidden_group_size_z
      - .offset:         122
        .size:           2
        .value_kind:     hidden_remainder_x
      - .offset:         124
        .size:           2
        .value_kind:     hidden_remainder_y
      - .offset:         126
        .size:           2
        .value_kind:     hidden_remainder_z
      - .offset:         144
        .size:           8
        .value_kind:     hidden_global_offset_x
      - .offset:         152
        .size:           8
        .value_kind:     hidden_global_offset_y
      - .offset:         160
        .size:           8
        .value_kind:     hidden_global_offset_z
      - .offset:         168
        .size:           2
        .value_kind:     hidden_grid_dims
    .group_segment_fixed_size: 1152
    .kernarg_segment_align: 8
    .kernarg_segment_size: 360
    .language:       OpenCL C
    .language_version:
      - 2
      - 0
    .max_flat_workgroup_size: 12
    .name:           _ZL30rocblas_trsm_small_left_deviceILi12ELi12ELb1EddPKPKdPKPdEv13rocblas_fill_18rocblas_operation_17rocblas_diagonal_iiT3_T4_lilT5_lili
    .private_segment_fixed_size: 0
    .sgpr_count:     46
    .sgpr_spill_count: 0
    .symbol:         _ZL30rocblas_trsm_small_left_deviceILi12ELi12ELb1EddPKPKdPKPdEv13rocblas_fill_18rocblas_operation_17rocblas_diagonal_iiT3_T4_lilT5_lili.kd
    .uniform_work_group_size: 1
    .uses_dynamic_stack: false
    .vgpr_count:     84
    .vgpr_spill_count: 0
    .wavefront_size: 32
    .workgroup_processor_mode: 1
  - .args:
      - .offset:         0
        .size:           4
        .value_kind:     by_value
      - .offset:         4
        .size:           4
        .value_kind:     by_value
      - .offset:         8
        .size:           4
        .value_kind:     by_value
      - .offset:         12
        .size:           4
        .value_kind:     by_value
      - .offset:         16
        .size:           4
        .value_kind:     by_value
      - .offset:         24
        .size:           8
        .value_kind:     by_value
      - .address_space:  global
        .offset:         32
        .size:           8
        .value_kind:     global_buffer
      - .offset:         40
        .size:           8
        .value_kind:     by_value
      - .offset:         48
        .size:           4
        .value_kind:     by_value
      - .offset:         56
        .size:           8
        .value_kind:     by_value
      - .address_space:  global
        .offset:         64
        .size:           8
        .value_kind:     global_buffer
      - .offset:         72
        .size:           8
        .value_kind:     by_value
      - .offset:         80
        .size:           4
        .value_kind:     by_value
      - .offset:         88
        .size:           8
        .value_kind:     by_value
      - .offset:         96
        .size:           4
        .value_kind:     by_value
      - .offset:         104
        .size:           4
        .value_kind:     hidden_block_count_x
      - .offset:         108
        .size:           4
        .value_kind:     hidden_block_count_y
      - .offset:         112
        .size:           4
        .value_kind:     hidden_block_count_z
      - .offset:         116
        .size:           2
        .value_kind:     hidden_group_size_x
      - .offset:         118
        .size:           2
        .value_kind:     hidden_group_size_y
      - .offset:         120
        .size:           2
        .value_kind:     hidden_group_size_z
      - .offset:         122
        .size:           2
        .value_kind:     hidden_remainder_x
      - .offset:         124
        .size:           2
        .value_kind:     hidden_remainder_y
      - .offset:         126
        .size:           2
        .value_kind:     hidden_remainder_z
      - .offset:         144
        .size:           8
        .value_kind:     hidden_global_offset_x
      - .offset:         152
        .size:           8
        .value_kind:     hidden_global_offset_y
      - .offset:         160
        .size:           8
        .value_kind:     hidden_global_offset_z
      - .offset:         168
        .size:           2
        .value_kind:     hidden_grid_dims
    .group_segment_fixed_size: 2304
    .kernarg_segment_align: 8
    .kernarg_segment_size: 360
    .language:       OpenCL C
    .language_version:
      - 2
      - 0
    .max_flat_workgroup_size: 12
    .name:           _ZL31rocblas_trsm_small_right_deviceIddPKPKdPKPdLi12EEv13rocblas_fill_18rocblas_operation_17rocblas_diagonal_iiT0_T1_lilT2_lili
    .private_segment_fixed_size: 0
    .sgpr_count:     45
    .sgpr_spill_count: 0
    .symbol:         _ZL31rocblas_trsm_small_right_deviceIddPKPKdPKPdLi12EEv13rocblas_fill_18rocblas_operation_17rocblas_diagonal_iiT0_T1_lilT2_lili.kd
    .uniform_work_group_size: 1
    .uses_dynamic_stack: false
    .vgpr_count:     41
    .vgpr_spill_count: 0
    .wavefront_size: 32
    .workgroup_processor_mode: 1
  - .args:
      - .offset:         0
        .size:           4
        .value_kind:     by_value
      - .offset:         4
        .size:           4
        .value_kind:     by_value
      - .offset:         8
        .size:           4
        .value_kind:     by_value
      - .offset:         12
        .size:           4
        .value_kind:     by_value
      - .offset:         16
        .size:           4
        .value_kind:     by_value
      - .offset:         24
        .size:           8
        .value_kind:     by_value
      - .address_space:  global
        .offset:         32
        .size:           8
        .value_kind:     global_buffer
      - .offset:         40
        .size:           8
        .value_kind:     by_value
      - .offset:         48
        .size:           4
        .value_kind:     by_value
      - .offset:         56
        .size:           8
        .value_kind:     by_value
      - .address_space:  global
        .offset:         64
        .size:           8
        .value_kind:     global_buffer
      - .offset:         72
        .size:           8
        .value_kind:     by_value
      - .offset:         80
        .size:           4
        .value_kind:     by_value
      - .offset:         88
        .size:           8
        .value_kind:     by_value
      - .offset:         96
        .size:           4
        .value_kind:     by_value
      - .offset:         104
        .size:           4
        .value_kind:     hidden_block_count_x
      - .offset:         108
        .size:           4
        .value_kind:     hidden_block_count_y
      - .offset:         112
        .size:           4
        .value_kind:     hidden_block_count_z
      - .offset:         116
        .size:           2
        .value_kind:     hidden_group_size_x
      - .offset:         118
        .size:           2
        .value_kind:     hidden_group_size_y
      - .offset:         120
        .size:           2
        .value_kind:     hidden_group_size_z
      - .offset:         122
        .size:           2
        .value_kind:     hidden_remainder_x
      - .offset:         124
        .size:           2
        .value_kind:     hidden_remainder_y
      - .offset:         126
        .size:           2
        .value_kind:     hidden_remainder_z
      - .offset:         144
        .size:           8
        .value_kind:     hidden_global_offset_x
      - .offset:         152
        .size:           8
        .value_kind:     hidden_global_offset_y
      - .offset:         160
        .size:           8
        .value_kind:     hidden_global_offset_z
      - .offset:         168
        .size:           2
        .value_kind:     hidden_grid_dims
    .group_segment_fixed_size: 4096
    .kernarg_segment_align: 8
    .kernarg_segment_size: 360
    .language:       OpenCL C
    .language_version:
      - 2
      - 0
    .max_flat_workgroup_size: 16
    .name:           _ZL38rocblas_trsm_small_left_device_sharedBILi16ELi16ELb0EddPKPKdPKPdEv13rocblas_fill_18rocblas_operation_17rocblas_diagonal_iiT3_T4_lilT5_lili
    .private_segment_fixed_size: 0
    .sgpr_count:     47
    .sgpr_spill_count: 0
    .symbol:         _ZL38rocblas_trsm_small_left_device_sharedBILi16ELi16ELb0EddPKPKdPKPdEv13rocblas_fill_18rocblas_operation_17rocblas_diagonal_iiT3_T4_lilT5_lili.kd
    .uniform_work_group_size: 1
    .uses_dynamic_stack: false
    .vgpr_count:     80
    .vgpr_spill_count: 0
    .wavefront_size: 32
    .workgroup_processor_mode: 1
  - .args:
      - .offset:         0
        .size:           4
        .value_kind:     by_value
      - .offset:         4
        .size:           4
        .value_kind:     by_value
      - .offset:         8
        .size:           4
        .value_kind:     by_value
      - .offset:         12
        .size:           4
        .value_kind:     by_value
      - .offset:         16
        .size:           4
        .value_kind:     by_value
      - .offset:         24
        .size:           8
        .value_kind:     by_value
      - .address_space:  global
        .offset:         32
        .size:           8
        .value_kind:     global_buffer
      - .offset:         40
        .size:           8
        .value_kind:     by_value
      - .offset:         48
        .size:           4
        .value_kind:     by_value
      - .offset:         56
        .size:           8
        .value_kind:     by_value
      - .address_space:  global
        .offset:         64
        .size:           8
        .value_kind:     global_buffer
      - .offset:         72
        .size:           8
        .value_kind:     by_value
      - .offset:         80
        .size:           4
        .value_kind:     by_value
      - .offset:         88
        .size:           8
        .value_kind:     by_value
      - .offset:         96
        .size:           4
        .value_kind:     by_value
      - .offset:         104
        .size:           4
        .value_kind:     hidden_block_count_x
      - .offset:         108
        .size:           4
        .value_kind:     hidden_block_count_y
      - .offset:         112
        .size:           4
        .value_kind:     hidden_block_count_z
      - .offset:         116
        .size:           2
        .value_kind:     hidden_group_size_x
      - .offset:         118
        .size:           2
        .value_kind:     hidden_group_size_y
      - .offset:         120
        .size:           2
        .value_kind:     hidden_group_size_z
      - .offset:         122
        .size:           2
        .value_kind:     hidden_remainder_x
      - .offset:         124
        .size:           2
        .value_kind:     hidden_remainder_y
      - .offset:         126
        .size:           2
        .value_kind:     hidden_remainder_z
      - .offset:         144
        .size:           8
        .value_kind:     hidden_global_offset_x
      - .offset:         152
        .size:           8
        .value_kind:     hidden_global_offset_y
      - .offset:         160
        .size:           8
        .value_kind:     hidden_global_offset_z
      - .offset:         168
        .size:           2
        .value_kind:     hidden_grid_dims
    .group_segment_fixed_size: 2048
    .kernarg_segment_align: 8
    .kernarg_segment_size: 360
    .language:       OpenCL C
    .language_version:
      - 2
      - 0
    .max_flat_workgroup_size: 16
    .name:           _ZL30rocblas_trsm_small_left_deviceILi16ELi16ELb0EddPKPKdPKPdEv13rocblas_fill_18rocblas_operation_17rocblas_diagonal_iiT3_T4_lilT5_lili
    .private_segment_fixed_size: 0
    .sgpr_count:     47
    .sgpr_spill_count: 0
    .symbol:         _ZL30rocblas_trsm_small_left_deviceILi16ELi16ELb0EddPKPKdPKPdEv13rocblas_fill_18rocblas_operation_17rocblas_diagonal_iiT3_T4_lilT5_lili.kd
    .uniform_work_group_size: 1
    .uses_dynamic_stack: false
    .vgpr_count:     86
    .vgpr_spill_count: 0
    .wavefront_size: 32
    .workgroup_processor_mode: 1
  - .args:
      - .offset:         0
        .size:           4
        .value_kind:     by_value
      - .offset:         4
        .size:           4
        .value_kind:     by_value
      - .offset:         8
        .size:           4
        .value_kind:     by_value
      - .offset:         12
        .size:           4
        .value_kind:     by_value
      - .offset:         16
        .size:           4
        .value_kind:     by_value
      - .offset:         24
        .size:           8
        .value_kind:     by_value
      - .address_space:  global
        .offset:         32
        .size:           8
        .value_kind:     global_buffer
      - .offset:         40
        .size:           8
        .value_kind:     by_value
      - .offset:         48
        .size:           4
        .value_kind:     by_value
      - .offset:         56
        .size:           8
        .value_kind:     by_value
      - .address_space:  global
        .offset:         64
        .size:           8
        .value_kind:     global_buffer
      - .offset:         72
        .size:           8
        .value_kind:     by_value
      - .offset:         80
        .size:           4
        .value_kind:     by_value
      - .offset:         88
        .size:           8
        .value_kind:     by_value
      - .offset:         96
        .size:           4
        .value_kind:     by_value
      - .offset:         104
        .size:           4
        .value_kind:     hidden_block_count_x
      - .offset:         108
        .size:           4
        .value_kind:     hidden_block_count_y
      - .offset:         112
        .size:           4
        .value_kind:     hidden_block_count_z
      - .offset:         116
        .size:           2
        .value_kind:     hidden_group_size_x
      - .offset:         118
        .size:           2
        .value_kind:     hidden_group_size_y
      - .offset:         120
        .size:           2
        .value_kind:     hidden_group_size_z
      - .offset:         122
        .size:           2
        .value_kind:     hidden_remainder_x
      - .offset:         124
        .size:           2
        .value_kind:     hidden_remainder_y
      - .offset:         126
        .size:           2
        .value_kind:     hidden_remainder_z
      - .offset:         144
        .size:           8
        .value_kind:     hidden_global_offset_x
      - .offset:         152
        .size:           8
        .value_kind:     hidden_global_offset_y
      - .offset:         160
        .size:           8
        .value_kind:     hidden_global_offset_z
      - .offset:         168
        .size:           2
        .value_kind:     hidden_grid_dims
    .group_segment_fixed_size: 4096
    .kernarg_segment_align: 8
    .kernarg_segment_size: 360
    .language:       OpenCL C
    .language_version:
      - 2
      - 0
    .max_flat_workgroup_size: 16
    .name:           _ZL38rocblas_trsm_small_left_device_sharedBILi16ELi16ELb1EddPKPKdPKPdEv13rocblas_fill_18rocblas_operation_17rocblas_diagonal_iiT3_T4_lilT5_lili
    .private_segment_fixed_size: 0
    .sgpr_count:     47
    .sgpr_spill_count: 0
    .symbol:         _ZL38rocblas_trsm_small_left_device_sharedBILi16ELi16ELb1EddPKPKdPKPdEv13rocblas_fill_18rocblas_operation_17rocblas_diagonal_iiT3_T4_lilT5_lili.kd
    .uniform_work_group_size: 1
    .uses_dynamic_stack: false
    .vgpr_count:     80
    .vgpr_spill_count: 0
    .wavefront_size: 32
    .workgroup_processor_mode: 1
  - .args:
      - .offset:         0
        .size:           4
        .value_kind:     by_value
      - .offset:         4
        .size:           4
        .value_kind:     by_value
      - .offset:         8
        .size:           4
        .value_kind:     by_value
      - .offset:         12
        .size:           4
        .value_kind:     by_value
      - .offset:         16
        .size:           4
        .value_kind:     by_value
      - .offset:         24
        .size:           8
        .value_kind:     by_value
      - .address_space:  global
        .offset:         32
        .size:           8
        .value_kind:     global_buffer
      - .offset:         40
        .size:           8
        .value_kind:     by_value
      - .offset:         48
        .size:           4
        .value_kind:     by_value
      - .offset:         56
        .size:           8
        .value_kind:     by_value
      - .address_space:  global
        .offset:         64
        .size:           8
        .value_kind:     global_buffer
      - .offset:         72
        .size:           8
        .value_kind:     by_value
      - .offset:         80
        .size:           4
        .value_kind:     by_value
      - .offset:         88
        .size:           8
        .value_kind:     by_value
      - .offset:         96
        .size:           4
        .value_kind:     by_value
      - .offset:         104
        .size:           4
        .value_kind:     hidden_block_count_x
      - .offset:         108
        .size:           4
        .value_kind:     hidden_block_count_y
      - .offset:         112
        .size:           4
        .value_kind:     hidden_block_count_z
      - .offset:         116
        .size:           2
        .value_kind:     hidden_group_size_x
      - .offset:         118
        .size:           2
        .value_kind:     hidden_group_size_y
      - .offset:         120
        .size:           2
        .value_kind:     hidden_group_size_z
      - .offset:         122
        .size:           2
        .value_kind:     hidden_remainder_x
      - .offset:         124
        .size:           2
        .value_kind:     hidden_remainder_y
      - .offset:         126
        .size:           2
        .value_kind:     hidden_remainder_z
      - .offset:         144
        .size:           8
        .value_kind:     hidden_global_offset_x
      - .offset:         152
        .size:           8
        .value_kind:     hidden_global_offset_y
      - .offset:         160
        .size:           8
        .value_kind:     hidden_global_offset_z
      - .offset:         168
        .size:           2
        .value_kind:     hidden_grid_dims
    .group_segment_fixed_size: 2048
    .kernarg_segment_align: 8
    .kernarg_segment_size: 360
    .language:       OpenCL C
    .language_version:
      - 2
      - 0
    .max_flat_workgroup_size: 16
    .name:           _ZL30rocblas_trsm_small_left_deviceILi16ELi16ELb1EddPKPKdPKPdEv13rocblas_fill_18rocblas_operation_17rocblas_diagonal_iiT3_T4_lilT5_lili
    .private_segment_fixed_size: 0
    .sgpr_count:     46
    .sgpr_spill_count: 0
    .symbol:         _ZL30rocblas_trsm_small_left_deviceILi16ELi16ELb1EddPKPKdPKPdEv13rocblas_fill_18rocblas_operation_17rocblas_diagonal_iiT3_T4_lilT5_lili.kd
    .uniform_work_group_size: 1
    .uses_dynamic_stack: false
    .vgpr_count:     84
    .vgpr_spill_count: 0
    .wavefront_size: 32
    .workgroup_processor_mode: 1
  - .args:
      - .offset:         0
        .size:           4
        .value_kind:     by_value
      - .offset:         4
        .size:           4
        .value_kind:     by_value
      - .offset:         8
        .size:           4
        .value_kind:     by_value
      - .offset:         12
        .size:           4
        .value_kind:     by_value
      - .offset:         16
        .size:           4
        .value_kind:     by_value
      - .offset:         24
        .size:           8
        .value_kind:     by_value
      - .address_space:  global
        .offset:         32
        .size:           8
        .value_kind:     global_buffer
      - .offset:         40
        .size:           8
        .value_kind:     by_value
      - .offset:         48
        .size:           4
        .value_kind:     by_value
      - .offset:         56
        .size:           8
        .value_kind:     by_value
      - .address_space:  global
        .offset:         64
        .size:           8
        .value_kind:     global_buffer
      - .offset:         72
        .size:           8
        .value_kind:     by_value
      - .offset:         80
        .size:           4
        .value_kind:     by_value
      - .offset:         88
        .size:           8
        .value_kind:     by_value
      - .offset:         96
        .size:           4
        .value_kind:     by_value
      - .offset:         104
        .size:           4
        .value_kind:     hidden_block_count_x
      - .offset:         108
        .size:           4
        .value_kind:     hidden_block_count_y
      - .offset:         112
        .size:           4
        .value_kind:     hidden_block_count_z
      - .offset:         116
        .size:           2
        .value_kind:     hidden_group_size_x
      - .offset:         118
        .size:           2
        .value_kind:     hidden_group_size_y
      - .offset:         120
        .size:           2
        .value_kind:     hidden_group_size_z
      - .offset:         122
        .size:           2
        .value_kind:     hidden_remainder_x
      - .offset:         124
        .size:           2
        .value_kind:     hidden_remainder_y
      - .offset:         126
        .size:           2
        .value_kind:     hidden_remainder_z
      - .offset:         144
        .size:           8
        .value_kind:     hidden_global_offset_x
      - .offset:         152
        .size:           8
        .value_kind:     hidden_global_offset_y
      - .offset:         160
        .size:           8
        .value_kind:     hidden_global_offset_z
      - .offset:         168
        .size:           2
        .value_kind:     hidden_grid_dims
    .group_segment_fixed_size: 4096
    .kernarg_segment_align: 8
    .kernarg_segment_size: 360
    .language:       OpenCL C
    .language_version:
      - 2
      - 0
    .max_flat_workgroup_size: 16
    .name:           _ZL31rocblas_trsm_small_right_deviceIddPKPKdPKPdLi16EEv13rocblas_fill_18rocblas_operation_17rocblas_diagonal_iiT0_T1_lilT2_lili
    .private_segment_fixed_size: 0
    .sgpr_count:     46
    .sgpr_spill_count: 0
    .symbol:         _ZL31rocblas_trsm_small_right_deviceIddPKPKdPKPdLi16EEv13rocblas_fill_18rocblas_operation_17rocblas_diagonal_iiT0_T1_lilT2_lili.kd
    .uniform_work_group_size: 1
    .uses_dynamic_stack: false
    .vgpr_count:     43
    .vgpr_spill_count: 0
    .wavefront_size: 32
    .workgroup_processor_mode: 1
  - .args:
      - .offset:         0
        .size:           4
        .value_kind:     by_value
      - .offset:         4
        .size:           4
        .value_kind:     by_value
      - .offset:         8
        .size:           4
        .value_kind:     by_value
      - .offset:         12
        .size:           4
        .value_kind:     by_value
      - .offset:         16
        .size:           4
        .value_kind:     by_value
      - .offset:         24
        .size:           8
        .value_kind:     by_value
      - .address_space:  global
        .offset:         32
        .size:           8
        .value_kind:     global_buffer
      - .offset:         40
        .size:           8
        .value_kind:     by_value
      - .offset:         48
        .size:           4
        .value_kind:     by_value
      - .offset:         56
        .size:           8
        .value_kind:     by_value
      - .address_space:  global
        .offset:         64
        .size:           8
        .value_kind:     global_buffer
      - .offset:         72
        .size:           8
        .value_kind:     by_value
      - .offset:         80
        .size:           4
        .value_kind:     by_value
      - .offset:         88
        .size:           8
        .value_kind:     by_value
      - .offset:         96
        .size:           4
        .value_kind:     by_value
      - .offset:         104
        .size:           4
        .value_kind:     hidden_block_count_x
      - .offset:         108
        .size:           4
        .value_kind:     hidden_block_count_y
      - .offset:         112
        .size:           4
        .value_kind:     hidden_block_count_z
      - .offset:         116
        .size:           2
        .value_kind:     hidden_group_size_x
      - .offset:         118
        .size:           2
        .value_kind:     hidden_group_size_y
      - .offset:         120
        .size:           2
        .value_kind:     hidden_group_size_z
      - .offset:         122
        .size:           2
        .value_kind:     hidden_remainder_x
      - .offset:         124
        .size:           2
        .value_kind:     hidden_remainder_y
      - .offset:         126
        .size:           2
        .value_kind:     hidden_remainder_z
      - .offset:         144
        .size:           8
        .value_kind:     hidden_global_offset_x
      - .offset:         152
        .size:           8
        .value_kind:     hidden_global_offset_y
      - .offset:         160
        .size:           8
        .value_kind:     hidden_global_offset_z
      - .offset:         168
        .size:           2
        .value_kind:     hidden_grid_dims
    .group_segment_fixed_size: 6400
    .kernarg_segment_align: 8
    .kernarg_segment_size: 360
    .language:       OpenCL C
    .language_version:
      - 2
      - 0
    .max_flat_workgroup_size: 20
    .name:           _ZL38rocblas_trsm_small_left_device_sharedBILi20ELi20ELb0EddPKPKdPKPdEv13rocblas_fill_18rocblas_operation_17rocblas_diagonal_iiT3_T4_lilT5_lili
    .private_segment_fixed_size: 176
    .sgpr_count:     45
    .sgpr_spill_count: 0
    .symbol:         _ZL38rocblas_trsm_small_left_device_sharedBILi20ELi20ELb0EddPKPKdPKPdEv13rocblas_fill_18rocblas_operation_17rocblas_diagonal_iiT3_T4_lilT5_lili.kd
    .uniform_work_group_size: 1
    .uses_dynamic_stack: false
    .vgpr_count:     19
    .vgpr_spill_count: 0
    .wavefront_size: 32
    .workgroup_processor_mode: 1
  - .args:
      - .offset:         0
        .size:           4
        .value_kind:     by_value
      - .offset:         4
        .size:           4
        .value_kind:     by_value
      - .offset:         8
        .size:           4
        .value_kind:     by_value
      - .offset:         12
        .size:           4
        .value_kind:     by_value
      - .offset:         16
        .size:           4
        .value_kind:     by_value
      - .offset:         24
        .size:           8
        .value_kind:     by_value
      - .address_space:  global
        .offset:         32
        .size:           8
        .value_kind:     global_buffer
      - .offset:         40
        .size:           8
        .value_kind:     by_value
      - .offset:         48
        .size:           4
        .value_kind:     by_value
      - .offset:         56
        .size:           8
        .value_kind:     by_value
      - .address_space:  global
        .offset:         64
        .size:           8
        .value_kind:     global_buffer
      - .offset:         72
        .size:           8
        .value_kind:     by_value
      - .offset:         80
        .size:           4
        .value_kind:     by_value
      - .offset:         88
        .size:           8
        .value_kind:     by_value
      - .offset:         96
        .size:           4
        .value_kind:     by_value
      - .offset:         104
        .size:           4
        .value_kind:     hidden_block_count_x
      - .offset:         108
        .size:           4
        .value_kind:     hidden_block_count_y
      - .offset:         112
        .size:           4
        .value_kind:     hidden_block_count_z
      - .offset:         116
        .size:           2
        .value_kind:     hidden_group_size_x
      - .offset:         118
        .size:           2
        .value_kind:     hidden_group_size_y
      - .offset:         120
        .size:           2
        .value_kind:     hidden_group_size_z
      - .offset:         122
        .size:           2
        .value_kind:     hidden_remainder_x
      - .offset:         124
        .size:           2
        .value_kind:     hidden_remainder_y
      - .offset:         126
        .size:           2
        .value_kind:     hidden_remainder_z
      - .offset:         144
        .size:           8
        .value_kind:     hidden_global_offset_x
      - .offset:         152
        .size:           8
        .value_kind:     hidden_global_offset_y
      - .offset:         160
        .size:           8
        .value_kind:     hidden_global_offset_z
      - .offset:         168
        .size:           2
        .value_kind:     hidden_grid_dims
    .group_segment_fixed_size: 3200
    .kernarg_segment_align: 8
    .kernarg_segment_size: 360
    .language:       OpenCL C
    .language_version:
      - 2
      - 0
    .max_flat_workgroup_size: 20
    .name:           _ZL30rocblas_trsm_small_left_deviceILi20ELi20ELb0EddPKPKdPKPdEv13rocblas_fill_18rocblas_operation_17rocblas_diagonal_iiT3_T4_lilT5_lili
    .private_segment_fixed_size: 176
    .sgpr_count:     47
    .sgpr_spill_count: 0
    .symbol:         _ZL30rocblas_trsm_small_left_deviceILi20ELi20ELb0EddPKPKdPKPdEv13rocblas_fill_18rocblas_operation_17rocblas_diagonal_iiT3_T4_lilT5_lili.kd
    .uniform_work_group_size: 1
    .uses_dynamic_stack: false
    .vgpr_count:     22
    .vgpr_spill_count: 0
    .wavefront_size: 32
    .workgroup_processor_mode: 1
  - .args:
      - .offset:         0
        .size:           4
        .value_kind:     by_value
      - .offset:         4
        .size:           4
        .value_kind:     by_value
      - .offset:         8
        .size:           4
        .value_kind:     by_value
      - .offset:         12
        .size:           4
        .value_kind:     by_value
      - .offset:         16
        .size:           4
        .value_kind:     by_value
      - .offset:         24
        .size:           8
        .value_kind:     by_value
      - .address_space:  global
        .offset:         32
        .size:           8
        .value_kind:     global_buffer
      - .offset:         40
        .size:           8
        .value_kind:     by_value
      - .offset:         48
        .size:           4
        .value_kind:     by_value
      - .offset:         56
        .size:           8
        .value_kind:     by_value
      - .address_space:  global
        .offset:         64
        .size:           8
        .value_kind:     global_buffer
      - .offset:         72
        .size:           8
        .value_kind:     by_value
      - .offset:         80
        .size:           4
        .value_kind:     by_value
      - .offset:         88
        .size:           8
        .value_kind:     by_value
      - .offset:         96
        .size:           4
        .value_kind:     by_value
      - .offset:         104
        .size:           4
        .value_kind:     hidden_block_count_x
      - .offset:         108
        .size:           4
        .value_kind:     hidden_block_count_y
      - .offset:         112
        .size:           4
        .value_kind:     hidden_block_count_z
      - .offset:         116
        .size:           2
        .value_kind:     hidden_group_size_x
      - .offset:         118
        .size:           2
        .value_kind:     hidden_group_size_y
      - .offset:         120
        .size:           2
        .value_kind:     hidden_group_size_z
      - .offset:         122
        .size:           2
        .value_kind:     hidden_remainder_x
      - .offset:         124
        .size:           2
        .value_kind:     hidden_remainder_y
      - .offset:         126
        .size:           2
        .value_kind:     hidden_remainder_z
      - .offset:         144
        .size:           8
        .value_kind:     hidden_global_offset_x
      - .offset:         152
        .size:           8
        .value_kind:     hidden_global_offset_y
      - .offset:         160
        .size:           8
        .value_kind:     hidden_global_offset_z
      - .offset:         168
        .size:           2
        .value_kind:     hidden_grid_dims
    .group_segment_fixed_size: 6400
    .kernarg_segment_align: 8
    .kernarg_segment_size: 360
    .language:       OpenCL C
    .language_version:
      - 2
      - 0
    .max_flat_workgroup_size: 20
    .name:           _ZL38rocblas_trsm_small_left_device_sharedBILi20ELi20ELb1EddPKPKdPKPdEv13rocblas_fill_18rocblas_operation_17rocblas_diagonal_iiT3_T4_lilT5_lili
    .private_segment_fixed_size: 176
    .sgpr_count:     45
    .sgpr_spill_count: 0
    .symbol:         _ZL38rocblas_trsm_small_left_device_sharedBILi20ELi20ELb1EddPKPKdPKPdEv13rocblas_fill_18rocblas_operation_17rocblas_diagonal_iiT3_T4_lilT5_lili.kd
    .uniform_work_group_size: 1
    .uses_dynamic_stack: false
    .vgpr_count:     19
    .vgpr_spill_count: 0
    .wavefront_size: 32
    .workgroup_processor_mode: 1
  - .args:
      - .offset:         0
        .size:           4
        .value_kind:     by_value
      - .offset:         4
        .size:           4
        .value_kind:     by_value
      - .offset:         8
        .size:           4
        .value_kind:     by_value
      - .offset:         12
        .size:           4
        .value_kind:     by_value
      - .offset:         16
        .size:           4
        .value_kind:     by_value
      - .offset:         24
        .size:           8
        .value_kind:     by_value
      - .address_space:  global
        .offset:         32
        .size:           8
        .value_kind:     global_buffer
      - .offset:         40
        .size:           8
        .value_kind:     by_value
      - .offset:         48
        .size:           4
        .value_kind:     by_value
      - .offset:         56
        .size:           8
        .value_kind:     by_value
      - .address_space:  global
        .offset:         64
        .size:           8
        .value_kind:     global_buffer
      - .offset:         72
        .size:           8
        .value_kind:     by_value
      - .offset:         80
        .size:           4
        .value_kind:     by_value
      - .offset:         88
        .size:           8
        .value_kind:     by_value
      - .offset:         96
        .size:           4
        .value_kind:     by_value
      - .offset:         104
        .size:           4
        .value_kind:     hidden_block_count_x
      - .offset:         108
        .size:           4
        .value_kind:     hidden_block_count_y
      - .offset:         112
        .size:           4
        .value_kind:     hidden_block_count_z
      - .offset:         116
        .size:           2
        .value_kind:     hidden_group_size_x
      - .offset:         118
        .size:           2
        .value_kind:     hidden_group_size_y
      - .offset:         120
        .size:           2
        .value_kind:     hidden_group_size_z
      - .offset:         122
        .size:           2
        .value_kind:     hidden_remainder_x
      - .offset:         124
        .size:           2
        .value_kind:     hidden_remainder_y
      - .offset:         126
        .size:           2
        .value_kind:     hidden_remainder_z
      - .offset:         144
        .size:           8
        .value_kind:     hidden_global_offset_x
      - .offset:         152
        .size:           8
        .value_kind:     hidden_global_offset_y
      - .offset:         160
        .size:           8
        .value_kind:     hidden_global_offset_z
      - .offset:         168
        .size:           2
        .value_kind:     hidden_grid_dims
    .group_segment_fixed_size: 3200
    .kernarg_segment_align: 8
    .kernarg_segment_size: 360
    .language:       OpenCL C
    .language_version:
      - 2
      - 0
    .max_flat_workgroup_size: 20
    .name:           _ZL30rocblas_trsm_small_left_deviceILi20ELi20ELb1EddPKPKdPKPdEv13rocblas_fill_18rocblas_operation_17rocblas_diagonal_iiT3_T4_lilT5_lili
    .private_segment_fixed_size: 176
    .sgpr_count:     46
    .sgpr_spill_count: 0
    .symbol:         _ZL30rocblas_trsm_small_left_deviceILi20ELi20ELb1EddPKPKdPKPdEv13rocblas_fill_18rocblas_operation_17rocblas_diagonal_iiT3_T4_lilT5_lili.kd
    .uniform_work_group_size: 1
    .uses_dynamic_stack: false
    .vgpr_count:     20
    .vgpr_spill_count: 0
    .wavefront_size: 32
    .workgroup_processor_mode: 1
  - .args:
      - .offset:         0
        .size:           4
        .value_kind:     by_value
      - .offset:         4
        .size:           4
        .value_kind:     by_value
      - .offset:         8
        .size:           4
        .value_kind:     by_value
      - .offset:         12
        .size:           4
        .value_kind:     by_value
      - .offset:         16
        .size:           4
        .value_kind:     by_value
      - .offset:         24
        .size:           8
        .value_kind:     by_value
      - .address_space:  global
        .offset:         32
        .size:           8
        .value_kind:     global_buffer
      - .offset:         40
        .size:           8
        .value_kind:     by_value
      - .offset:         48
        .size:           4
        .value_kind:     by_value
      - .offset:         56
        .size:           8
        .value_kind:     by_value
      - .address_space:  global
        .offset:         64
        .size:           8
        .value_kind:     global_buffer
      - .offset:         72
        .size:           8
        .value_kind:     by_value
      - .offset:         80
        .size:           4
        .value_kind:     by_value
      - .offset:         88
        .size:           8
        .value_kind:     by_value
      - .offset:         96
        .size:           4
        .value_kind:     by_value
      - .offset:         104
        .size:           4
        .value_kind:     hidden_block_count_x
      - .offset:         108
        .size:           4
        .value_kind:     hidden_block_count_y
      - .offset:         112
        .size:           4
        .value_kind:     hidden_block_count_z
      - .offset:         116
        .size:           2
        .value_kind:     hidden_group_size_x
      - .offset:         118
        .size:           2
        .value_kind:     hidden_group_size_y
      - .offset:         120
        .size:           2
        .value_kind:     hidden_group_size_z
      - .offset:         122
        .size:           2
        .value_kind:     hidden_remainder_x
      - .offset:         124
        .size:           2
        .value_kind:     hidden_remainder_y
      - .offset:         126
        .size:           2
        .value_kind:     hidden_remainder_z
      - .offset:         144
        .size:           8
        .value_kind:     hidden_global_offset_x
      - .offset:         152
        .size:           8
        .value_kind:     hidden_global_offset_y
      - .offset:         160
        .size:           8
        .value_kind:     hidden_global_offset_z
      - .offset:         168
        .size:           2
        .value_kind:     hidden_grid_dims
    .group_segment_fixed_size: 6400
    .kernarg_segment_align: 8
    .kernarg_segment_size: 360
    .language:       OpenCL C
    .language_version:
      - 2
      - 0
    .max_flat_workgroup_size: 20
    .name:           _ZL31rocblas_trsm_small_right_deviceIddPKPKdPKPdLi20EEv13rocblas_fill_18rocblas_operation_17rocblas_diagonal_iiT0_T1_lilT2_lili
    .private_segment_fixed_size: 0
    .sgpr_count:     45
    .sgpr_spill_count: 0
    .symbol:         _ZL31rocblas_trsm_small_right_deviceIddPKPKdPKPdLi20EEv13rocblas_fill_18rocblas_operation_17rocblas_diagonal_iiT0_T1_lilT2_lili.kd
    .uniform_work_group_size: 1
    .uses_dynamic_stack: false
    .vgpr_count:     41
    .vgpr_spill_count: 0
    .wavefront_size: 32
    .workgroup_processor_mode: 1
  - .args:
      - .offset:         0
        .size:           4
        .value_kind:     by_value
      - .offset:         4
        .size:           4
        .value_kind:     by_value
      - .offset:         8
        .size:           4
        .value_kind:     by_value
      - .offset:         12
        .size:           4
        .value_kind:     by_value
      - .offset:         16
        .size:           4
        .value_kind:     by_value
      - .offset:         24
        .size:           8
        .value_kind:     by_value
      - .address_space:  global
        .offset:         32
        .size:           8
        .value_kind:     global_buffer
      - .offset:         40
        .size:           8
        .value_kind:     by_value
      - .offset:         48
        .size:           4
        .value_kind:     by_value
      - .offset:         56
        .size:           8
        .value_kind:     by_value
      - .address_space:  global
        .offset:         64
        .size:           8
        .value_kind:     global_buffer
      - .offset:         72
        .size:           8
        .value_kind:     by_value
      - .offset:         80
        .size:           4
        .value_kind:     by_value
      - .offset:         88
        .size:           8
        .value_kind:     by_value
      - .offset:         96
        .size:           4
        .value_kind:     by_value
      - .offset:         104
        .size:           4
        .value_kind:     hidden_block_count_x
      - .offset:         108
        .size:           4
        .value_kind:     hidden_block_count_y
      - .offset:         112
        .size:           4
        .value_kind:     hidden_block_count_z
      - .offset:         116
        .size:           2
        .value_kind:     hidden_group_size_x
      - .offset:         118
        .size:           2
        .value_kind:     hidden_group_size_y
      - .offset:         120
        .size:           2
        .value_kind:     hidden_group_size_z
      - .offset:         122
        .size:           2
        .value_kind:     hidden_remainder_x
      - .offset:         124
        .size:           2
        .value_kind:     hidden_remainder_y
      - .offset:         126
        .size:           2
        .value_kind:     hidden_remainder_z
      - .offset:         144
        .size:           8
        .value_kind:     hidden_global_offset_x
      - .offset:         152
        .size:           8
        .value_kind:     hidden_global_offset_y
      - .offset:         160
        .size:           8
        .value_kind:     hidden_global_offset_z
      - .offset:         168
        .size:           2
        .value_kind:     hidden_grid_dims
    .group_segment_fixed_size: 9216
    .kernarg_segment_align: 8
    .kernarg_segment_size: 360
    .language:       OpenCL C
    .language_version:
      - 2
      - 0
    .max_flat_workgroup_size: 24
    .name:           _ZL38rocblas_trsm_small_left_device_sharedBILi24ELi24ELb0EddPKPKdPKPdEv13rocblas_fill_18rocblas_operation_17rocblas_diagonal_iiT3_T4_lilT5_lili
    .private_segment_fixed_size: 208
    .sgpr_count:     45
    .sgpr_spill_count: 0
    .symbol:         _ZL38rocblas_trsm_small_left_device_sharedBILi24ELi24ELb0EddPKPKdPKPdEv13rocblas_fill_18rocblas_operation_17rocblas_diagonal_iiT3_T4_lilT5_lili.kd
    .uniform_work_group_size: 1
    .uses_dynamic_stack: false
    .vgpr_count:     19
    .vgpr_spill_count: 0
    .wavefront_size: 32
    .workgroup_processor_mode: 1
  - .args:
      - .offset:         0
        .size:           4
        .value_kind:     by_value
      - .offset:         4
        .size:           4
        .value_kind:     by_value
      - .offset:         8
        .size:           4
        .value_kind:     by_value
      - .offset:         12
        .size:           4
        .value_kind:     by_value
      - .offset:         16
        .size:           4
        .value_kind:     by_value
      - .offset:         24
        .size:           8
        .value_kind:     by_value
      - .address_space:  global
        .offset:         32
        .size:           8
        .value_kind:     global_buffer
      - .offset:         40
        .size:           8
        .value_kind:     by_value
      - .offset:         48
        .size:           4
        .value_kind:     by_value
      - .offset:         56
        .size:           8
        .value_kind:     by_value
      - .address_space:  global
        .offset:         64
        .size:           8
        .value_kind:     global_buffer
      - .offset:         72
        .size:           8
        .value_kind:     by_value
      - .offset:         80
        .size:           4
        .value_kind:     by_value
      - .offset:         88
        .size:           8
        .value_kind:     by_value
      - .offset:         96
        .size:           4
        .value_kind:     by_value
      - .offset:         104
        .size:           4
        .value_kind:     hidden_block_count_x
      - .offset:         108
        .size:           4
        .value_kind:     hidden_block_count_y
      - .offset:         112
        .size:           4
        .value_kind:     hidden_block_count_z
      - .offset:         116
        .size:           2
        .value_kind:     hidden_group_size_x
      - .offset:         118
        .size:           2
        .value_kind:     hidden_group_size_y
      - .offset:         120
        .size:           2
        .value_kind:     hidden_group_size_z
      - .offset:         122
        .size:           2
        .value_kind:     hidden_remainder_x
      - .offset:         124
        .size:           2
        .value_kind:     hidden_remainder_y
      - .offset:         126
        .size:           2
        .value_kind:     hidden_remainder_z
      - .offset:         144
        .size:           8
        .value_kind:     hidden_global_offset_x
      - .offset:         152
        .size:           8
        .value_kind:     hidden_global_offset_y
      - .offset:         160
        .size:           8
        .value_kind:     hidden_global_offset_z
      - .offset:         168
        .size:           2
        .value_kind:     hidden_grid_dims
    .group_segment_fixed_size: 4608
    .kernarg_segment_align: 8
    .kernarg_segment_size: 360
    .language:       OpenCL C
    .language_version:
      - 2
      - 0
    .max_flat_workgroup_size: 24
    .name:           _ZL30rocblas_trsm_small_left_deviceILi24ELi24ELb0EddPKPKdPKPdEv13rocblas_fill_18rocblas_operation_17rocblas_diagonal_iiT3_T4_lilT5_lili
    .private_segment_fixed_size: 208
    .sgpr_count:     47
    .sgpr_spill_count: 0
    .symbol:         _ZL30rocblas_trsm_small_left_deviceILi24ELi24ELb0EddPKPKdPKPdEv13rocblas_fill_18rocblas_operation_17rocblas_diagonal_iiT3_T4_lilT5_lili.kd
    .uniform_work_group_size: 1
    .uses_dynamic_stack: false
    .vgpr_count:     22
    .vgpr_spill_count: 0
    .wavefront_size: 32
    .workgroup_processor_mode: 1
  - .args:
      - .offset:         0
        .size:           4
        .value_kind:     by_value
      - .offset:         4
        .size:           4
        .value_kind:     by_value
      - .offset:         8
        .size:           4
        .value_kind:     by_value
      - .offset:         12
        .size:           4
        .value_kind:     by_value
      - .offset:         16
        .size:           4
        .value_kind:     by_value
      - .offset:         24
        .size:           8
        .value_kind:     by_value
      - .address_space:  global
        .offset:         32
        .size:           8
        .value_kind:     global_buffer
      - .offset:         40
        .size:           8
        .value_kind:     by_value
      - .offset:         48
        .size:           4
        .value_kind:     by_value
      - .offset:         56
        .size:           8
        .value_kind:     by_value
      - .address_space:  global
        .offset:         64
        .size:           8
        .value_kind:     global_buffer
      - .offset:         72
        .size:           8
        .value_kind:     by_value
      - .offset:         80
        .size:           4
        .value_kind:     by_value
      - .offset:         88
        .size:           8
        .value_kind:     by_value
      - .offset:         96
        .size:           4
        .value_kind:     by_value
      - .offset:         104
        .size:           4
        .value_kind:     hidden_block_count_x
      - .offset:         108
        .size:           4
        .value_kind:     hidden_block_count_y
      - .offset:         112
        .size:           4
        .value_kind:     hidden_block_count_z
      - .offset:         116
        .size:           2
        .value_kind:     hidden_group_size_x
      - .offset:         118
        .size:           2
        .value_kind:     hidden_group_size_y
      - .offset:         120
        .size:           2
        .value_kind:     hidden_group_size_z
      - .offset:         122
        .size:           2
        .value_kind:     hidden_remainder_x
      - .offset:         124
        .size:           2
        .value_kind:     hidden_remainder_y
      - .offset:         126
        .size:           2
        .value_kind:     hidden_remainder_z
      - .offset:         144
        .size:           8
        .value_kind:     hidden_global_offset_x
      - .offset:         152
        .size:           8
        .value_kind:     hidden_global_offset_y
      - .offset:         160
        .size:           8
        .value_kind:     hidden_global_offset_z
      - .offset:         168
        .size:           2
        .value_kind:     hidden_grid_dims
    .group_segment_fixed_size: 9216
    .kernarg_segment_align: 8
    .kernarg_segment_size: 360
    .language:       OpenCL C
    .language_version:
      - 2
      - 0
    .max_flat_workgroup_size: 24
    .name:           _ZL38rocblas_trsm_small_left_device_sharedBILi24ELi24ELb1EddPKPKdPKPdEv13rocblas_fill_18rocblas_operation_17rocblas_diagonal_iiT3_T4_lilT5_lili
    .private_segment_fixed_size: 208
    .sgpr_count:     45
    .sgpr_spill_count: 0
    .symbol:         _ZL38rocblas_trsm_small_left_device_sharedBILi24ELi24ELb1EddPKPKdPKPdEv13rocblas_fill_18rocblas_operation_17rocblas_diagonal_iiT3_T4_lilT5_lili.kd
    .uniform_work_group_size: 1
    .uses_dynamic_stack: false
    .vgpr_count:     19
    .vgpr_spill_count: 0
    .wavefront_size: 32
    .workgroup_processor_mode: 1
  - .args:
      - .offset:         0
        .size:           4
        .value_kind:     by_value
      - .offset:         4
        .size:           4
        .value_kind:     by_value
      - .offset:         8
        .size:           4
        .value_kind:     by_value
      - .offset:         12
        .size:           4
        .value_kind:     by_value
      - .offset:         16
        .size:           4
        .value_kind:     by_value
      - .offset:         24
        .size:           8
        .value_kind:     by_value
      - .address_space:  global
        .offset:         32
        .size:           8
        .value_kind:     global_buffer
      - .offset:         40
        .size:           8
        .value_kind:     by_value
      - .offset:         48
        .size:           4
        .value_kind:     by_value
      - .offset:         56
        .size:           8
        .value_kind:     by_value
      - .address_space:  global
        .offset:         64
        .size:           8
        .value_kind:     global_buffer
      - .offset:         72
        .size:           8
        .value_kind:     by_value
      - .offset:         80
        .size:           4
        .value_kind:     by_value
      - .offset:         88
        .size:           8
        .value_kind:     by_value
      - .offset:         96
        .size:           4
        .value_kind:     by_value
      - .offset:         104
        .size:           4
        .value_kind:     hidden_block_count_x
      - .offset:         108
        .size:           4
        .value_kind:     hidden_block_count_y
      - .offset:         112
        .size:           4
        .value_kind:     hidden_block_count_z
      - .offset:         116
        .size:           2
        .value_kind:     hidden_group_size_x
      - .offset:         118
        .size:           2
        .value_kind:     hidden_group_size_y
      - .offset:         120
        .size:           2
        .value_kind:     hidden_group_size_z
      - .offset:         122
        .size:           2
        .value_kind:     hidden_remainder_x
      - .offset:         124
        .size:           2
        .value_kind:     hidden_remainder_y
      - .offset:         126
        .size:           2
        .value_kind:     hidden_remainder_z
      - .offset:         144
        .size:           8
        .value_kind:     hidden_global_offset_x
      - .offset:         152
        .size:           8
        .value_kind:     hidden_global_offset_y
      - .offset:         160
        .size:           8
        .value_kind:     hidden_global_offset_z
      - .offset:         168
        .size:           2
        .value_kind:     hidden_grid_dims
    .group_segment_fixed_size: 4608
    .kernarg_segment_align: 8
    .kernarg_segment_size: 360
    .language:       OpenCL C
    .language_version:
      - 2
      - 0
    .max_flat_workgroup_size: 24
    .name:           _ZL30rocblas_trsm_small_left_deviceILi24ELi24ELb1EddPKPKdPKPdEv13rocblas_fill_18rocblas_operation_17rocblas_diagonal_iiT3_T4_lilT5_lili
    .private_segment_fixed_size: 208
    .sgpr_count:     46
    .sgpr_spill_count: 0
    .symbol:         _ZL30rocblas_trsm_small_left_deviceILi24ELi24ELb1EddPKPKdPKPdEv13rocblas_fill_18rocblas_operation_17rocblas_diagonal_iiT3_T4_lilT5_lili.kd
    .uniform_work_group_size: 1
    .uses_dynamic_stack: false
    .vgpr_count:     20
    .vgpr_spill_count: 0
    .wavefront_size: 32
    .workgroup_processor_mode: 1
  - .args:
      - .offset:         0
        .size:           4
        .value_kind:     by_value
      - .offset:         4
        .size:           4
        .value_kind:     by_value
      - .offset:         8
        .size:           4
        .value_kind:     by_value
      - .offset:         12
        .size:           4
        .value_kind:     by_value
      - .offset:         16
        .size:           4
        .value_kind:     by_value
      - .offset:         24
        .size:           8
        .value_kind:     by_value
      - .address_space:  global
        .offset:         32
        .size:           8
        .value_kind:     global_buffer
      - .offset:         40
        .size:           8
        .value_kind:     by_value
      - .offset:         48
        .size:           4
        .value_kind:     by_value
      - .offset:         56
        .size:           8
        .value_kind:     by_value
      - .address_space:  global
        .offset:         64
        .size:           8
        .value_kind:     global_buffer
      - .offset:         72
        .size:           8
        .value_kind:     by_value
      - .offset:         80
        .size:           4
        .value_kind:     by_value
      - .offset:         88
        .size:           8
        .value_kind:     by_value
      - .offset:         96
        .size:           4
        .value_kind:     by_value
      - .offset:         104
        .size:           4
        .value_kind:     hidden_block_count_x
      - .offset:         108
        .size:           4
        .value_kind:     hidden_block_count_y
      - .offset:         112
        .size:           4
        .value_kind:     hidden_block_count_z
      - .offset:         116
        .size:           2
        .value_kind:     hidden_group_size_x
      - .offset:         118
        .size:           2
        .value_kind:     hidden_group_size_y
      - .offset:         120
        .size:           2
        .value_kind:     hidden_group_size_z
      - .offset:         122
        .size:           2
        .value_kind:     hidden_remainder_x
      - .offset:         124
        .size:           2
        .value_kind:     hidden_remainder_y
      - .offset:         126
        .size:           2
        .value_kind:     hidden_remainder_z
      - .offset:         144
        .size:           8
        .value_kind:     hidden_global_offset_x
      - .offset:         152
        .size:           8
        .value_kind:     hidden_global_offset_y
      - .offset:         160
        .size:           8
        .value_kind:     hidden_global_offset_z
      - .offset:         168
        .size:           2
        .value_kind:     hidden_grid_dims
    .group_segment_fixed_size: 9216
    .kernarg_segment_align: 8
    .kernarg_segment_size: 360
    .language:       OpenCL C
    .language_version:
      - 2
      - 0
    .max_flat_workgroup_size: 24
    .name:           _ZL31rocblas_trsm_small_right_deviceIddPKPKdPKPdLi24EEv13rocblas_fill_18rocblas_operation_17rocblas_diagonal_iiT0_T1_lilT2_lili
    .private_segment_fixed_size: 0
    .sgpr_count:     45
    .sgpr_spill_count: 0
    .symbol:         _ZL31rocblas_trsm_small_right_deviceIddPKPKdPKPdLi24EEv13rocblas_fill_18rocblas_operation_17rocblas_diagonal_iiT0_T1_lilT2_lili.kd
    .uniform_work_group_size: 1
    .uses_dynamic_stack: false
    .vgpr_count:     41
    .vgpr_spill_count: 0
    .wavefront_size: 32
    .workgroup_processor_mode: 1
  - .args:
      - .offset:         0
        .size:           4
        .value_kind:     by_value
      - .offset:         4
        .size:           4
        .value_kind:     by_value
      - .offset:         8
        .size:           4
        .value_kind:     by_value
      - .offset:         12
        .size:           4
        .value_kind:     by_value
      - .offset:         16
        .size:           4
        .value_kind:     by_value
      - .offset:         24
        .size:           8
        .value_kind:     by_value
      - .address_space:  global
        .offset:         32
        .size:           8
        .value_kind:     global_buffer
      - .offset:         40
        .size:           8
        .value_kind:     by_value
      - .offset:         48
        .size:           4
        .value_kind:     by_value
      - .offset:         56
        .size:           8
        .value_kind:     by_value
      - .address_space:  global
        .offset:         64
        .size:           8
        .value_kind:     global_buffer
      - .offset:         72
        .size:           8
        .value_kind:     by_value
      - .offset:         80
        .size:           4
        .value_kind:     by_value
      - .offset:         88
        .size:           8
        .value_kind:     by_value
      - .offset:         96
        .size:           4
        .value_kind:     by_value
      - .offset:         104
        .size:           4
        .value_kind:     hidden_block_count_x
      - .offset:         108
        .size:           4
        .value_kind:     hidden_block_count_y
      - .offset:         112
        .size:           4
        .value_kind:     hidden_block_count_z
      - .offset:         116
        .size:           2
        .value_kind:     hidden_group_size_x
      - .offset:         118
        .size:           2
        .value_kind:     hidden_group_size_y
      - .offset:         120
        .size:           2
        .value_kind:     hidden_group_size_z
      - .offset:         122
        .size:           2
        .value_kind:     hidden_remainder_x
      - .offset:         124
        .size:           2
        .value_kind:     hidden_remainder_y
      - .offset:         126
        .size:           2
        .value_kind:     hidden_remainder_z
      - .offset:         144
        .size:           8
        .value_kind:     hidden_global_offset_x
      - .offset:         152
        .size:           8
        .value_kind:     hidden_global_offset_y
      - .offset:         160
        .size:           8
        .value_kind:     hidden_global_offset_z
      - .offset:         168
        .size:           2
        .value_kind:     hidden_grid_dims
    .group_segment_fixed_size: 12544
    .kernarg_segment_align: 8
    .kernarg_segment_size: 360
    .language:       OpenCL C
    .language_version:
      - 2
      - 0
    .max_flat_workgroup_size: 28
    .name:           _ZL38rocblas_trsm_small_left_device_sharedBILi28ELi28ELb0EddPKPKdPKPdEv13rocblas_fill_18rocblas_operation_17rocblas_diagonal_iiT3_T4_lilT5_lili
    .private_segment_fixed_size: 240
    .sgpr_count:     45
    .sgpr_spill_count: 0
    .symbol:         _ZL38rocblas_trsm_small_left_device_sharedBILi28ELi28ELb0EddPKPKdPKPdEv13rocblas_fill_18rocblas_operation_17rocblas_diagonal_iiT3_T4_lilT5_lili.kd
    .uniform_work_group_size: 1
    .uses_dynamic_stack: false
    .vgpr_count:     19
    .vgpr_spill_count: 0
    .wavefront_size: 32
    .workgroup_processor_mode: 1
  - .args:
      - .offset:         0
        .size:           4
        .value_kind:     by_value
      - .offset:         4
        .size:           4
        .value_kind:     by_value
      - .offset:         8
        .size:           4
        .value_kind:     by_value
      - .offset:         12
        .size:           4
        .value_kind:     by_value
      - .offset:         16
        .size:           4
        .value_kind:     by_value
      - .offset:         24
        .size:           8
        .value_kind:     by_value
      - .address_space:  global
        .offset:         32
        .size:           8
        .value_kind:     global_buffer
      - .offset:         40
        .size:           8
        .value_kind:     by_value
      - .offset:         48
        .size:           4
        .value_kind:     by_value
      - .offset:         56
        .size:           8
        .value_kind:     by_value
      - .address_space:  global
        .offset:         64
        .size:           8
        .value_kind:     global_buffer
      - .offset:         72
        .size:           8
        .value_kind:     by_value
      - .offset:         80
        .size:           4
        .value_kind:     by_value
      - .offset:         88
        .size:           8
        .value_kind:     by_value
      - .offset:         96
        .size:           4
        .value_kind:     by_value
      - .offset:         104
        .size:           4
        .value_kind:     hidden_block_count_x
      - .offset:         108
        .size:           4
        .value_kind:     hidden_block_count_y
      - .offset:         112
        .size:           4
        .value_kind:     hidden_block_count_z
      - .offset:         116
        .size:           2
        .value_kind:     hidden_group_size_x
      - .offset:         118
        .size:           2
        .value_kind:     hidden_group_size_y
      - .offset:         120
        .size:           2
        .value_kind:     hidden_group_size_z
      - .offset:         122
        .size:           2
        .value_kind:     hidden_remainder_x
      - .offset:         124
        .size:           2
        .value_kind:     hidden_remainder_y
      - .offset:         126
        .size:           2
        .value_kind:     hidden_remainder_z
      - .offset:         144
        .size:           8
        .value_kind:     hidden_global_offset_x
      - .offset:         152
        .size:           8
        .value_kind:     hidden_global_offset_y
      - .offset:         160
        .size:           8
        .value_kind:     hidden_global_offset_z
      - .offset:         168
        .size:           2
        .value_kind:     hidden_grid_dims
    .group_segment_fixed_size: 6272
    .kernarg_segment_align: 8
    .kernarg_segment_size: 360
    .language:       OpenCL C
    .language_version:
      - 2
      - 0
    .max_flat_workgroup_size: 28
    .name:           _ZL30rocblas_trsm_small_left_deviceILi28ELi28ELb0EddPKPKdPKPdEv13rocblas_fill_18rocblas_operation_17rocblas_diagonal_iiT3_T4_lilT5_lili
    .private_segment_fixed_size: 240
    .sgpr_count:     47
    .sgpr_spill_count: 0
    .symbol:         _ZL30rocblas_trsm_small_left_deviceILi28ELi28ELb0EddPKPKdPKPdEv13rocblas_fill_18rocblas_operation_17rocblas_diagonal_iiT3_T4_lilT5_lili.kd
    .uniform_work_group_size: 1
    .uses_dynamic_stack: false
    .vgpr_count:     22
    .vgpr_spill_count: 0
    .wavefront_size: 32
    .workgroup_processor_mode: 1
  - .args:
      - .offset:         0
        .size:           4
        .value_kind:     by_value
      - .offset:         4
        .size:           4
        .value_kind:     by_value
      - .offset:         8
        .size:           4
        .value_kind:     by_value
      - .offset:         12
        .size:           4
        .value_kind:     by_value
      - .offset:         16
        .size:           4
        .value_kind:     by_value
      - .offset:         24
        .size:           8
        .value_kind:     by_value
      - .address_space:  global
        .offset:         32
        .size:           8
        .value_kind:     global_buffer
      - .offset:         40
        .size:           8
        .value_kind:     by_value
      - .offset:         48
        .size:           4
        .value_kind:     by_value
      - .offset:         56
        .size:           8
        .value_kind:     by_value
      - .address_space:  global
        .offset:         64
        .size:           8
        .value_kind:     global_buffer
      - .offset:         72
        .size:           8
        .value_kind:     by_value
      - .offset:         80
        .size:           4
        .value_kind:     by_value
      - .offset:         88
        .size:           8
        .value_kind:     by_value
      - .offset:         96
        .size:           4
        .value_kind:     by_value
      - .offset:         104
        .size:           4
        .value_kind:     hidden_block_count_x
      - .offset:         108
        .size:           4
        .value_kind:     hidden_block_count_y
      - .offset:         112
        .size:           4
        .value_kind:     hidden_block_count_z
      - .offset:         116
        .size:           2
        .value_kind:     hidden_group_size_x
      - .offset:         118
        .size:           2
        .value_kind:     hidden_group_size_y
      - .offset:         120
        .size:           2
        .value_kind:     hidden_group_size_z
      - .offset:         122
        .size:           2
        .value_kind:     hidden_remainder_x
      - .offset:         124
        .size:           2
        .value_kind:     hidden_remainder_y
      - .offset:         126
        .size:           2
        .value_kind:     hidden_remainder_z
      - .offset:         144
        .size:           8
        .value_kind:     hidden_global_offset_x
      - .offset:         152
        .size:           8
        .value_kind:     hidden_global_offset_y
      - .offset:         160
        .size:           8
        .value_kind:     hidden_global_offset_z
      - .offset:         168
        .size:           2
        .value_kind:     hidden_grid_dims
    .group_segment_fixed_size: 12544
    .kernarg_segment_align: 8
    .kernarg_segment_size: 360
    .language:       OpenCL C
    .language_version:
      - 2
      - 0
    .max_flat_workgroup_size: 28
    .name:           _ZL38rocblas_trsm_small_left_device_sharedBILi28ELi28ELb1EddPKPKdPKPdEv13rocblas_fill_18rocblas_operation_17rocblas_diagonal_iiT3_T4_lilT5_lili
    .private_segment_fixed_size: 240
    .sgpr_count:     45
    .sgpr_spill_count: 0
    .symbol:         _ZL38rocblas_trsm_small_left_device_sharedBILi28ELi28ELb1EddPKPKdPKPdEv13rocblas_fill_18rocblas_operation_17rocblas_diagonal_iiT3_T4_lilT5_lili.kd
    .uniform_work_group_size: 1
    .uses_dynamic_stack: false
    .vgpr_count:     19
    .vgpr_spill_count: 0
    .wavefront_size: 32
    .workgroup_processor_mode: 1
  - .args:
      - .offset:         0
        .size:           4
        .value_kind:     by_value
      - .offset:         4
        .size:           4
        .value_kind:     by_value
      - .offset:         8
        .size:           4
        .value_kind:     by_value
      - .offset:         12
        .size:           4
        .value_kind:     by_value
      - .offset:         16
        .size:           4
        .value_kind:     by_value
      - .offset:         24
        .size:           8
        .value_kind:     by_value
      - .address_space:  global
        .offset:         32
        .size:           8
        .value_kind:     global_buffer
      - .offset:         40
        .size:           8
        .value_kind:     by_value
      - .offset:         48
        .size:           4
        .value_kind:     by_value
      - .offset:         56
        .size:           8
        .value_kind:     by_value
      - .address_space:  global
        .offset:         64
        .size:           8
        .value_kind:     global_buffer
      - .offset:         72
        .size:           8
        .value_kind:     by_value
      - .offset:         80
        .size:           4
        .value_kind:     by_value
      - .offset:         88
        .size:           8
        .value_kind:     by_value
      - .offset:         96
        .size:           4
        .value_kind:     by_value
      - .offset:         104
        .size:           4
        .value_kind:     hidden_block_count_x
      - .offset:         108
        .size:           4
        .value_kind:     hidden_block_count_y
      - .offset:         112
        .size:           4
        .value_kind:     hidden_block_count_z
      - .offset:         116
        .size:           2
        .value_kind:     hidden_group_size_x
      - .offset:         118
        .size:           2
        .value_kind:     hidden_group_size_y
      - .offset:         120
        .size:           2
        .value_kind:     hidden_group_size_z
      - .offset:         122
        .size:           2
        .value_kind:     hidden_remainder_x
      - .offset:         124
        .size:           2
        .value_kind:     hidden_remainder_y
      - .offset:         126
        .size:           2
        .value_kind:     hidden_remainder_z
      - .offset:         144
        .size:           8
        .value_kind:     hidden_global_offset_x
      - .offset:         152
        .size:           8
        .value_kind:     hidden_global_offset_y
      - .offset:         160
        .size:           8
        .value_kind:     hidden_global_offset_z
      - .offset:         168
        .size:           2
        .value_kind:     hidden_grid_dims
    .group_segment_fixed_size: 6272
    .kernarg_segment_align: 8
    .kernarg_segment_size: 360
    .language:       OpenCL C
    .language_version:
      - 2
      - 0
    .max_flat_workgroup_size: 28
    .name:           _ZL30rocblas_trsm_small_left_deviceILi28ELi28ELb1EddPKPKdPKPdEv13rocblas_fill_18rocblas_operation_17rocblas_diagonal_iiT3_T4_lilT5_lili
    .private_segment_fixed_size: 240
    .sgpr_count:     46
    .sgpr_spill_count: 0
    .symbol:         _ZL30rocblas_trsm_small_left_deviceILi28ELi28ELb1EddPKPKdPKPdEv13rocblas_fill_18rocblas_operation_17rocblas_diagonal_iiT3_T4_lilT5_lili.kd
    .uniform_work_group_size: 1
    .uses_dynamic_stack: false
    .vgpr_count:     20
    .vgpr_spill_count: 0
    .wavefront_size: 32
    .workgroup_processor_mode: 1
  - .args:
      - .offset:         0
        .size:           4
        .value_kind:     by_value
      - .offset:         4
        .size:           4
        .value_kind:     by_value
      - .offset:         8
        .size:           4
        .value_kind:     by_value
      - .offset:         12
        .size:           4
        .value_kind:     by_value
      - .offset:         16
        .size:           4
        .value_kind:     by_value
      - .offset:         24
        .size:           8
        .value_kind:     by_value
      - .address_space:  global
        .offset:         32
        .size:           8
        .value_kind:     global_buffer
      - .offset:         40
        .size:           8
        .value_kind:     by_value
      - .offset:         48
        .size:           4
        .value_kind:     by_value
      - .offset:         56
        .size:           8
        .value_kind:     by_value
      - .address_space:  global
        .offset:         64
        .size:           8
        .value_kind:     global_buffer
      - .offset:         72
        .size:           8
        .value_kind:     by_value
      - .offset:         80
        .size:           4
        .value_kind:     by_value
      - .offset:         88
        .size:           8
        .value_kind:     by_value
      - .offset:         96
        .size:           4
        .value_kind:     by_value
      - .offset:         104
        .size:           4
        .value_kind:     hidden_block_count_x
      - .offset:         108
        .size:           4
        .value_kind:     hidden_block_count_y
      - .offset:         112
        .size:           4
        .value_kind:     hidden_block_count_z
      - .offset:         116
        .size:           2
        .value_kind:     hidden_group_size_x
      - .offset:         118
        .size:           2
        .value_kind:     hidden_group_size_y
      - .offset:         120
        .size:           2
        .value_kind:     hidden_group_size_z
      - .offset:         122
        .size:           2
        .value_kind:     hidden_remainder_x
      - .offset:         124
        .size:           2
        .value_kind:     hidden_remainder_y
      - .offset:         126
        .size:           2
        .value_kind:     hidden_remainder_z
      - .offset:         144
        .size:           8
        .value_kind:     hidden_global_offset_x
      - .offset:         152
        .size:           8
        .value_kind:     hidden_global_offset_y
      - .offset:         160
        .size:           8
        .value_kind:     hidden_global_offset_z
      - .offset:         168
        .size:           2
        .value_kind:     hidden_grid_dims
    .group_segment_fixed_size: 12544
    .kernarg_segment_align: 8
    .kernarg_segment_size: 360
    .language:       OpenCL C
    .language_version:
      - 2
      - 0
    .max_flat_workgroup_size: 28
    .name:           _ZL31rocblas_trsm_small_right_deviceIddPKPKdPKPdLi28EEv13rocblas_fill_18rocblas_operation_17rocblas_diagonal_iiT0_T1_lilT2_lili
    .private_segment_fixed_size: 0
    .sgpr_count:     45
    .sgpr_spill_count: 0
    .symbol:         _ZL31rocblas_trsm_small_right_deviceIddPKPKdPKPdLi28EEv13rocblas_fill_18rocblas_operation_17rocblas_diagonal_iiT0_T1_lilT2_lili.kd
    .uniform_work_group_size: 1
    .uses_dynamic_stack: false
    .vgpr_count:     41
    .vgpr_spill_count: 0
    .wavefront_size: 32
    .workgroup_processor_mode: 1
  - .args:
      - .offset:         0
        .size:           4
        .value_kind:     by_value
      - .offset:         4
        .size:           4
        .value_kind:     by_value
      - .offset:         8
        .size:           4
        .value_kind:     by_value
      - .offset:         12
        .size:           4
        .value_kind:     by_value
      - .offset:         16
        .size:           4
        .value_kind:     by_value
      - .offset:         24
        .size:           8
        .value_kind:     by_value
      - .address_space:  global
        .offset:         32
        .size:           8
        .value_kind:     global_buffer
      - .offset:         40
        .size:           8
        .value_kind:     by_value
      - .offset:         48
        .size:           4
        .value_kind:     by_value
      - .offset:         56
        .size:           8
        .value_kind:     by_value
      - .address_space:  global
        .offset:         64
        .size:           8
        .value_kind:     global_buffer
      - .offset:         72
        .size:           8
        .value_kind:     by_value
      - .offset:         80
        .size:           4
        .value_kind:     by_value
      - .offset:         88
        .size:           8
        .value_kind:     by_value
      - .offset:         96
        .size:           4
        .value_kind:     by_value
      - .offset:         104
        .size:           4
        .value_kind:     hidden_block_count_x
      - .offset:         108
        .size:           4
        .value_kind:     hidden_block_count_y
      - .offset:         112
        .size:           4
        .value_kind:     hidden_block_count_z
      - .offset:         116
        .size:           2
        .value_kind:     hidden_group_size_x
      - .offset:         118
        .size:           2
        .value_kind:     hidden_group_size_y
      - .offset:         120
        .size:           2
        .value_kind:     hidden_group_size_z
      - .offset:         122
        .size:           2
        .value_kind:     hidden_remainder_x
      - .offset:         124
        .size:           2
        .value_kind:     hidden_remainder_y
      - .offset:         126
        .size:           2
        .value_kind:     hidden_remainder_z
      - .offset:         144
        .size:           8
        .value_kind:     hidden_global_offset_x
      - .offset:         152
        .size:           8
        .value_kind:     hidden_global_offset_y
      - .offset:         160
        .size:           8
        .value_kind:     hidden_global_offset_z
      - .offset:         168
        .size:           2
        .value_kind:     hidden_grid_dims
    .group_segment_fixed_size: 16384
    .kernarg_segment_align: 8
    .kernarg_segment_size: 360
    .language:       OpenCL C
    .language_version:
      - 2
      - 0
    .max_flat_workgroup_size: 32
    .name:           _ZL38rocblas_trsm_small_left_device_sharedBILi32ELi32ELb0EddPKPKdPKPdEv13rocblas_fill_18rocblas_operation_17rocblas_diagonal_iiT3_T4_lilT5_lili
    .private_segment_fixed_size: 272
    .sgpr_count:     45
    .sgpr_spill_count: 0
    .symbol:         _ZL38rocblas_trsm_small_left_device_sharedBILi32ELi32ELb0EddPKPKdPKPdEv13rocblas_fill_18rocblas_operation_17rocblas_diagonal_iiT3_T4_lilT5_lili.kd
    .uniform_work_group_size: 1
    .uses_dynamic_stack: false
    .vgpr_count:     19
    .vgpr_spill_count: 0
    .wavefront_size: 32
    .workgroup_processor_mode: 1
  - .args:
      - .offset:         0
        .size:           4
        .value_kind:     by_value
      - .offset:         4
        .size:           4
        .value_kind:     by_value
      - .offset:         8
        .size:           4
        .value_kind:     by_value
      - .offset:         12
        .size:           4
        .value_kind:     by_value
      - .offset:         16
        .size:           4
        .value_kind:     by_value
      - .offset:         24
        .size:           8
        .value_kind:     by_value
      - .address_space:  global
        .offset:         32
        .size:           8
        .value_kind:     global_buffer
      - .offset:         40
        .size:           8
        .value_kind:     by_value
      - .offset:         48
        .size:           4
        .value_kind:     by_value
      - .offset:         56
        .size:           8
        .value_kind:     by_value
      - .address_space:  global
        .offset:         64
        .size:           8
        .value_kind:     global_buffer
      - .offset:         72
        .size:           8
        .value_kind:     by_value
      - .offset:         80
        .size:           4
        .value_kind:     by_value
      - .offset:         88
        .size:           8
        .value_kind:     by_value
      - .offset:         96
        .size:           4
        .value_kind:     by_value
      - .offset:         104
        .size:           4
        .value_kind:     hidden_block_count_x
      - .offset:         108
        .size:           4
        .value_kind:     hidden_block_count_y
      - .offset:         112
        .size:           4
        .value_kind:     hidden_block_count_z
      - .offset:         116
        .size:           2
        .value_kind:     hidden_group_size_x
      - .offset:         118
        .size:           2
        .value_kind:     hidden_group_size_y
      - .offset:         120
        .size:           2
        .value_kind:     hidden_group_size_z
      - .offset:         122
        .size:           2
        .value_kind:     hidden_remainder_x
      - .offset:         124
        .size:           2
        .value_kind:     hidden_remainder_y
      - .offset:         126
        .size:           2
        .value_kind:     hidden_remainder_z
      - .offset:         144
        .size:           8
        .value_kind:     hidden_global_offset_x
      - .offset:         152
        .size:           8
        .value_kind:     hidden_global_offset_y
      - .offset:         160
        .size:           8
        .value_kind:     hidden_global_offset_z
      - .offset:         168
        .size:           2
        .value_kind:     hidden_grid_dims
    .group_segment_fixed_size: 8192
    .kernarg_segment_align: 8
    .kernarg_segment_size: 360
    .language:       OpenCL C
    .language_version:
      - 2
      - 0
    .max_flat_workgroup_size: 32
    .name:           _ZL30rocblas_trsm_small_left_deviceILi32ELi32ELb0EddPKPKdPKPdEv13rocblas_fill_18rocblas_operation_17rocblas_diagonal_iiT3_T4_lilT5_lili
    .private_segment_fixed_size: 272
    .sgpr_count:     47
    .sgpr_spill_count: 0
    .symbol:         _ZL30rocblas_trsm_small_left_deviceILi32ELi32ELb0EddPKPKdPKPdEv13rocblas_fill_18rocblas_operation_17rocblas_diagonal_iiT3_T4_lilT5_lili.kd
    .uniform_work_group_size: 1
    .uses_dynamic_stack: false
    .vgpr_count:     22
    .vgpr_spill_count: 0
    .wavefront_size: 32
    .workgroup_processor_mode: 1
  - .args:
      - .offset:         0
        .size:           4
        .value_kind:     by_value
      - .offset:         4
        .size:           4
        .value_kind:     by_value
      - .offset:         8
        .size:           4
        .value_kind:     by_value
      - .offset:         12
        .size:           4
        .value_kind:     by_value
      - .offset:         16
        .size:           4
        .value_kind:     by_value
      - .offset:         24
        .size:           8
        .value_kind:     by_value
      - .address_space:  global
        .offset:         32
        .size:           8
        .value_kind:     global_buffer
      - .offset:         40
        .size:           8
        .value_kind:     by_value
      - .offset:         48
        .size:           4
        .value_kind:     by_value
      - .offset:         56
        .size:           8
        .value_kind:     by_value
      - .address_space:  global
        .offset:         64
        .size:           8
        .value_kind:     global_buffer
      - .offset:         72
        .size:           8
        .value_kind:     by_value
      - .offset:         80
        .size:           4
        .value_kind:     by_value
      - .offset:         88
        .size:           8
        .value_kind:     by_value
      - .offset:         96
        .size:           4
        .value_kind:     by_value
      - .offset:         104
        .size:           4
        .value_kind:     hidden_block_count_x
      - .offset:         108
        .size:           4
        .value_kind:     hidden_block_count_y
      - .offset:         112
        .size:           4
        .value_kind:     hidden_block_count_z
      - .offset:         116
        .size:           2
        .value_kind:     hidden_group_size_x
      - .offset:         118
        .size:           2
        .value_kind:     hidden_group_size_y
      - .offset:         120
        .size:           2
        .value_kind:     hidden_group_size_z
      - .offset:         122
        .size:           2
        .value_kind:     hidden_remainder_x
      - .offset:         124
        .size:           2
        .value_kind:     hidden_remainder_y
      - .offset:         126
        .size:           2
        .value_kind:     hidden_remainder_z
      - .offset:         144
        .size:           8
        .value_kind:     hidden_global_offset_x
      - .offset:         152
        .size:           8
        .value_kind:     hidden_global_offset_y
      - .offset:         160
        .size:           8
        .value_kind:     hidden_global_offset_z
      - .offset:         168
        .size:           2
        .value_kind:     hidden_grid_dims
    .group_segment_fixed_size: 16384
    .kernarg_segment_align: 8
    .kernarg_segment_size: 360
    .language:       OpenCL C
    .language_version:
      - 2
      - 0
    .max_flat_workgroup_size: 32
    .name:           _ZL38rocblas_trsm_small_left_device_sharedBILi32ELi32ELb1EddPKPKdPKPdEv13rocblas_fill_18rocblas_operation_17rocblas_diagonal_iiT3_T4_lilT5_lili
    .private_segment_fixed_size: 272
    .sgpr_count:     45
    .sgpr_spill_count: 0
    .symbol:         _ZL38rocblas_trsm_small_left_device_sharedBILi32ELi32ELb1EddPKPKdPKPdEv13rocblas_fill_18rocblas_operation_17rocblas_diagonal_iiT3_T4_lilT5_lili.kd
    .uniform_work_group_size: 1
    .uses_dynamic_stack: false
    .vgpr_count:     19
    .vgpr_spill_count: 0
    .wavefront_size: 32
    .workgroup_processor_mode: 1
  - .args:
      - .offset:         0
        .size:           4
        .value_kind:     by_value
      - .offset:         4
        .size:           4
        .value_kind:     by_value
      - .offset:         8
        .size:           4
        .value_kind:     by_value
      - .offset:         12
        .size:           4
        .value_kind:     by_value
      - .offset:         16
        .size:           4
        .value_kind:     by_value
      - .offset:         24
        .size:           8
        .value_kind:     by_value
      - .address_space:  global
        .offset:         32
        .size:           8
        .value_kind:     global_buffer
      - .offset:         40
        .size:           8
        .value_kind:     by_value
      - .offset:         48
        .size:           4
        .value_kind:     by_value
      - .offset:         56
        .size:           8
        .value_kind:     by_value
      - .address_space:  global
        .offset:         64
        .size:           8
        .value_kind:     global_buffer
      - .offset:         72
        .size:           8
        .value_kind:     by_value
      - .offset:         80
        .size:           4
        .value_kind:     by_value
      - .offset:         88
        .size:           8
        .value_kind:     by_value
      - .offset:         96
        .size:           4
        .value_kind:     by_value
      - .offset:         104
        .size:           4
        .value_kind:     hidden_block_count_x
      - .offset:         108
        .size:           4
        .value_kind:     hidden_block_count_y
      - .offset:         112
        .size:           4
        .value_kind:     hidden_block_count_z
      - .offset:         116
        .size:           2
        .value_kind:     hidden_group_size_x
      - .offset:         118
        .size:           2
        .value_kind:     hidden_group_size_y
      - .offset:         120
        .size:           2
        .value_kind:     hidden_group_size_z
      - .offset:         122
        .size:           2
        .value_kind:     hidden_remainder_x
      - .offset:         124
        .size:           2
        .value_kind:     hidden_remainder_y
      - .offset:         126
        .size:           2
        .value_kind:     hidden_remainder_z
      - .offset:         144
        .size:           8
        .value_kind:     hidden_global_offset_x
      - .offset:         152
        .size:           8
        .value_kind:     hidden_global_offset_y
      - .offset:         160
        .size:           8
        .value_kind:     hidden_global_offset_z
      - .offset:         168
        .size:           2
        .value_kind:     hidden_grid_dims
    .group_segment_fixed_size: 8192
    .kernarg_segment_align: 8
    .kernarg_segment_size: 360
    .language:       OpenCL C
    .language_version:
      - 2
      - 0
    .max_flat_workgroup_size: 32
    .name:           _ZL30rocblas_trsm_small_left_deviceILi32ELi32ELb1EddPKPKdPKPdEv13rocblas_fill_18rocblas_operation_17rocblas_diagonal_iiT3_T4_lilT5_lili
    .private_segment_fixed_size: 272
    .sgpr_count:     46
    .sgpr_spill_count: 0
    .symbol:         _ZL30rocblas_trsm_small_left_deviceILi32ELi32ELb1EddPKPKdPKPdEv13rocblas_fill_18rocblas_operation_17rocblas_diagonal_iiT3_T4_lilT5_lili.kd
    .uniform_work_group_size: 1
    .uses_dynamic_stack: false
    .vgpr_count:     20
    .vgpr_spill_count: 0
    .wavefront_size: 32
    .workgroup_processor_mode: 1
  - .args:
      - .offset:         0
        .size:           4
        .value_kind:     by_value
      - .offset:         4
        .size:           4
        .value_kind:     by_value
      - .offset:         8
        .size:           4
        .value_kind:     by_value
      - .offset:         12
        .size:           4
        .value_kind:     by_value
      - .offset:         16
        .size:           4
        .value_kind:     by_value
      - .offset:         24
        .size:           8
        .value_kind:     by_value
      - .address_space:  global
        .offset:         32
        .size:           8
        .value_kind:     global_buffer
      - .offset:         40
        .size:           8
        .value_kind:     by_value
      - .offset:         48
        .size:           4
        .value_kind:     by_value
      - .offset:         56
        .size:           8
        .value_kind:     by_value
      - .address_space:  global
        .offset:         64
        .size:           8
        .value_kind:     global_buffer
      - .offset:         72
        .size:           8
        .value_kind:     by_value
      - .offset:         80
        .size:           4
        .value_kind:     by_value
      - .offset:         88
        .size:           8
        .value_kind:     by_value
      - .offset:         96
        .size:           4
        .value_kind:     by_value
      - .offset:         104
        .size:           4
        .value_kind:     hidden_block_count_x
      - .offset:         108
        .size:           4
        .value_kind:     hidden_block_count_y
      - .offset:         112
        .size:           4
        .value_kind:     hidden_block_count_z
      - .offset:         116
        .size:           2
        .value_kind:     hidden_group_size_x
      - .offset:         118
        .size:           2
        .value_kind:     hidden_group_size_y
      - .offset:         120
        .size:           2
        .value_kind:     hidden_group_size_z
      - .offset:         122
        .size:           2
        .value_kind:     hidden_remainder_x
      - .offset:         124
        .size:           2
        .value_kind:     hidden_remainder_y
      - .offset:         126
        .size:           2
        .value_kind:     hidden_remainder_z
      - .offset:         144
        .size:           8
        .value_kind:     hidden_global_offset_x
      - .offset:         152
        .size:           8
        .value_kind:     hidden_global_offset_y
      - .offset:         160
        .size:           8
        .value_kind:     hidden_global_offset_z
      - .offset:         168
        .size:           2
        .value_kind:     hidden_grid_dims
    .group_segment_fixed_size: 16384
    .kernarg_segment_align: 8
    .kernarg_segment_size: 360
    .language:       OpenCL C
    .language_version:
      - 2
      - 0
    .max_flat_workgroup_size: 32
    .name:           _ZL31rocblas_trsm_small_right_deviceIddPKPKdPKPdLi32EEv13rocblas_fill_18rocblas_operation_17rocblas_diagonal_iiT0_T1_lilT2_lili
    .private_segment_fixed_size: 0
    .sgpr_count:     46
    .sgpr_spill_count: 0
    .symbol:         _ZL31rocblas_trsm_small_right_deviceIddPKPKdPKPdLi32EEv13rocblas_fill_18rocblas_operation_17rocblas_diagonal_iiT0_T1_lilT2_lili.kd
    .uniform_work_group_size: 1
    .uses_dynamic_stack: false
    .vgpr_count:     43
    .vgpr_spill_count: 0
    .wavefront_size: 32
    .workgroup_processor_mode: 1
  - .args:
      - .offset:         0
        .size:           4
        .value_kind:     by_value
      - .offset:         4
        .size:           4
        .value_kind:     by_value
      - .offset:         8
        .size:           4
        .value_kind:     by_value
      - .offset:         12
        .size:           4
        .value_kind:     by_value
      - .offset:         16
        .size:           4
        .value_kind:     by_value
      - .offset:         24
        .size:           8
        .value_kind:     by_value
      - .address_space:  global
        .offset:         32
        .size:           8
        .value_kind:     global_buffer
      - .offset:         40
        .size:           8
        .value_kind:     by_value
      - .offset:         48
        .size:           4
        .value_kind:     by_value
      - .offset:         56
        .size:           8
        .value_kind:     by_value
      - .address_space:  global
        .offset:         64
        .size:           8
        .value_kind:     global_buffer
      - .offset:         72
        .size:           8
        .value_kind:     by_value
      - .offset:         80
        .size:           4
        .value_kind:     by_value
      - .offset:         88
        .size:           8
        .value_kind:     by_value
      - .offset:         96
        .size:           4
        .value_kind:     by_value
      - .offset:         104
        .size:           4
        .value_kind:     hidden_block_count_x
      - .offset:         108
        .size:           4
        .value_kind:     hidden_block_count_y
      - .offset:         112
        .size:           4
        .value_kind:     hidden_block_count_z
      - .offset:         116
        .size:           2
        .value_kind:     hidden_group_size_x
      - .offset:         118
        .size:           2
        .value_kind:     hidden_group_size_y
      - .offset:         120
        .size:           2
        .value_kind:     hidden_group_size_z
      - .offset:         122
        .size:           2
        .value_kind:     hidden_remainder_x
      - .offset:         124
        .size:           2
        .value_kind:     hidden_remainder_y
      - .offset:         126
        .size:           2
        .value_kind:     hidden_remainder_z
      - .offset:         144
        .size:           8
        .value_kind:     hidden_global_offset_x
      - .offset:         152
        .size:           8
        .value_kind:     hidden_global_offset_y
      - .offset:         160
        .size:           8
        .value_kind:     hidden_global_offset_z
      - .offset:         168
        .size:           2
        .value_kind:     hidden_grid_dims
    .group_segment_fixed_size: 65536
    .kernarg_segment_align: 8
    .kernarg_segment_size: 360
    .language:       OpenCL C
    .language_version:
      - 2
      - 0
    .max_flat_workgroup_size: 64
    .name:           _ZL38rocblas_trsm_small_left_device_sharedBILi64ELi32ELb0EddPKPKdPKPdEv13rocblas_fill_18rocblas_operation_17rocblas_diagonal_iiT3_T4_lilT5_lili
    .private_segment_fixed_size: 272
    .sgpr_count:     45
    .sgpr_spill_count: 0
    .symbol:         _ZL38rocblas_trsm_small_left_device_sharedBILi64ELi32ELb0EddPKPKdPKPdEv13rocblas_fill_18rocblas_operation_17rocblas_diagonal_iiT3_T4_lilT5_lili.kd
    .uniform_work_group_size: 1
    .uses_dynamic_stack: false
    .vgpr_count:     19
    .vgpr_spill_count: 0
    .wavefront_size: 32
    .workgroup_processor_mode: 1
  - .args:
      - .offset:         0
        .size:           4
        .value_kind:     by_value
      - .offset:         4
        .size:           4
        .value_kind:     by_value
      - .offset:         8
        .size:           4
        .value_kind:     by_value
      - .offset:         12
        .size:           4
        .value_kind:     by_value
      - .offset:         16
        .size:           4
        .value_kind:     by_value
      - .offset:         24
        .size:           8
        .value_kind:     by_value
      - .address_space:  global
        .offset:         32
        .size:           8
        .value_kind:     global_buffer
      - .offset:         40
        .size:           8
        .value_kind:     by_value
      - .offset:         48
        .size:           4
        .value_kind:     by_value
      - .offset:         56
        .size:           8
        .value_kind:     by_value
      - .address_space:  global
        .offset:         64
        .size:           8
        .value_kind:     global_buffer
      - .offset:         72
        .size:           8
        .value_kind:     by_value
      - .offset:         80
        .size:           4
        .value_kind:     by_value
      - .offset:         88
        .size:           8
        .value_kind:     by_value
      - .offset:         96
        .size:           4
        .value_kind:     by_value
      - .offset:         104
        .size:           4
        .value_kind:     hidden_block_count_x
      - .offset:         108
        .size:           4
        .value_kind:     hidden_block_count_y
      - .offset:         112
        .size:           4
        .value_kind:     hidden_block_count_z
      - .offset:         116
        .size:           2
        .value_kind:     hidden_group_size_x
      - .offset:         118
        .size:           2
        .value_kind:     hidden_group_size_y
      - .offset:         120
        .size:           2
        .value_kind:     hidden_group_size_z
      - .offset:         122
        .size:           2
        .value_kind:     hidden_remainder_x
      - .offset:         124
        .size:           2
        .value_kind:     hidden_remainder_y
      - .offset:         126
        .size:           2
        .value_kind:     hidden_remainder_z
      - .offset:         144
        .size:           8
        .value_kind:     hidden_global_offset_x
      - .offset:         152
        .size:           8
        .value_kind:     hidden_global_offset_y
      - .offset:         160
        .size:           8
        .value_kind:     hidden_global_offset_z
      - .offset:         168
        .size:           2
        .value_kind:     hidden_grid_dims
    .group_segment_fixed_size: 32768
    .kernarg_segment_align: 8
    .kernarg_segment_size: 360
    .language:       OpenCL C
    .language_version:
      - 2
      - 0
    .max_flat_workgroup_size: 64
    .name:           _ZL30rocblas_trsm_small_left_deviceILi64ELi32ELb0EddPKPKdPKPdEv13rocblas_fill_18rocblas_operation_17rocblas_diagonal_iiT3_T4_lilT5_lili
    .private_segment_fixed_size: 272
    .sgpr_count:     47
    .sgpr_spill_count: 0
    .symbol:         _ZL30rocblas_trsm_small_left_deviceILi64ELi32ELb0EddPKPKdPKPdEv13rocblas_fill_18rocblas_operation_17rocblas_diagonal_iiT3_T4_lilT5_lili.kd
    .uniform_work_group_size: 1
    .uses_dynamic_stack: false
    .vgpr_count:     22
    .vgpr_spill_count: 0
    .wavefront_size: 32
    .workgroup_processor_mode: 1
  - .args:
      - .offset:         0
        .size:           4
        .value_kind:     by_value
      - .offset:         4
        .size:           4
        .value_kind:     by_value
      - .offset:         8
        .size:           4
        .value_kind:     by_value
      - .offset:         12
        .size:           4
        .value_kind:     by_value
      - .offset:         16
        .size:           4
        .value_kind:     by_value
      - .offset:         24
        .size:           8
        .value_kind:     by_value
      - .address_space:  global
        .offset:         32
        .size:           8
        .value_kind:     global_buffer
      - .offset:         40
        .size:           8
        .value_kind:     by_value
      - .offset:         48
        .size:           4
        .value_kind:     by_value
      - .offset:         56
        .size:           8
        .value_kind:     by_value
      - .address_space:  global
        .offset:         64
        .size:           8
        .value_kind:     global_buffer
      - .offset:         72
        .size:           8
        .value_kind:     by_value
      - .offset:         80
        .size:           4
        .value_kind:     by_value
      - .offset:         88
        .size:           8
        .value_kind:     by_value
      - .offset:         96
        .size:           4
        .value_kind:     by_value
      - .offset:         104
        .size:           4
        .value_kind:     hidden_block_count_x
      - .offset:         108
        .size:           4
        .value_kind:     hidden_block_count_y
      - .offset:         112
        .size:           4
        .value_kind:     hidden_block_count_z
      - .offset:         116
        .size:           2
        .value_kind:     hidden_group_size_x
      - .offset:         118
        .size:           2
        .value_kind:     hidden_group_size_y
      - .offset:         120
        .size:           2
        .value_kind:     hidden_group_size_z
      - .offset:         122
        .size:           2
        .value_kind:     hidden_remainder_x
      - .offset:         124
        .size:           2
        .value_kind:     hidden_remainder_y
      - .offset:         126
        .size:           2
        .value_kind:     hidden_remainder_z
      - .offset:         144
        .size:           8
        .value_kind:     hidden_global_offset_x
      - .offset:         152
        .size:           8
        .value_kind:     hidden_global_offset_y
      - .offset:         160
        .size:           8
        .value_kind:     hidden_global_offset_z
      - .offset:         168
        .size:           2
        .value_kind:     hidden_grid_dims
    .group_segment_fixed_size: 65536
    .kernarg_segment_align: 8
    .kernarg_segment_size: 360
    .language:       OpenCL C
    .language_version:
      - 2
      - 0
    .max_flat_workgroup_size: 64
    .name:           _ZL38rocblas_trsm_small_left_device_sharedBILi64ELi32ELb1EddPKPKdPKPdEv13rocblas_fill_18rocblas_operation_17rocblas_diagonal_iiT3_T4_lilT5_lili
    .private_segment_fixed_size: 272
    .sgpr_count:     45
    .sgpr_spill_count: 0
    .symbol:         _ZL38rocblas_trsm_small_left_device_sharedBILi64ELi32ELb1EddPKPKdPKPdEv13rocblas_fill_18rocblas_operation_17rocblas_diagonal_iiT3_T4_lilT5_lili.kd
    .uniform_work_group_size: 1
    .uses_dynamic_stack: false
    .vgpr_count:     19
    .vgpr_spill_count: 0
    .wavefront_size: 32
    .workgroup_processor_mode: 1
  - .args:
      - .offset:         0
        .size:           4
        .value_kind:     by_value
      - .offset:         4
        .size:           4
        .value_kind:     by_value
      - .offset:         8
        .size:           4
        .value_kind:     by_value
      - .offset:         12
        .size:           4
        .value_kind:     by_value
      - .offset:         16
        .size:           4
        .value_kind:     by_value
      - .offset:         24
        .size:           8
        .value_kind:     by_value
      - .address_space:  global
        .offset:         32
        .size:           8
        .value_kind:     global_buffer
      - .offset:         40
        .size:           8
        .value_kind:     by_value
      - .offset:         48
        .size:           4
        .value_kind:     by_value
      - .offset:         56
        .size:           8
        .value_kind:     by_value
      - .address_space:  global
        .offset:         64
        .size:           8
        .value_kind:     global_buffer
      - .offset:         72
        .size:           8
        .value_kind:     by_value
      - .offset:         80
        .size:           4
        .value_kind:     by_value
      - .offset:         88
        .size:           8
        .value_kind:     by_value
      - .offset:         96
        .size:           4
        .value_kind:     by_value
      - .offset:         104
        .size:           4
        .value_kind:     hidden_block_count_x
      - .offset:         108
        .size:           4
        .value_kind:     hidden_block_count_y
      - .offset:         112
        .size:           4
        .value_kind:     hidden_block_count_z
      - .offset:         116
        .size:           2
        .value_kind:     hidden_group_size_x
      - .offset:         118
        .size:           2
        .value_kind:     hidden_group_size_y
      - .offset:         120
        .size:           2
        .value_kind:     hidden_group_size_z
      - .offset:         122
        .size:           2
        .value_kind:     hidden_remainder_x
      - .offset:         124
        .size:           2
        .value_kind:     hidden_remainder_y
      - .offset:         126
        .size:           2
        .value_kind:     hidden_remainder_z
      - .offset:         144
        .size:           8
        .value_kind:     hidden_global_offset_x
      - .offset:         152
        .size:           8
        .value_kind:     hidden_global_offset_y
      - .offset:         160
        .size:           8
        .value_kind:     hidden_global_offset_z
      - .offset:         168
        .size:           2
        .value_kind:     hidden_grid_dims
    .group_segment_fixed_size: 32768
    .kernarg_segment_align: 8
    .kernarg_segment_size: 360
    .language:       OpenCL C
    .language_version:
      - 2
      - 0
    .max_flat_workgroup_size: 64
    .name:           _ZL30rocblas_trsm_small_left_deviceILi64ELi32ELb1EddPKPKdPKPdEv13rocblas_fill_18rocblas_operation_17rocblas_diagonal_iiT3_T4_lilT5_lili
    .private_segment_fixed_size: 272
    .sgpr_count:     46
    .sgpr_spill_count: 0
    .symbol:         _ZL30rocblas_trsm_small_left_deviceILi64ELi32ELb1EddPKPKdPKPdEv13rocblas_fill_18rocblas_operation_17rocblas_diagonal_iiT3_T4_lilT5_lili.kd
    .uniform_work_group_size: 1
    .uses_dynamic_stack: false
    .vgpr_count:     20
    .vgpr_spill_count: 0
    .wavefront_size: 32
    .workgroup_processor_mode: 1
  - .args:
      - .offset:         0
        .size:           4
        .value_kind:     by_value
      - .offset:         4
        .size:           4
        .value_kind:     by_value
      - .offset:         8
        .size:           4
        .value_kind:     by_value
      - .offset:         12
        .size:           4
        .value_kind:     by_value
      - .offset:         16
        .size:           4
        .value_kind:     by_value
      - .offset:         24
        .size:           8
        .value_kind:     by_value
      - .address_space:  global
        .offset:         32
        .size:           8
        .value_kind:     global_buffer
      - .offset:         40
        .size:           8
        .value_kind:     by_value
      - .offset:         48
        .size:           4
        .value_kind:     by_value
      - .offset:         56
        .size:           8
        .value_kind:     by_value
      - .address_space:  global
        .offset:         64
        .size:           8
        .value_kind:     global_buffer
      - .offset:         72
        .size:           8
        .value_kind:     by_value
      - .offset:         80
        .size:           4
        .value_kind:     by_value
      - .offset:         88
        .size:           8
        .value_kind:     by_value
      - .offset:         96
        .size:           4
        .value_kind:     by_value
      - .offset:         104
        .size:           4
        .value_kind:     hidden_block_count_x
      - .offset:         108
        .size:           4
        .value_kind:     hidden_block_count_y
      - .offset:         112
        .size:           4
        .value_kind:     hidden_block_count_z
      - .offset:         116
        .size:           2
        .value_kind:     hidden_group_size_x
      - .offset:         118
        .size:           2
        .value_kind:     hidden_group_size_y
      - .offset:         120
        .size:           2
        .value_kind:     hidden_group_size_z
      - .offset:         122
        .size:           2
        .value_kind:     hidden_remainder_x
      - .offset:         124
        .size:           2
        .value_kind:     hidden_remainder_y
      - .offset:         126
        .size:           2
        .value_kind:     hidden_remainder_z
      - .offset:         144
        .size:           8
        .value_kind:     hidden_global_offset_x
      - .offset:         152
        .size:           8
        .value_kind:     hidden_global_offset_y
      - .offset:         160
        .size:           8
        .value_kind:     hidden_global_offset_z
      - .offset:         168
        .size:           2
        .value_kind:     hidden_grid_dims
    .group_segment_fixed_size: 65536
    .kernarg_segment_align: 8
    .kernarg_segment_size: 360
    .language:       OpenCL C
    .language_version:
      - 2
      - 0
    .max_flat_workgroup_size: 64
    .name:           _ZL31rocblas_trsm_small_right_deviceIddPKPKdPKPdLi64EEv13rocblas_fill_18rocblas_operation_17rocblas_diagonal_iiT0_T1_lilT2_lili
    .private_segment_fixed_size: 0
    .sgpr_count:     46
    .sgpr_spill_count: 0
    .symbol:         _ZL31rocblas_trsm_small_right_deviceIddPKPKdPKPdLi64EEv13rocblas_fill_18rocblas_operation_17rocblas_diagonal_iiT0_T1_lilT2_lili.kd
    .uniform_work_group_size: 1
    .uses_dynamic_stack: false
    .vgpr_count:     43
    .vgpr_spill_count: 0
    .wavefront_size: 32
    .workgroup_processor_mode: 1
  - .args:
      - .offset:         0
        .size:           4
        .value_kind:     by_value
      - .offset:         8
        .size:           8
        .value_kind:     by_value
      - .offset:         16
        .size:           8
        .value_kind:     by_value
      - .offset:         24
        .size:           8
        .value_kind:     by_value
      - .address_space:  global
        .offset:         32
        .size:           8
        .value_kind:     global_buffer
      - .offset:         40
        .size:           8
        .value_kind:     by_value
      - .offset:         48
        .size:           8
        .value_kind:     by_value
      - .offset:         56
        .size:           8
        .value_kind:     by_value
      - .address_space:  global
        .offset:         64
        .size:           8
        .value_kind:     global_buffer
      - .offset:         72
        .size:           8
        .value_kind:     by_value
      - .offset:         80
        .size:           8
        .value_kind:     by_value
      - .offset:         88
        .size:           8
        .value_kind:     by_value
      - .offset:         96
        .size:           4
        .value_kind:     by_value
      - .offset:         100
        .size:           1
        .value_kind:     by_value
      - .offset:         104
        .size:           4
        .value_kind:     hidden_block_count_x
      - .offset:         108
        .size:           4
        .value_kind:     hidden_block_count_y
      - .offset:         112
        .size:           4
        .value_kind:     hidden_block_count_z
      - .offset:         116
        .size:           2
        .value_kind:     hidden_group_size_x
      - .offset:         118
        .size:           2
        .value_kind:     hidden_group_size_y
      - .offset:         120
        .size:           2
        .value_kind:     hidden_group_size_z
      - .offset:         122
        .size:           2
        .value_kind:     hidden_remainder_x
      - .offset:         124
        .size:           2
        .value_kind:     hidden_remainder_y
      - .offset:         126
        .size:           2
        .value_kind:     hidden_remainder_z
      - .offset:         144
        .size:           8
        .value_kind:     hidden_global_offset_x
      - .offset:         152
        .size:           8
        .value_kind:     hidden_global_offset_y
      - .offset:         160
        .size:           8
        .value_kind:     hidden_global_offset_z
      - .offset:         168
        .size:           2
        .value_kind:     hidden_grid_dims
      - .offset:         224
        .size:           4
        .value_kind:     hidden_dynamic_lds_size
    .group_segment_fixed_size: 0
    .kernarg_segment_align: 8
    .kernarg_segment_size: 360
    .language:       OpenCL C
    .language_version:
      - 2
      - 0
    .max_flat_workgroup_size: 1024
    .name:           _ZL39rocblas_trsm_block_forward_substitutionIddPKPKdPKPdLb0ELb0ELb0EEv18rocblas_operation_llT0_T1_lllT2_lllib
    .private_segment_fixed_size: 0
    .sgpr_count:     39
    .sgpr_spill_count: 0
    .symbol:         _ZL39rocblas_trsm_block_forward_substitutionIddPKPKdPKPdLb0ELb0ELb0EEv18rocblas_operation_llT0_T1_lllT2_lllib.kd
    .uniform_work_group_size: 1
    .uses_dynamic_stack: false
    .vgpr_count:     28
    .vgpr_spill_count: 0
    .wavefront_size: 32
    .workgroup_processor_mode: 1
  - .args:
      - .offset:         0
        .size:           4
        .value_kind:     by_value
      - .offset:         8
        .size:           8
        .value_kind:     by_value
      - .offset:         16
        .size:           8
        .value_kind:     by_value
      - .offset:         24
        .size:           8
        .value_kind:     by_value
      - .address_space:  global
        .offset:         32
        .size:           8
        .value_kind:     global_buffer
      - .offset:         40
        .size:           8
        .value_kind:     by_value
      - .offset:         48
        .size:           8
        .value_kind:     by_value
      - .offset:         56
        .size:           8
        .value_kind:     by_value
      - .address_space:  global
        .offset:         64
        .size:           8
        .value_kind:     global_buffer
      - .offset:         72
        .size:           8
        .value_kind:     by_value
      - .offset:         80
        .size:           8
        .value_kind:     by_value
      - .offset:         88
        .size:           8
        .value_kind:     by_value
      - .offset:         96
        .size:           4
        .value_kind:     by_value
      - .offset:         100
        .size:           1
        .value_kind:     by_value
      - .offset:         104
        .size:           4
        .value_kind:     hidden_block_count_x
      - .offset:         108
        .size:           4
        .value_kind:     hidden_block_count_y
      - .offset:         112
        .size:           4
        .value_kind:     hidden_block_count_z
      - .offset:         116
        .size:           2
        .value_kind:     hidden_group_size_x
      - .offset:         118
        .size:           2
        .value_kind:     hidden_group_size_y
      - .offset:         120
        .size:           2
        .value_kind:     hidden_group_size_z
      - .offset:         122
        .size:           2
        .value_kind:     hidden_remainder_x
      - .offset:         124
        .size:           2
        .value_kind:     hidden_remainder_y
      - .offset:         126
        .size:           2
        .value_kind:     hidden_remainder_z
      - .offset:         144
        .size:           8
        .value_kind:     hidden_global_offset_x
      - .offset:         152
        .size:           8
        .value_kind:     hidden_global_offset_y
      - .offset:         160
        .size:           8
        .value_kind:     hidden_global_offset_z
      - .offset:         168
        .size:           2
        .value_kind:     hidden_grid_dims
      - .offset:         224
        .size:           4
        .value_kind:     hidden_dynamic_lds_size
    .group_segment_fixed_size: 0
    .kernarg_segment_align: 8
    .kernarg_segment_size: 360
    .language:       OpenCL C
    .language_version:
      - 2
      - 0
    .max_flat_workgroup_size: 1024
    .name:           _ZL40rocblas_trsm_block_backward_substitutionIddPKPKdPKPdLb0ELb0ELb0EEv18rocblas_operation_llT0_T1_lllT2_lllib
    .private_segment_fixed_size: 0
    .sgpr_count:     48
    .sgpr_spill_count: 0
    .symbol:         _ZL40rocblas_trsm_block_backward_substitutionIddPKPKdPKPdLb0ELb0ELb0EEv18rocblas_operation_llT0_T1_lllT2_lllib.kd
    .uniform_work_group_size: 1
    .uses_dynamic_stack: false
    .vgpr_count:     33
    .vgpr_spill_count: 0
    .wavefront_size: 32
    .workgroup_processor_mode: 1
  - .args:
      - .offset:         0
        .size:           4
        .value_kind:     by_value
      - .offset:         8
        .size:           8
        .value_kind:     by_value
      - .offset:         16
        .size:           8
        .value_kind:     by_value
      - .offset:         24
        .size:           8
        .value_kind:     by_value
      - .address_space:  global
        .offset:         32
        .size:           8
        .value_kind:     global_buffer
      - .offset:         40
        .size:           8
        .value_kind:     by_value
      - .offset:         48
        .size:           8
        .value_kind:     by_value
      - .offset:         56
        .size:           8
        .value_kind:     by_value
      - .address_space:  global
        .offset:         64
        .size:           8
        .value_kind:     global_buffer
      - .offset:         72
        .size:           8
        .value_kind:     by_value
      - .offset:         80
        .size:           8
        .value_kind:     by_value
      - .offset:         88
        .size:           8
        .value_kind:     by_value
      - .offset:         96
        .size:           4
        .value_kind:     by_value
      - .offset:         100
        .size:           1
        .value_kind:     by_value
      - .offset:         104
        .size:           4
        .value_kind:     hidden_block_count_x
      - .offset:         108
        .size:           4
        .value_kind:     hidden_block_count_y
      - .offset:         112
        .size:           4
        .value_kind:     hidden_block_count_z
      - .offset:         116
        .size:           2
        .value_kind:     hidden_group_size_x
      - .offset:         118
        .size:           2
        .value_kind:     hidden_group_size_y
      - .offset:         120
        .size:           2
        .value_kind:     hidden_group_size_z
      - .offset:         122
        .size:           2
        .value_kind:     hidden_remainder_x
      - .offset:         124
        .size:           2
        .value_kind:     hidden_remainder_y
      - .offset:         126
        .size:           2
        .value_kind:     hidden_remainder_z
      - .offset:         144
        .size:           8
        .value_kind:     hidden_global_offset_x
      - .offset:         152
        .size:           8
        .value_kind:     hidden_global_offset_y
      - .offset:         160
        .size:           8
        .value_kind:     hidden_global_offset_z
      - .offset:         168
        .size:           2
        .value_kind:     hidden_grid_dims
      - .offset:         224
        .size:           4
        .value_kind:     hidden_dynamic_lds_size
    .group_segment_fixed_size: 0
    .kernarg_segment_align: 8
    .kernarg_segment_size: 360
    .language:       OpenCL C
    .language_version:
      - 2
      - 0
    .max_flat_workgroup_size: 1024
    .name:           _ZL39rocblas_trsm_block_forward_substitutionIddPKPKdPKPdLb0ELb0ELb1EEv18rocblas_operation_llT0_T1_lllT2_lllib
    .private_segment_fixed_size: 0
    .sgpr_count:     38
    .sgpr_spill_count: 0
    .symbol:         _ZL39rocblas_trsm_block_forward_substitutionIddPKPKdPKPdLb0ELb0ELb1EEv18rocblas_operation_llT0_T1_lllT2_lllib.kd
    .uniform_work_group_size: 1
    .uses_dynamic_stack: false
    .vgpr_count:     18
    .vgpr_spill_count: 0
    .wavefront_size: 32
    .workgroup_processor_mode: 1
  - .args:
      - .offset:         0
        .size:           4
        .value_kind:     by_value
      - .offset:         8
        .size:           8
        .value_kind:     by_value
      - .offset:         16
        .size:           8
        .value_kind:     by_value
      - .offset:         24
        .size:           8
        .value_kind:     by_value
      - .address_space:  global
        .offset:         32
        .size:           8
        .value_kind:     global_buffer
      - .offset:         40
        .size:           8
        .value_kind:     by_value
      - .offset:         48
        .size:           8
        .value_kind:     by_value
      - .offset:         56
        .size:           8
        .value_kind:     by_value
      - .address_space:  global
        .offset:         64
        .size:           8
        .value_kind:     global_buffer
      - .offset:         72
        .size:           8
        .value_kind:     by_value
      - .offset:         80
        .size:           8
        .value_kind:     by_value
      - .offset:         88
        .size:           8
        .value_kind:     by_value
      - .offset:         96
        .size:           4
        .value_kind:     by_value
      - .offset:         100
        .size:           1
        .value_kind:     by_value
      - .offset:         104
        .size:           4
        .value_kind:     hidden_block_count_x
      - .offset:         108
        .size:           4
        .value_kind:     hidden_block_count_y
      - .offset:         112
        .size:           4
        .value_kind:     hidden_block_count_z
      - .offset:         116
        .size:           2
        .value_kind:     hidden_group_size_x
      - .offset:         118
        .size:           2
        .value_kind:     hidden_group_size_y
      - .offset:         120
        .size:           2
        .value_kind:     hidden_group_size_z
      - .offset:         122
        .size:           2
        .value_kind:     hidden_remainder_x
      - .offset:         124
        .size:           2
        .value_kind:     hidden_remainder_y
      - .offset:         126
        .size:           2
        .value_kind:     hidden_remainder_z
      - .offset:         144
        .size:           8
        .value_kind:     hidden_global_offset_x
      - .offset:         152
        .size:           8
        .value_kind:     hidden_global_offset_y
      - .offset:         160
        .size:           8
        .value_kind:     hidden_global_offset_z
      - .offset:         168
        .size:           2
        .value_kind:     hidden_grid_dims
      - .offset:         224
        .size:           4
        .value_kind:     hidden_dynamic_lds_size
    .group_segment_fixed_size: 0
    .kernarg_segment_align: 8
    .kernarg_segment_size: 360
    .language:       OpenCL C
    .language_version:
      - 2
      - 0
    .max_flat_workgroup_size: 1024
    .name:           _ZL40rocblas_trsm_block_backward_substitutionIddPKPKdPKPdLb0ELb0ELb1EEv18rocblas_operation_llT0_T1_lllT2_lllib
    .private_segment_fixed_size: 0
    .sgpr_count:     42
    .sgpr_spill_count: 0
    .symbol:         _ZL40rocblas_trsm_block_backward_substitutionIddPKPKdPKPdLb0ELb0ELb1EEv18rocblas_operation_llT0_T1_lllT2_lllib.kd
    .uniform_work_group_size: 1
    .uses_dynamic_stack: false
    .vgpr_count:     22
    .vgpr_spill_count: 0
    .wavefront_size: 32
    .workgroup_processor_mode: 1
  - .args:
      - .offset:         0
        .size:           4
        .value_kind:     by_value
      - .offset:         8
        .size:           8
        .value_kind:     by_value
      - .offset:         16
        .size:           8
        .value_kind:     by_value
      - .offset:         24
        .size:           8
        .value_kind:     by_value
      - .address_space:  global
        .offset:         32
        .size:           8
        .value_kind:     global_buffer
      - .offset:         40
        .size:           8
        .value_kind:     by_value
      - .offset:         48
        .size:           8
        .value_kind:     by_value
      - .offset:         56
        .size:           8
        .value_kind:     by_value
      - .address_space:  global
        .offset:         64
        .size:           8
        .value_kind:     global_buffer
      - .offset:         72
        .size:           8
        .value_kind:     by_value
      - .offset:         80
        .size:           8
        .value_kind:     by_value
      - .offset:         88
        .size:           8
        .value_kind:     by_value
      - .offset:         96
        .size:           4
        .value_kind:     by_value
      - .offset:         100
        .size:           1
        .value_kind:     by_value
      - .offset:         104
        .size:           4
        .value_kind:     hidden_block_count_x
      - .offset:         108
        .size:           4
        .value_kind:     hidden_block_count_y
      - .offset:         112
        .size:           4
        .value_kind:     hidden_block_count_z
      - .offset:         116
        .size:           2
        .value_kind:     hidden_group_size_x
      - .offset:         118
        .size:           2
        .value_kind:     hidden_group_size_y
      - .offset:         120
        .size:           2
        .value_kind:     hidden_group_size_z
      - .offset:         122
        .size:           2
        .value_kind:     hidden_remainder_x
      - .offset:         124
        .size:           2
        .value_kind:     hidden_remainder_y
      - .offset:         126
        .size:           2
        .value_kind:     hidden_remainder_z
      - .offset:         144
        .size:           8
        .value_kind:     hidden_global_offset_x
      - .offset:         152
        .size:           8
        .value_kind:     hidden_global_offset_y
      - .offset:         160
        .size:           8
        .value_kind:     hidden_global_offset_z
      - .offset:         168
        .size:           2
        .value_kind:     hidden_grid_dims
      - .offset:         224
        .size:           4
        .value_kind:     hidden_dynamic_lds_size
    .group_segment_fixed_size: 0
    .kernarg_segment_align: 8
    .kernarg_segment_size: 360
    .language:       OpenCL C
    .language_version:
      - 2
      - 0
    .max_flat_workgroup_size: 1024
    .name:           _ZL39rocblas_trsm_block_forward_substitutionIddPKPKdPKPdLb0ELb1ELb0EEv18rocblas_operation_llT0_T1_lllT2_lllib
    .private_segment_fixed_size: 0
    .sgpr_count:     39
    .sgpr_spill_count: 0
    .symbol:         _ZL39rocblas_trsm_block_forward_substitutionIddPKPKdPKPdLb0ELb1ELb0EEv18rocblas_operation_llT0_T1_lllT2_lllib.kd
    .uniform_work_group_size: 1
    .uses_dynamic_stack: false
    .vgpr_count:     30
    .vgpr_spill_count: 0
    .wavefront_size: 32
    .workgroup_processor_mode: 1
  - .args:
      - .offset:         0
        .size:           4
        .value_kind:     by_value
      - .offset:         8
        .size:           8
        .value_kind:     by_value
      - .offset:         16
        .size:           8
        .value_kind:     by_value
      - .offset:         24
        .size:           8
        .value_kind:     by_value
      - .address_space:  global
        .offset:         32
        .size:           8
        .value_kind:     global_buffer
      - .offset:         40
        .size:           8
        .value_kind:     by_value
      - .offset:         48
        .size:           8
        .value_kind:     by_value
      - .offset:         56
        .size:           8
        .value_kind:     by_value
      - .address_space:  global
        .offset:         64
        .size:           8
        .value_kind:     global_buffer
      - .offset:         72
        .size:           8
        .value_kind:     by_value
      - .offset:         80
        .size:           8
        .value_kind:     by_value
      - .offset:         88
        .size:           8
        .value_kind:     by_value
      - .offset:         96
        .size:           4
        .value_kind:     by_value
      - .offset:         100
        .size:           1
        .value_kind:     by_value
      - .offset:         104
        .size:           4
        .value_kind:     hidden_block_count_x
      - .offset:         108
        .size:           4
        .value_kind:     hidden_block_count_y
      - .offset:         112
        .size:           4
        .value_kind:     hidden_block_count_z
      - .offset:         116
        .size:           2
        .value_kind:     hidden_group_size_x
      - .offset:         118
        .size:           2
        .value_kind:     hidden_group_size_y
      - .offset:         120
        .size:           2
        .value_kind:     hidden_group_size_z
      - .offset:         122
        .size:           2
        .value_kind:     hidden_remainder_x
      - .offset:         124
        .size:           2
        .value_kind:     hidden_remainder_y
      - .offset:         126
        .size:           2
        .value_kind:     hidden_remainder_z
      - .offset:         144
        .size:           8
        .value_kind:     hidden_global_offset_x
      - .offset:         152
        .size:           8
        .value_kind:     hidden_global_offset_y
      - .offset:         160
        .size:           8
        .value_kind:     hidden_global_offset_z
      - .offset:         168
        .size:           2
        .value_kind:     hidden_grid_dims
      - .offset:         224
        .size:           4
        .value_kind:     hidden_dynamic_lds_size
    .group_segment_fixed_size: 0
    .kernarg_segment_align: 8
    .kernarg_segment_size: 360
    .language:       OpenCL C
    .language_version:
      - 2
      - 0
    .max_flat_workgroup_size: 1024
    .name:           _ZL40rocblas_trsm_block_backward_substitutionIddPKPKdPKPdLb0ELb1ELb0EEv18rocblas_operation_llT0_T1_lllT2_lllib
    .private_segment_fixed_size: 0
    .sgpr_count:     48
    .sgpr_spill_count: 0
    .symbol:         _ZL40rocblas_trsm_block_backward_substitutionIddPKPKdPKPdLb0ELb1ELb0EEv18rocblas_operation_llT0_T1_lllT2_lllib.kd
    .uniform_work_group_size: 1
    .uses_dynamic_stack: false
    .vgpr_count:     31
    .vgpr_spill_count: 0
    .wavefront_size: 32
    .workgroup_processor_mode: 1
  - .args:
      - .offset:         0
        .size:           4
        .value_kind:     by_value
      - .offset:         8
        .size:           8
        .value_kind:     by_value
      - .offset:         16
        .size:           8
        .value_kind:     by_value
      - .offset:         24
        .size:           8
        .value_kind:     by_value
      - .address_space:  global
        .offset:         32
        .size:           8
        .value_kind:     global_buffer
      - .offset:         40
        .size:           8
        .value_kind:     by_value
      - .offset:         48
        .size:           8
        .value_kind:     by_value
      - .offset:         56
        .size:           8
        .value_kind:     by_value
      - .address_space:  global
        .offset:         64
        .size:           8
        .value_kind:     global_buffer
      - .offset:         72
        .size:           8
        .value_kind:     by_value
      - .offset:         80
        .size:           8
        .value_kind:     by_value
      - .offset:         88
        .size:           8
        .value_kind:     by_value
      - .offset:         96
        .size:           4
        .value_kind:     by_value
      - .offset:         100
        .size:           1
        .value_kind:     by_value
      - .offset:         104
        .size:           4
        .value_kind:     hidden_block_count_x
      - .offset:         108
        .size:           4
        .value_kind:     hidden_block_count_y
      - .offset:         112
        .size:           4
        .value_kind:     hidden_block_count_z
      - .offset:         116
        .size:           2
        .value_kind:     hidden_group_size_x
      - .offset:         118
        .size:           2
        .value_kind:     hidden_group_size_y
      - .offset:         120
        .size:           2
        .value_kind:     hidden_group_size_z
      - .offset:         122
        .size:           2
        .value_kind:     hidden_remainder_x
      - .offset:         124
        .size:           2
        .value_kind:     hidden_remainder_y
      - .offset:         126
        .size:           2
        .value_kind:     hidden_remainder_z
      - .offset:         144
        .size:           8
        .value_kind:     hidden_global_offset_x
      - .offset:         152
        .size:           8
        .value_kind:     hidden_global_offset_y
      - .offset:         160
        .size:           8
        .value_kind:     hidden_global_offset_z
      - .offset:         168
        .size:           2
        .value_kind:     hidden_grid_dims
      - .offset:         224
        .size:           4
        .value_kind:     hidden_dynamic_lds_size
    .group_segment_fixed_size: 0
    .kernarg_segment_align: 8
    .kernarg_segment_size: 360
    .language:       OpenCL C
    .language_version:
      - 2
      - 0
    .max_flat_workgroup_size: 1024
    .name:           _ZL39rocblas_trsm_block_forward_substitutionIddPKPKdPKPdLb0ELb1ELb1EEv18rocblas_operation_llT0_T1_lllT2_lllib
    .private_segment_fixed_size: 0
    .sgpr_count:     38
    .sgpr_spill_count: 0
    .symbol:         _ZL39rocblas_trsm_block_forward_substitutionIddPKPKdPKPdLb0ELb1ELb1EEv18rocblas_operation_llT0_T1_lllT2_lllib.kd
    .uniform_work_group_size: 1
    .uses_dynamic_stack: false
    .vgpr_count:     20
    .vgpr_spill_count: 0
    .wavefront_size: 32
    .workgroup_processor_mode: 1
  - .args:
      - .offset:         0
        .size:           4
        .value_kind:     by_value
      - .offset:         8
        .size:           8
        .value_kind:     by_value
      - .offset:         16
        .size:           8
        .value_kind:     by_value
      - .offset:         24
        .size:           8
        .value_kind:     by_value
      - .address_space:  global
        .offset:         32
        .size:           8
        .value_kind:     global_buffer
      - .offset:         40
        .size:           8
        .value_kind:     by_value
      - .offset:         48
        .size:           8
        .value_kind:     by_value
      - .offset:         56
        .size:           8
        .value_kind:     by_value
      - .address_space:  global
        .offset:         64
        .size:           8
        .value_kind:     global_buffer
      - .offset:         72
        .size:           8
        .value_kind:     by_value
      - .offset:         80
        .size:           8
        .value_kind:     by_value
      - .offset:         88
        .size:           8
        .value_kind:     by_value
      - .offset:         96
        .size:           4
        .value_kind:     by_value
      - .offset:         100
        .size:           1
        .value_kind:     by_value
      - .offset:         104
        .size:           4
        .value_kind:     hidden_block_count_x
      - .offset:         108
        .size:           4
        .value_kind:     hidden_block_count_y
      - .offset:         112
        .size:           4
        .value_kind:     hidden_block_count_z
      - .offset:         116
        .size:           2
        .value_kind:     hidden_group_size_x
      - .offset:         118
        .size:           2
        .value_kind:     hidden_group_size_y
      - .offset:         120
        .size:           2
        .value_kind:     hidden_group_size_z
      - .offset:         122
        .size:           2
        .value_kind:     hidden_remainder_x
      - .offset:         124
        .size:           2
        .value_kind:     hidden_remainder_y
      - .offset:         126
        .size:           2
        .value_kind:     hidden_remainder_z
      - .offset:         144
        .size:           8
        .value_kind:     hidden_global_offset_x
      - .offset:         152
        .size:           8
        .value_kind:     hidden_global_offset_y
      - .offset:         160
        .size:           8
        .value_kind:     hidden_global_offset_z
      - .offset:         168
        .size:           2
        .value_kind:     hidden_grid_dims
      - .offset:         224
        .size:           4
        .value_kind:     hidden_dynamic_lds_size
    .group_segment_fixed_size: 0
    .kernarg_segment_align: 8
    .kernarg_segment_size: 360
    .language:       OpenCL C
    .language_version:
      - 2
      - 0
    .max_flat_workgroup_size: 1024
    .name:           _ZL40rocblas_trsm_block_backward_substitutionIddPKPKdPKPdLb0ELb1ELb1EEv18rocblas_operation_llT0_T1_lllT2_lllib
    .private_segment_fixed_size: 0
    .sgpr_count:     42
    .sgpr_spill_count: 0
    .symbol:         _ZL40rocblas_trsm_block_backward_substitutionIddPKPKdPKPdLb0ELb1ELb1EEv18rocblas_operation_llT0_T1_lllT2_lllib.kd
    .uniform_work_group_size: 1
    .uses_dynamic_stack: false
    .vgpr_count:     21
    .vgpr_spill_count: 0
    .wavefront_size: 32
    .workgroup_processor_mode: 1
  - .args:
      - .offset:         0
        .size:           4
        .value_kind:     by_value
      - .offset:         8
        .size:           8
        .value_kind:     by_value
      - .offset:         16
        .size:           8
        .value_kind:     by_value
      - .offset:         24
        .size:           8
        .value_kind:     by_value
      - .address_space:  global
        .offset:         32
        .size:           8
        .value_kind:     global_buffer
      - .offset:         40
        .size:           8
        .value_kind:     by_value
      - .offset:         48
        .size:           8
        .value_kind:     by_value
      - .offset:         56
        .size:           8
        .value_kind:     by_value
      - .address_space:  global
        .offset:         64
        .size:           8
        .value_kind:     global_buffer
      - .offset:         72
        .size:           8
        .value_kind:     by_value
      - .offset:         80
        .size:           8
        .value_kind:     by_value
      - .offset:         88
        .size:           8
        .value_kind:     by_value
      - .offset:         96
        .size:           4
        .value_kind:     by_value
      - .offset:         100
        .size:           1
        .value_kind:     by_value
      - .offset:         104
        .size:           4
        .value_kind:     hidden_block_count_x
      - .offset:         108
        .size:           4
        .value_kind:     hidden_block_count_y
      - .offset:         112
        .size:           4
        .value_kind:     hidden_block_count_z
      - .offset:         116
        .size:           2
        .value_kind:     hidden_group_size_x
      - .offset:         118
        .size:           2
        .value_kind:     hidden_group_size_y
      - .offset:         120
        .size:           2
        .value_kind:     hidden_group_size_z
      - .offset:         122
        .size:           2
        .value_kind:     hidden_remainder_x
      - .offset:         124
        .size:           2
        .value_kind:     hidden_remainder_y
      - .offset:         126
        .size:           2
        .value_kind:     hidden_remainder_z
      - .offset:         144
        .size:           8
        .value_kind:     hidden_global_offset_x
      - .offset:         152
        .size:           8
        .value_kind:     hidden_global_offset_y
      - .offset:         160
        .size:           8
        .value_kind:     hidden_global_offset_z
      - .offset:         168
        .size:           2
        .value_kind:     hidden_grid_dims
      - .offset:         224
        .size:           4
        .value_kind:     hidden_dynamic_lds_size
    .group_segment_fixed_size: 0
    .kernarg_segment_align: 8
    .kernarg_segment_size: 360
    .language:       OpenCL C
    .language_version:
      - 2
      - 0
    .max_flat_workgroup_size: 1024
    .name:           _ZL39rocblas_trsm_block_forward_substitutionIddPKPKdPKPdLb1ELb1ELb0EEv18rocblas_operation_llT0_T1_lllT2_lllib
    .private_segment_fixed_size: 0
    .sgpr_count:     41
    .sgpr_spill_count: 0
    .symbol:         _ZL39rocblas_trsm_block_forward_substitutionIddPKPKdPKPdLb1ELb1ELb0EEv18rocblas_operation_llT0_T1_lllT2_lllib.kd
    .uniform_work_group_size: 1
    .uses_dynamic_stack: false
    .vgpr_count:     29
    .vgpr_spill_count: 0
    .wavefront_size: 32
    .workgroup_processor_mode: 1
  - .args:
      - .offset:         0
        .size:           4
        .value_kind:     by_value
      - .offset:         8
        .size:           8
        .value_kind:     by_value
      - .offset:         16
        .size:           8
        .value_kind:     by_value
      - .offset:         24
        .size:           8
        .value_kind:     by_value
      - .address_space:  global
        .offset:         32
        .size:           8
        .value_kind:     global_buffer
      - .offset:         40
        .size:           8
        .value_kind:     by_value
      - .offset:         48
        .size:           8
        .value_kind:     by_value
      - .offset:         56
        .size:           8
        .value_kind:     by_value
      - .address_space:  global
        .offset:         64
        .size:           8
        .value_kind:     global_buffer
      - .offset:         72
        .size:           8
        .value_kind:     by_value
      - .offset:         80
        .size:           8
        .value_kind:     by_value
      - .offset:         88
        .size:           8
        .value_kind:     by_value
      - .offset:         96
        .size:           4
        .value_kind:     by_value
      - .offset:         100
        .size:           1
        .value_kind:     by_value
      - .offset:         104
        .size:           4
        .value_kind:     hidden_block_count_x
      - .offset:         108
        .size:           4
        .value_kind:     hidden_block_count_y
      - .offset:         112
        .size:           4
        .value_kind:     hidden_block_count_z
      - .offset:         116
        .size:           2
        .value_kind:     hidden_group_size_x
      - .offset:         118
        .size:           2
        .value_kind:     hidden_group_size_y
      - .offset:         120
        .size:           2
        .value_kind:     hidden_group_size_z
      - .offset:         122
        .size:           2
        .value_kind:     hidden_remainder_x
      - .offset:         124
        .size:           2
        .value_kind:     hidden_remainder_y
      - .offset:         126
        .size:           2
        .value_kind:     hidden_remainder_z
      - .offset:         144
        .size:           8
        .value_kind:     hidden_global_offset_x
      - .offset:         152
        .size:           8
        .value_kind:     hidden_global_offset_y
      - .offset:         160
        .size:           8
        .value_kind:     hidden_global_offset_z
      - .offset:         168
        .size:           2
        .value_kind:     hidden_grid_dims
      - .offset:         224
        .size:           4
        .value_kind:     hidden_dynamic_lds_size
    .group_segment_fixed_size: 0
    .kernarg_segment_align: 8
    .kernarg_segment_size: 360
    .language:       OpenCL C
    .language_version:
      - 2
      - 0
    .max_flat_workgroup_size: 1024
    .name:           _ZL40rocblas_trsm_block_backward_substitutionIddPKPKdPKPdLb1ELb1ELb0EEv18rocblas_operation_llT0_T1_lllT2_lllib
    .private_segment_fixed_size: 0
    .sgpr_count:     46
    .sgpr_spill_count: 0
    .symbol:         _ZL40rocblas_trsm_block_backward_substitutionIddPKPKdPKPdLb1ELb1ELb0EEv18rocblas_operation_llT0_T1_lllT2_lllib.kd
    .uniform_work_group_size: 1
    .uses_dynamic_stack: false
    .vgpr_count:     31
    .vgpr_spill_count: 0
    .wavefront_size: 32
    .workgroup_processor_mode: 1
  - .args:
      - .offset:         0
        .size:           4
        .value_kind:     by_value
      - .offset:         8
        .size:           8
        .value_kind:     by_value
      - .offset:         16
        .size:           8
        .value_kind:     by_value
      - .offset:         24
        .size:           8
        .value_kind:     by_value
      - .address_space:  global
        .offset:         32
        .size:           8
        .value_kind:     global_buffer
      - .offset:         40
        .size:           8
        .value_kind:     by_value
      - .offset:         48
        .size:           8
        .value_kind:     by_value
      - .offset:         56
        .size:           8
        .value_kind:     by_value
      - .address_space:  global
        .offset:         64
        .size:           8
        .value_kind:     global_buffer
      - .offset:         72
        .size:           8
        .value_kind:     by_value
      - .offset:         80
        .size:           8
        .value_kind:     by_value
      - .offset:         88
        .size:           8
        .value_kind:     by_value
      - .offset:         96
        .size:           4
        .value_kind:     by_value
      - .offset:         100
        .size:           1
        .value_kind:     by_value
      - .offset:         104
        .size:           4
        .value_kind:     hidden_block_count_x
      - .offset:         108
        .size:           4
        .value_kind:     hidden_block_count_y
      - .offset:         112
        .size:           4
        .value_kind:     hidden_block_count_z
      - .offset:         116
        .size:           2
        .value_kind:     hidden_group_size_x
      - .offset:         118
        .size:           2
        .value_kind:     hidden_group_size_y
      - .offset:         120
        .size:           2
        .value_kind:     hidden_group_size_z
      - .offset:         122
        .size:           2
        .value_kind:     hidden_remainder_x
      - .offset:         124
        .size:           2
        .value_kind:     hidden_remainder_y
      - .offset:         126
        .size:           2
        .value_kind:     hidden_remainder_z
      - .offset:         144
        .size:           8
        .value_kind:     hidden_global_offset_x
      - .offset:         152
        .size:           8
        .value_kind:     hidden_global_offset_y
      - .offset:         160
        .size:           8
        .value_kind:     hidden_global_offset_z
      - .offset:         168
        .size:           2
        .value_kind:     hidden_grid_dims
      - .offset:         224
        .size:           4
        .value_kind:     hidden_dynamic_lds_size
    .group_segment_fixed_size: 0
    .kernarg_segment_align: 8
    .kernarg_segment_size: 360
    .language:       OpenCL C
    .language_version:
      - 2
      - 0
    .max_flat_workgroup_size: 1024
    .name:           _ZL39rocblas_trsm_block_forward_substitutionIddPKPKdPKPdLb1ELb1ELb1EEv18rocblas_operation_llT0_T1_lllT2_lllib
    .private_segment_fixed_size: 0
    .sgpr_count:     40
    .sgpr_spill_count: 0
    .symbol:         _ZL39rocblas_trsm_block_forward_substitutionIddPKPKdPKPdLb1ELb1ELb1EEv18rocblas_operation_llT0_T1_lllT2_lllib.kd
    .uniform_work_group_size: 1
    .uses_dynamic_stack: false
    .vgpr_count:     19
    .vgpr_spill_count: 0
    .wavefront_size: 32
    .workgroup_processor_mode: 1
  - .args:
      - .offset:         0
        .size:           4
        .value_kind:     by_value
      - .offset:         8
        .size:           8
        .value_kind:     by_value
      - .offset:         16
        .size:           8
        .value_kind:     by_value
      - .offset:         24
        .size:           8
        .value_kind:     by_value
      - .address_space:  global
        .offset:         32
        .size:           8
        .value_kind:     global_buffer
      - .offset:         40
        .size:           8
        .value_kind:     by_value
      - .offset:         48
        .size:           8
        .value_kind:     by_value
      - .offset:         56
        .size:           8
        .value_kind:     by_value
      - .address_space:  global
        .offset:         64
        .size:           8
        .value_kind:     global_buffer
      - .offset:         72
        .size:           8
        .value_kind:     by_value
      - .offset:         80
        .size:           8
        .value_kind:     by_value
      - .offset:         88
        .size:           8
        .value_kind:     by_value
      - .offset:         96
        .size:           4
        .value_kind:     by_value
      - .offset:         100
        .size:           1
        .value_kind:     by_value
      - .offset:         104
        .size:           4
        .value_kind:     hidden_block_count_x
      - .offset:         108
        .size:           4
        .value_kind:     hidden_block_count_y
      - .offset:         112
        .size:           4
        .value_kind:     hidden_block_count_z
      - .offset:         116
        .size:           2
        .value_kind:     hidden_group_size_x
      - .offset:         118
        .size:           2
        .value_kind:     hidden_group_size_y
      - .offset:         120
        .size:           2
        .value_kind:     hidden_group_size_z
      - .offset:         122
        .size:           2
        .value_kind:     hidden_remainder_x
      - .offset:         124
        .size:           2
        .value_kind:     hidden_remainder_y
      - .offset:         126
        .size:           2
        .value_kind:     hidden_remainder_z
      - .offset:         144
        .size:           8
        .value_kind:     hidden_global_offset_x
      - .offset:         152
        .size:           8
        .value_kind:     hidden_global_offset_y
      - .offset:         160
        .size:           8
        .value_kind:     hidden_global_offset_z
      - .offset:         168
        .size:           2
        .value_kind:     hidden_grid_dims
      - .offset:         224
        .size:           4
        .value_kind:     hidden_dynamic_lds_size
    .group_segment_fixed_size: 0
    .kernarg_segment_align: 8
    .kernarg_segment_size: 360
    .language:       OpenCL C
    .language_version:
      - 2
      - 0
    .max_flat_workgroup_size: 1024
    .name:           _ZL40rocblas_trsm_block_backward_substitutionIddPKPKdPKPdLb1ELb1ELb1EEv18rocblas_operation_llT0_T1_lllT2_lllib
    .private_segment_fixed_size: 0
    .sgpr_count:     42
    .sgpr_spill_count: 0
    .symbol:         _ZL40rocblas_trsm_block_backward_substitutionIddPKPKdPKPdLb1ELb1ELb1EEv18rocblas_operation_llT0_T1_lllT2_lllib.kd
    .uniform_work_group_size: 1
    .uses_dynamic_stack: false
    .vgpr_count:     19
    .vgpr_spill_count: 0
    .wavefront_size: 32
    .workgroup_processor_mode: 1
  - .args:
      - .offset:         0
        .size:           4
        .value_kind:     by_value
      - .offset:         8
        .size:           8
        .value_kind:     by_value
      - .offset:         16
        .size:           8
        .value_kind:     by_value
      - .offset:         24
        .size:           8
        .value_kind:     by_value
      - .address_space:  global
        .offset:         32
        .size:           8
        .value_kind:     global_buffer
      - .offset:         40
        .size:           8
        .value_kind:     by_value
      - .offset:         48
        .size:           8
        .value_kind:     by_value
      - .offset:         56
        .size:           8
        .value_kind:     by_value
      - .address_space:  global
        .offset:         64
        .size:           8
        .value_kind:     global_buffer
      - .offset:         72
        .size:           8
        .value_kind:     by_value
      - .offset:         80
        .size:           8
        .value_kind:     by_value
      - .offset:         88
        .size:           8
        .value_kind:     by_value
      - .offset:         96
        .size:           4
        .value_kind:     by_value
      - .offset:         100
        .size:           1
        .value_kind:     by_value
      - .offset:         104
        .size:           4
        .value_kind:     hidden_block_count_x
      - .offset:         108
        .size:           4
        .value_kind:     hidden_block_count_y
      - .offset:         112
        .size:           4
        .value_kind:     hidden_block_count_z
      - .offset:         116
        .size:           2
        .value_kind:     hidden_group_size_x
      - .offset:         118
        .size:           2
        .value_kind:     hidden_group_size_y
      - .offset:         120
        .size:           2
        .value_kind:     hidden_group_size_z
      - .offset:         122
        .size:           2
        .value_kind:     hidden_remainder_x
      - .offset:         124
        .size:           2
        .value_kind:     hidden_remainder_y
      - .offset:         126
        .size:           2
        .value_kind:     hidden_remainder_z
      - .offset:         144
        .size:           8
        .value_kind:     hidden_global_offset_x
      - .offset:         152
        .size:           8
        .value_kind:     hidden_global_offset_y
      - .offset:         160
        .size:           8
        .value_kind:     hidden_global_offset_z
      - .offset:         168
        .size:           2
        .value_kind:     hidden_grid_dims
      - .offset:         224
        .size:           4
        .value_kind:     hidden_dynamic_lds_size
    .group_segment_fixed_size: 0
    .kernarg_segment_align: 8
    .kernarg_segment_size: 360
    .language:       OpenCL C
    .language_version:
      - 2
      - 0
    .max_flat_workgroup_size: 1024
    .name:           _ZL39rocblas_trsm_block_forward_substitutionIddPKPKdPKPdLb1ELb0ELb0EEv18rocblas_operation_llT0_T1_lllT2_lllib
    .private_segment_fixed_size: 0
    .sgpr_count:     41
    .sgpr_spill_count: 0
    .symbol:         _ZL39rocblas_trsm_block_forward_substitutionIddPKPKdPKPdLb1ELb0ELb0EEv18rocblas_operation_llT0_T1_lllT2_lllib.kd
    .uniform_work_group_size: 1
    .uses_dynamic_stack: false
    .vgpr_count:     28
    .vgpr_spill_count: 0
    .wavefront_size: 32
    .workgroup_processor_mode: 1
  - .args:
      - .offset:         0
        .size:           4
        .value_kind:     by_value
      - .offset:         8
        .size:           8
        .value_kind:     by_value
      - .offset:         16
        .size:           8
        .value_kind:     by_value
      - .offset:         24
        .size:           8
        .value_kind:     by_value
      - .address_space:  global
        .offset:         32
        .size:           8
        .value_kind:     global_buffer
      - .offset:         40
        .size:           8
        .value_kind:     by_value
      - .offset:         48
        .size:           8
        .value_kind:     by_value
      - .offset:         56
        .size:           8
        .value_kind:     by_value
      - .address_space:  global
        .offset:         64
        .size:           8
        .value_kind:     global_buffer
      - .offset:         72
        .size:           8
        .value_kind:     by_value
      - .offset:         80
        .size:           8
        .value_kind:     by_value
      - .offset:         88
        .size:           8
        .value_kind:     by_value
      - .offset:         96
        .size:           4
        .value_kind:     by_value
      - .offset:         100
        .size:           1
        .value_kind:     by_value
      - .offset:         104
        .size:           4
        .value_kind:     hidden_block_count_x
      - .offset:         108
        .size:           4
        .value_kind:     hidden_block_count_y
      - .offset:         112
        .size:           4
        .value_kind:     hidden_block_count_z
      - .offset:         116
        .size:           2
        .value_kind:     hidden_group_size_x
      - .offset:         118
        .size:           2
        .value_kind:     hidden_group_size_y
      - .offset:         120
        .size:           2
        .value_kind:     hidden_group_size_z
      - .offset:         122
        .size:           2
        .value_kind:     hidden_remainder_x
      - .offset:         124
        .size:           2
        .value_kind:     hidden_remainder_y
      - .offset:         126
        .size:           2
        .value_kind:     hidden_remainder_z
      - .offset:         144
        .size:           8
        .value_kind:     hidden_global_offset_x
      - .offset:         152
        .size:           8
        .value_kind:     hidden_global_offset_y
      - .offset:         160
        .size:           8
        .value_kind:     hidden_global_offset_z
      - .offset:         168
        .size:           2
        .value_kind:     hidden_grid_dims
      - .offset:         224
        .size:           4
        .value_kind:     hidden_dynamic_lds_size
    .group_segment_fixed_size: 0
    .kernarg_segment_align: 8
    .kernarg_segment_size: 360
    .language:       OpenCL C
    .language_version:
      - 2
      - 0
    .max_flat_workgroup_size: 1024
    .name:           _ZL40rocblas_trsm_block_backward_substitutionIddPKPKdPKPdLb1ELb0ELb0EEv18rocblas_operation_llT0_T1_lllT2_lllib
    .private_segment_fixed_size: 0
    .sgpr_count:     46
    .sgpr_spill_count: 0
    .symbol:         _ZL40rocblas_trsm_block_backward_substitutionIddPKPKdPKPdLb1ELb0ELb0EEv18rocblas_operation_llT0_T1_lllT2_lllib.kd
    .uniform_work_group_size: 1
    .uses_dynamic_stack: false
    .vgpr_count:     33
    .vgpr_spill_count: 0
    .wavefront_size: 32
    .workgroup_processor_mode: 1
  - .args:
      - .offset:         0
        .size:           4
        .value_kind:     by_value
      - .offset:         8
        .size:           8
        .value_kind:     by_value
      - .offset:         16
        .size:           8
        .value_kind:     by_value
      - .offset:         24
        .size:           8
        .value_kind:     by_value
      - .address_space:  global
        .offset:         32
        .size:           8
        .value_kind:     global_buffer
      - .offset:         40
        .size:           8
        .value_kind:     by_value
      - .offset:         48
        .size:           8
        .value_kind:     by_value
      - .offset:         56
        .size:           8
        .value_kind:     by_value
      - .address_space:  global
        .offset:         64
        .size:           8
        .value_kind:     global_buffer
      - .offset:         72
        .size:           8
        .value_kind:     by_value
      - .offset:         80
        .size:           8
        .value_kind:     by_value
      - .offset:         88
        .size:           8
        .value_kind:     by_value
      - .offset:         96
        .size:           4
        .value_kind:     by_value
      - .offset:         100
        .size:           1
        .value_kind:     by_value
      - .offset:         104
        .size:           4
        .value_kind:     hidden_block_count_x
      - .offset:         108
        .size:           4
        .value_kind:     hidden_block_count_y
      - .offset:         112
        .size:           4
        .value_kind:     hidden_block_count_z
      - .offset:         116
        .size:           2
        .value_kind:     hidden_group_size_x
      - .offset:         118
        .size:           2
        .value_kind:     hidden_group_size_y
      - .offset:         120
        .size:           2
        .value_kind:     hidden_group_size_z
      - .offset:         122
        .size:           2
        .value_kind:     hidden_remainder_x
      - .offset:         124
        .size:           2
        .value_kind:     hidden_remainder_y
      - .offset:         126
        .size:           2
        .value_kind:     hidden_remainder_z
      - .offset:         144
        .size:           8
        .value_kind:     hidden_global_offset_x
      - .offset:         152
        .size:           8
        .value_kind:     hidden_global_offset_y
      - .offset:         160
        .size:           8
        .value_kind:     hidden_global_offset_z
      - .offset:         168
        .size:           2
        .value_kind:     hidden_grid_dims
      - .offset:         224
        .size:           4
        .value_kind:     hidden_dynamic_lds_size
    .group_segment_fixed_size: 0
    .kernarg_segment_align: 8
    .kernarg_segment_size: 360
    .language:       OpenCL C
    .language_version:
      - 2
      - 0
    .max_flat_workgroup_size: 1024
    .name:           _ZL39rocblas_trsm_block_forward_substitutionIddPKPKdPKPdLb1ELb0ELb1EEv18rocblas_operation_llT0_T1_lllT2_lllib
    .private_segment_fixed_size: 0
    .sgpr_count:     40
    .sgpr_spill_count: 0
    .symbol:         _ZL39rocblas_trsm_block_forward_substitutionIddPKPKdPKPdLb1ELb0ELb1EEv18rocblas_operation_llT0_T1_lllT2_lllib.kd
    .uniform_work_group_size: 1
    .uses_dynamic_stack: false
    .vgpr_count:     18
    .vgpr_spill_count: 0
    .wavefront_size: 32
    .workgroup_processor_mode: 1
  - .args:
      - .offset:         0
        .size:           4
        .value_kind:     by_value
      - .offset:         8
        .size:           8
        .value_kind:     by_value
      - .offset:         16
        .size:           8
        .value_kind:     by_value
      - .offset:         24
        .size:           8
        .value_kind:     by_value
      - .address_space:  global
        .offset:         32
        .size:           8
        .value_kind:     global_buffer
      - .offset:         40
        .size:           8
        .value_kind:     by_value
      - .offset:         48
        .size:           8
        .value_kind:     by_value
      - .offset:         56
        .size:           8
        .value_kind:     by_value
      - .address_space:  global
        .offset:         64
        .size:           8
        .value_kind:     global_buffer
      - .offset:         72
        .size:           8
        .value_kind:     by_value
      - .offset:         80
        .size:           8
        .value_kind:     by_value
      - .offset:         88
        .size:           8
        .value_kind:     by_value
      - .offset:         96
        .size:           4
        .value_kind:     by_value
      - .offset:         100
        .size:           1
        .value_kind:     by_value
      - .offset:         104
        .size:           4
        .value_kind:     hidden_block_count_x
      - .offset:         108
        .size:           4
        .value_kind:     hidden_block_count_y
      - .offset:         112
        .size:           4
        .value_kind:     hidden_block_count_z
      - .offset:         116
        .size:           2
        .value_kind:     hidden_group_size_x
      - .offset:         118
        .size:           2
        .value_kind:     hidden_group_size_y
      - .offset:         120
        .size:           2
        .value_kind:     hidden_group_size_z
      - .offset:         122
        .size:           2
        .value_kind:     hidden_remainder_x
      - .offset:         124
        .size:           2
        .value_kind:     hidden_remainder_y
      - .offset:         126
        .size:           2
        .value_kind:     hidden_remainder_z
      - .offset:         144
        .size:           8
        .value_kind:     hidden_global_offset_x
      - .offset:         152
        .size:           8
        .value_kind:     hidden_global_offset_y
      - .offset:         160
        .size:           8
        .value_kind:     hidden_global_offset_z
      - .offset:         168
        .size:           2
        .value_kind:     hidden_grid_dims
      - .offset:         224
        .size:           4
        .value_kind:     hidden_dynamic_lds_size
    .group_segment_fixed_size: 0
    .kernarg_segment_align: 8
    .kernarg_segment_size: 360
    .language:       OpenCL C
    .language_version:
      - 2
      - 0
    .max_flat_workgroup_size: 1024
    .name:           _ZL40rocblas_trsm_block_backward_substitutionIddPKPKdPKPdLb1ELb0ELb1EEv18rocblas_operation_llT0_T1_lllT2_lllib
    .private_segment_fixed_size: 0
    .sgpr_count:     42
    .sgpr_spill_count: 0
    .symbol:         _ZL40rocblas_trsm_block_backward_substitutionIddPKPKdPKPdLb1ELb0ELb1EEv18rocblas_operation_llT0_T1_lllT2_lllib.kd
    .uniform_work_group_size: 1
    .uses_dynamic_stack: false
    .vgpr_count:     21
    .vgpr_spill_count: 0
    .wavefront_size: 32
    .workgroup_processor_mode: 1
  - .args:
      - .address_space:  global
        .offset:         0
        .size:           8
        .value_kind:     global_buffer
      - .offset:         8
        .size:           8
        .value_kind:     by_value
      - .address_space:  global
        .offset:         16
        .size:           8
        .value_kind:     global_buffer
    .group_segment_fixed_size: 0
    .kernarg_segment_align: 8
    .kernarg_segment_size: 24
    .language:       OpenCL C
    .language_version:
      - 2
      - 0
    .max_flat_workgroup_size: 128
    .name:           _ZL26setup_batched_array_kernelILi128EdEvPT0_lPS1_
    .private_segment_fixed_size: 0
    .sgpr_count:     8
    .sgpr_spill_count: 0
    .symbol:         _ZL26setup_batched_array_kernelILi128EdEvPT0_lPS1_.kd
    .uniform_work_group_size: 1
    .uses_dynamic_stack: false
    .vgpr_count:     3
    .vgpr_spill_count: 0
    .wavefront_size: 32
    .workgroup_processor_mode: 1
  - .args:
      - .offset:         0
        .size:           4
        .value_kind:     by_value
      - .offset:         4
        .size:           4
        .value_kind:     by_value
      - .address_space:  global
        .offset:         8
        .size:           8
        .value_kind:     global_buffer
      - .offset:         16
        .size:           8
        .value_kind:     by_value
      - .offset:         24
        .size:           4
        .value_kind:     by_value
      - .offset:         32
        .size:           8
        .value_kind:     by_value
      - .address_space:  global
        .offset:         40
        .size:           8
        .value_kind:     global_buffer
      - .offset:         48
        .size:           8
        .value_kind:     by_value
      - .offset:         56
        .size:           8
        .value_kind:     by_value
      - .offset:         64
        .size:           4
        .value_kind:     by_value
    .group_segment_fixed_size: 8192
    .kernarg_segment_align: 8
    .kernarg_segment_size: 68
    .language:       OpenCL C
    .language_version:
      - 2
      - 0
    .max_flat_workgroup_size: 256
    .name:           _ZL25rocblas_trtri_trsm_kernelILi128ELi16ELi8EdPKPKdPKPdEv13rocblas_fill_17rocblas_diagonal_T3_lilT4_lli
    .private_segment_fixed_size: 0
    .sgpr_count:     100
    .sgpr_spill_count: 0
    .symbol:         _ZL25rocblas_trtri_trsm_kernelILi128ELi16ELi8EdPKPKdPKPdEv13rocblas_fill_17rocblas_diagonal_T3_lilT4_lli.kd
    .uniform_work_group_size: 1
    .uses_dynamic_stack: false
    .vgpr_count:     63
    .vgpr_spill_count: 0
    .wavefront_size: 32
    .workgroup_processor_mode: 1
  - .args:
      - .address_space:  global
        .offset:         0
        .size:           8
        .value_kind:     global_buffer
      - .offset:         8
        .size:           4
        .value_kind:     by_value
      - .offset:         12
        .size:           4
        .value_kind:     by_value
      - .offset:         16
        .size:           8
        .value_kind:     by_value
      - .offset:         24
        .size:           4
        .value_kind:     by_value
      - .offset:         32
        .size:           8
        .value_kind:     by_value
      - .address_space:  global
        .offset:         40
        .size:           8
        .value_kind:     global_buffer
      - .offset:         48
        .size:           8
        .value_kind:     by_value
      - .offset:         56
        .size:           8
        .value_kind:     by_value
      - .offset:         64
        .size:           4
        .value_kind:     by_value
      - .offset:         68
        .size:           4
        .value_kind:     by_value
      - .offset:         72
        .size:           4
        .value_kind:     hidden_block_count_x
      - .offset:         76
        .size:           4
        .value_kind:     hidden_block_count_y
      - .offset:         80
        .size:           4
        .value_kind:     hidden_block_count_z
      - .offset:         84
        .size:           2
        .value_kind:     hidden_group_size_x
      - .offset:         86
        .size:           2
        .value_kind:     hidden_group_size_y
      - .offset:         88
        .size:           2
        .value_kind:     hidden_group_size_z
      - .offset:         90
        .size:           2
        .value_kind:     hidden_remainder_x
      - .offset:         92
        .size:           2
        .value_kind:     hidden_remainder_y
      - .offset:         94
        .size:           2
        .value_kind:     hidden_remainder_z
      - .offset:         112
        .size:           8
        .value_kind:     hidden_global_offset_x
      - .offset:         120
        .size:           8
        .value_kind:     hidden_global_offset_y
      - .offset:         128
        .size:           8
        .value_kind:     hidden_global_offset_z
      - .offset:         136
        .size:           2
        .value_kind:     hidden_grid_dims
    .group_segment_fixed_size: 0
    .kernarg_segment_align: 8
    .kernarg_segment_size: 328
    .language:       OpenCL C
    .language_version:
      - 2
      - 0
    .max_flat_workgroup_size: 128
    .name:           _ZL18rocblas_trtri_fillILi128EdPKPdEvP15_rocblas_handle13rocblas_fill_ililT1_llii
    .private_segment_fixed_size: 0
    .sgpr_count:     49
    .sgpr_spill_count: 0
    .symbol:         _ZL18rocblas_trtri_fillILi128EdPKPdEvP15_rocblas_handle13rocblas_fill_ililT1_llii.kd
    .uniform_work_group_size: 1
    .uses_dynamic_stack: false
    .vgpr_count:     26
    .vgpr_spill_count: 0
    .wavefront_size: 32
    .workgroup_processor_mode: 1
  - .args:
      - .offset:         0
        .size:           4
        .value_kind:     by_value
      - .offset:         4
        .size:           4
        .value_kind:     by_value
      - .offset:         8
        .size:           4
        .value_kind:     by_value
      - .address_space:  global
        .offset:         16
        .size:           8
        .value_kind:     global_buffer
      - .offset:         24
        .size:           4
        .value_kind:     by_value
      - .offset:         32
        .size:           8
        .value_kind:     by_value
      - .address_space:  global
        .offset:         40
        .size:           8
        .value_kind:     global_buffer
      - .offset:         48
        .size:           4
        .value_kind:     by_value
      - .offset:         56
        .size:           8
        .value_kind:     by_value
      - .offset:         64
        .size:           8
        .value_kind:     by_value
      - .offset:         72
        .size:           8
        .value_kind:     by_value
      - .offset:         80
        .size:           4
        .value_kind:     by_value
      - .offset:         88
        .size:           4
        .value_kind:     hidden_block_count_x
      - .offset:         92
        .size:           4
        .value_kind:     hidden_block_count_y
      - .offset:         96
        .size:           4
        .value_kind:     hidden_block_count_z
      - .offset:         100
        .size:           2
        .value_kind:     hidden_group_size_x
      - .offset:         102
        .size:           2
        .value_kind:     hidden_group_size_y
      - .offset:         104
        .size:           2
        .value_kind:     hidden_group_size_z
      - .offset:         106
        .size:           2
        .value_kind:     hidden_remainder_x
      - .offset:         108
        .size:           2
        .value_kind:     hidden_remainder_y
      - .offset:         110
        .size:           2
        .value_kind:     hidden_remainder_z
      - .offset:         128
        .size:           8
        .value_kind:     hidden_global_offset_x
      - .offset:         136
        .size:           8
        .value_kind:     hidden_global_offset_y
      - .offset:         144
        .size:           8
        .value_kind:     hidden_global_offset_z
      - .offset:         152
        .size:           2
        .value_kind:     hidden_grid_dims
    .group_segment_fixed_size: 0
    .kernarg_segment_align: 8
    .kernarg_segment_size: 344
    .language:       OpenCL C
    .language_version:
      - 2
      - 0
    .max_flat_workgroup_size: 1024
    .name:           _ZL24rocblas_copy_matrix_trsmILi128ELi8EdPKPKdPKPdEviiiT2_ilT3_illli
    .private_segment_fixed_size: 0
    .sgpr_count:     26
    .sgpr_spill_count: 0
    .symbol:         _ZL24rocblas_copy_matrix_trsmILi128ELi8EdPKPKdPKPdEviiiT2_ilT3_illli.kd
    .uniform_work_group_size: 1
    .uses_dynamic_stack: false
    .vgpr_count:     14
    .vgpr_spill_count: 0
    .wavefront_size: 32
    .workgroup_processor_mode: 1
  - .args:
      - .offset:         0
        .size:           8
        .value_kind:     by_value
      - .offset:         8
        .size:           8
        .value_kind:     by_value
      - .offset:         16
        .size:           4
        .value_kind:     by_value
      - .address_space:  global
        .offset:         24
        .size:           8
        .value_kind:     global_buffer
      - .offset:         32
        .size:           8
        .value_kind:     by_value
      - .offset:         40
        .size:           8
        .value_kind:     by_value
      - .offset:         48
        .size:           8
        .value_kind:     by_value
      - .offset:         56
        .size:           8
        .value_kind:     by_value
      - .offset:         64
        .size:           4
        .value_kind:     by_value
    .group_segment_fixed_size: 0
    .kernarg_segment_align: 8
    .kernarg_segment_size: 68
    .language:       OpenCL C
    .language_version:
      - 2
      - 0
    .max_flat_workgroup_size: 1024
    .name:           _ZL23rocblas_set_matrix_trsmILi128ELi8E19rocblas_complex_numIfEPKPS1_EvlliT2_llT1_li
    .private_segment_fixed_size: 0
    .sgpr_count:     18
    .sgpr_spill_count: 0
    .symbol:         _ZL23rocblas_set_matrix_trsmILi128ELi8E19rocblas_complex_numIfEPKPS1_EvlliT2_llT1_li.kd
    .uniform_work_group_size: 1
    .uses_dynamic_stack: false
    .vgpr_count:     8
    .vgpr_spill_count: 0
    .wavefront_size: 32
    .workgroup_processor_mode: 1
  - .args:
      - .offset:         0
        .size:           4
        .value_kind:     by_value
      - .offset:         4
        .size:           4
        .value_kind:     by_value
      - .offset:         8
        .size:           4
        .value_kind:     by_value
      - .offset:         12
        .size:           4
        .value_kind:     by_value
      - .offset:         16
        .size:           4
        .value_kind:     by_value
      - .offset:         20
        .size:           8
        .value_kind:     by_value
      - .address_space:  global
        .offset:         32
        .size:           8
        .value_kind:     global_buffer
      - .offset:         40
        .size:           8
        .value_kind:     by_value
      - .offset:         48
        .size:           4
        .value_kind:     by_value
      - .offset:         56
        .size:           8
        .value_kind:     by_value
      - .address_space:  global
        .offset:         64
        .size:           8
        .value_kind:     global_buffer
      - .offset:         72
        .size:           8
        .value_kind:     by_value
      - .offset:         80
        .size:           4
        .value_kind:     by_value
      - .offset:         88
        .size:           8
        .value_kind:     by_value
      - .offset:         96
        .size:           4
        .value_kind:     by_value
      - .offset:         104
        .size:           4
        .value_kind:     hidden_block_count_x
      - .offset:         108
        .size:           4
        .value_kind:     hidden_block_count_y
      - .offset:         112
        .size:           4
        .value_kind:     hidden_block_count_z
      - .offset:         116
        .size:           2
        .value_kind:     hidden_group_size_x
      - .offset:         118
        .size:           2
        .value_kind:     hidden_group_size_y
      - .offset:         120
        .size:           2
        .value_kind:     hidden_group_size_z
      - .offset:         122
        .size:           2
        .value_kind:     hidden_remainder_x
      - .offset:         124
        .size:           2
        .value_kind:     hidden_remainder_y
      - .offset:         126
        .size:           2
        .value_kind:     hidden_remainder_z
      - .offset:         144
        .size:           8
        .value_kind:     hidden_global_offset_x
      - .offset:         152
        .size:           8
        .value_kind:     hidden_global_offset_y
      - .offset:         160
        .size:           8
        .value_kind:     hidden_global_offset_z
      - .offset:         168
        .size:           2
        .value_kind:     hidden_grid_dims
    .group_segment_fixed_size: 384
    .kernarg_segment_align: 8
    .kernarg_segment_size: 360
    .language:       OpenCL C
    .language_version:
      - 2
      - 0
    .max_flat_workgroup_size: 4
    .name:           _ZL38rocblas_trsm_small_left_device_sharedBILi4ELi4ELb0E19rocblas_complex_numIfES1_PKPKS1_PKPS1_Ev13rocblas_fill_18rocblas_operation_17rocblas_diagonal_iiT3_T4_lilT5_lili
    .private_segment_fixed_size: 0
    .sgpr_count:     42
    .sgpr_spill_count: 0
    .symbol:         _ZL38rocblas_trsm_small_left_device_sharedBILi4ELi4ELb0E19rocblas_complex_numIfES1_PKPKS1_PKPS1_Ev13rocblas_fill_18rocblas_operation_17rocblas_diagonal_iiT3_T4_lilT5_lili.kd
    .uniform_work_group_size: 1
    .uses_dynamic_stack: false
    .vgpr_count:     24
    .vgpr_spill_count: 0
    .wavefront_size: 32
    .workgroup_processor_mode: 1
  - .args:
      - .offset:         0
        .size:           4
        .value_kind:     by_value
      - .offset:         4
        .size:           4
        .value_kind:     by_value
      - .offset:         8
        .size:           4
        .value_kind:     by_value
      - .offset:         12
        .size:           4
        .value_kind:     by_value
      - .offset:         16
        .size:           4
        .value_kind:     by_value
      - .offset:         20
        .size:           8
        .value_kind:     by_value
      - .address_space:  global
        .offset:         32
        .size:           8
        .value_kind:     global_buffer
      - .offset:         40
        .size:           8
        .value_kind:     by_value
      - .offset:         48
        .size:           4
        .value_kind:     by_value
      - .offset:         56
        .size:           8
        .value_kind:     by_value
      - .address_space:  global
        .offset:         64
        .size:           8
        .value_kind:     global_buffer
      - .offset:         72
        .size:           8
        .value_kind:     by_value
      - .offset:         80
        .size:           4
        .value_kind:     by_value
      - .offset:         88
        .size:           8
        .value_kind:     by_value
      - .offset:         96
        .size:           4
        .value_kind:     by_value
      - .offset:         104
        .size:           4
        .value_kind:     hidden_block_count_x
      - .offset:         108
        .size:           4
        .value_kind:     hidden_block_count_y
      - .offset:         112
        .size:           4
        .value_kind:     hidden_block_count_z
      - .offset:         116
        .size:           2
        .value_kind:     hidden_group_size_x
      - .offset:         118
        .size:           2
        .value_kind:     hidden_group_size_y
      - .offset:         120
        .size:           2
        .value_kind:     hidden_group_size_z
      - .offset:         122
        .size:           2
        .value_kind:     hidden_remainder_x
      - .offset:         124
        .size:           2
        .value_kind:     hidden_remainder_y
      - .offset:         126
        .size:           2
        .value_kind:     hidden_remainder_z
      - .offset:         144
        .size:           8
        .value_kind:     hidden_global_offset_x
      - .offset:         152
        .size:           8
        .value_kind:     hidden_global_offset_y
      - .offset:         160
        .size:           8
        .value_kind:     hidden_global_offset_z
      - .offset:         168
        .size:           2
        .value_kind:     hidden_grid_dims
    .group_segment_fixed_size: 256
    .kernarg_segment_align: 8
    .kernarg_segment_size: 360
    .language:       OpenCL C
    .language_version:
      - 2
      - 0
    .max_flat_workgroup_size: 4
    .name:           _ZL30rocblas_trsm_small_left_deviceILi4ELi4ELb0E19rocblas_complex_numIfES1_PKPKS1_PKPS1_Ev13rocblas_fill_18rocblas_operation_17rocblas_diagonal_iiT3_T4_lilT5_lili
    .private_segment_fixed_size: 0
    .sgpr_count:     42
    .sgpr_spill_count: 0
    .symbol:         _ZL30rocblas_trsm_small_left_deviceILi4ELi4ELb0E19rocblas_complex_numIfES1_PKPKS1_PKPS1_Ev13rocblas_fill_18rocblas_operation_17rocblas_diagonal_iiT3_T4_lilT5_lili.kd
    .uniform_work_group_size: 1
    .uses_dynamic_stack: false
    .vgpr_count:     28
    .vgpr_spill_count: 0
    .wavefront_size: 32
    .workgroup_processor_mode: 1
  - .args:
      - .offset:         0
        .size:           4
        .value_kind:     by_value
      - .offset:         4
        .size:           4
        .value_kind:     by_value
      - .offset:         8
        .size:           4
        .value_kind:     by_value
      - .offset:         12
        .size:           4
        .value_kind:     by_value
      - .offset:         16
        .size:           4
        .value_kind:     by_value
      - .offset:         20
        .size:           8
        .value_kind:     by_value
      - .address_space:  global
        .offset:         32
        .size:           8
        .value_kind:     global_buffer
      - .offset:         40
        .size:           8
        .value_kind:     by_value
      - .offset:         48
        .size:           4
        .value_kind:     by_value
      - .offset:         56
        .size:           8
        .value_kind:     by_value
      - .address_space:  global
        .offset:         64
        .size:           8
        .value_kind:     global_buffer
      - .offset:         72
        .size:           8
        .value_kind:     by_value
      - .offset:         80
        .size:           4
        .value_kind:     by_value
      - .offset:         88
        .size:           8
        .value_kind:     by_value
      - .offset:         96
        .size:           4
        .value_kind:     by_value
      - .offset:         104
        .size:           4
        .value_kind:     hidden_block_count_x
      - .offset:         108
        .size:           4
        .value_kind:     hidden_block_count_y
      - .offset:         112
        .size:           4
        .value_kind:     hidden_block_count_z
      - .offset:         116
        .size:           2
        .value_kind:     hidden_group_size_x
      - .offset:         118
        .size:           2
        .value_kind:     hidden_group_size_y
      - .offset:         120
        .size:           2
        .value_kind:     hidden_group_size_z
      - .offset:         122
        .size:           2
        .value_kind:     hidden_remainder_x
      - .offset:         124
        .size:           2
        .value_kind:     hidden_remainder_y
      - .offset:         126
        .size:           2
        .value_kind:     hidden_remainder_z
      - .offset:         144
        .size:           8
        .value_kind:     hidden_global_offset_x
      - .offset:         152
        .size:           8
        .value_kind:     hidden_global_offset_y
      - .offset:         160
        .size:           8
        .value_kind:     hidden_global_offset_z
      - .offset:         168
        .size:           2
        .value_kind:     hidden_grid_dims
    .group_segment_fixed_size: 384
    .kernarg_segment_align: 8
    .kernarg_segment_size: 360
    .language:       OpenCL C
    .language_version:
      - 2
      - 0
    .max_flat_workgroup_size: 4
    .name:           _ZL38rocblas_trsm_small_left_device_sharedBILi4ELi4ELb1E19rocblas_complex_numIfES1_PKPKS1_PKPS1_Ev13rocblas_fill_18rocblas_operation_17rocblas_diagonal_iiT3_T4_lilT5_lili
    .private_segment_fixed_size: 0
    .sgpr_count:     42
    .sgpr_spill_count: 0
    .symbol:         _ZL38rocblas_trsm_small_left_device_sharedBILi4ELi4ELb1E19rocblas_complex_numIfES1_PKPKS1_PKPS1_Ev13rocblas_fill_18rocblas_operation_17rocblas_diagonal_iiT3_T4_lilT5_lili.kd
    .uniform_work_group_size: 1
    .uses_dynamic_stack: false
    .vgpr_count:     24
    .vgpr_spill_count: 0
    .wavefront_size: 32
    .workgroup_processor_mode: 1
  - .args:
      - .offset:         0
        .size:           4
        .value_kind:     by_value
      - .offset:         4
        .size:           4
        .value_kind:     by_value
      - .offset:         8
        .size:           4
        .value_kind:     by_value
      - .offset:         12
        .size:           4
        .value_kind:     by_value
      - .offset:         16
        .size:           4
        .value_kind:     by_value
      - .offset:         20
        .size:           8
        .value_kind:     by_value
      - .address_space:  global
        .offset:         32
        .size:           8
        .value_kind:     global_buffer
      - .offset:         40
        .size:           8
        .value_kind:     by_value
      - .offset:         48
        .size:           4
        .value_kind:     by_value
      - .offset:         56
        .size:           8
        .value_kind:     by_value
      - .address_space:  global
        .offset:         64
        .size:           8
        .value_kind:     global_buffer
      - .offset:         72
        .size:           8
        .value_kind:     by_value
      - .offset:         80
        .size:           4
        .value_kind:     by_value
      - .offset:         88
        .size:           8
        .value_kind:     by_value
      - .offset:         96
        .size:           4
        .value_kind:     by_value
      - .offset:         104
        .size:           4
        .value_kind:     hidden_block_count_x
      - .offset:         108
        .size:           4
        .value_kind:     hidden_block_count_y
      - .offset:         112
        .size:           4
        .value_kind:     hidden_block_count_z
      - .offset:         116
        .size:           2
        .value_kind:     hidden_group_size_x
      - .offset:         118
        .size:           2
        .value_kind:     hidden_group_size_y
      - .offset:         120
        .size:           2
        .value_kind:     hidden_group_size_z
      - .offset:         122
        .size:           2
        .value_kind:     hidden_remainder_x
      - .offset:         124
        .size:           2
        .value_kind:     hidden_remainder_y
      - .offset:         126
        .size:           2
        .value_kind:     hidden_remainder_z
      - .offset:         144
        .size:           8
        .value_kind:     hidden_global_offset_x
      - .offset:         152
        .size:           8
        .value_kind:     hidden_global_offset_y
      - .offset:         160
        .size:           8
        .value_kind:     hidden_global_offset_z
      - .offset:         168
        .size:           2
        .value_kind:     hidden_grid_dims
    .group_segment_fixed_size: 256
    .kernarg_segment_align: 8
    .kernarg_segment_size: 360
    .language:       OpenCL C
    .language_version:
      - 2
      - 0
    .max_flat_workgroup_size: 4
    .name:           _ZL30rocblas_trsm_small_left_deviceILi4ELi4ELb1E19rocblas_complex_numIfES1_PKPKS1_PKPS1_Ev13rocblas_fill_18rocblas_operation_17rocblas_diagonal_iiT3_T4_lilT5_lili
    .private_segment_fixed_size: 0
    .sgpr_count:     42
    .sgpr_spill_count: 0
    .symbol:         _ZL30rocblas_trsm_small_left_deviceILi4ELi4ELb1E19rocblas_complex_numIfES1_PKPKS1_PKPS1_Ev13rocblas_fill_18rocblas_operation_17rocblas_diagonal_iiT3_T4_lilT5_lili.kd
    .uniform_work_group_size: 1
    .uses_dynamic_stack: false
    .vgpr_count:     26
    .vgpr_spill_count: 0
    .wavefront_size: 32
    .workgroup_processor_mode: 1
  - .args:
      - .offset:         0
        .size:           4
        .value_kind:     by_value
      - .offset:         4
        .size:           4
        .value_kind:     by_value
      - .offset:         8
        .size:           4
        .value_kind:     by_value
      - .offset:         12
        .size:           4
        .value_kind:     by_value
      - .offset:         16
        .size:           4
        .value_kind:     by_value
      - .offset:         20
        .size:           8
        .value_kind:     by_value
      - .address_space:  global
        .offset:         32
        .size:           8
        .value_kind:     global_buffer
      - .offset:         40
        .size:           8
        .value_kind:     by_value
      - .offset:         48
        .size:           4
        .value_kind:     by_value
      - .offset:         56
        .size:           8
        .value_kind:     by_value
      - .address_space:  global
        .offset:         64
        .size:           8
        .value_kind:     global_buffer
      - .offset:         72
        .size:           8
        .value_kind:     by_value
      - .offset:         80
        .size:           4
        .value_kind:     by_value
      - .offset:         88
        .size:           8
        .value_kind:     by_value
      - .offset:         96
        .size:           4
        .value_kind:     by_value
      - .offset:         104
        .size:           4
        .value_kind:     hidden_block_count_x
      - .offset:         108
        .size:           4
        .value_kind:     hidden_block_count_y
      - .offset:         112
        .size:           4
        .value_kind:     hidden_block_count_z
      - .offset:         116
        .size:           2
        .value_kind:     hidden_group_size_x
      - .offset:         118
        .size:           2
        .value_kind:     hidden_group_size_y
      - .offset:         120
        .size:           2
        .value_kind:     hidden_group_size_z
      - .offset:         122
        .size:           2
        .value_kind:     hidden_remainder_x
      - .offset:         124
        .size:           2
        .value_kind:     hidden_remainder_y
      - .offset:         126
        .size:           2
        .value_kind:     hidden_remainder_z
      - .offset:         144
        .size:           8
        .value_kind:     hidden_global_offset_x
      - .offset:         152
        .size:           8
        .value_kind:     hidden_global_offset_y
      - .offset:         160
        .size:           8
        .value_kind:     hidden_global_offset_z
      - .offset:         168
        .size:           2
        .value_kind:     hidden_grid_dims
    .group_segment_fixed_size: 256
    .kernarg_segment_align: 8
    .kernarg_segment_size: 360
    .language:       OpenCL C
    .language_version:
      - 2
      - 0
    .max_flat_workgroup_size: 4
    .name:           _ZL31rocblas_trsm_small_right_deviceI19rocblas_complex_numIfES1_PKPKS1_PKPS1_Li4EEv13rocblas_fill_18rocblas_operation_17rocblas_diagonal_iiT0_T1_lilT2_lili
    .private_segment_fixed_size: 0
    .sgpr_count:     56
    .sgpr_spill_count: 0
    .symbol:         _ZL31rocblas_trsm_small_right_deviceI19rocblas_complex_numIfES1_PKPKS1_PKPS1_Li4EEv13rocblas_fill_18rocblas_operation_17rocblas_diagonal_iiT0_T1_lilT2_lili.kd
    .uniform_work_group_size: 1
    .uses_dynamic_stack: false
    .vgpr_count:     37
    .vgpr_spill_count: 0
    .wavefront_size: 32
    .workgroup_processor_mode: 1
  - .args:
      - .offset:         0
        .size:           4
        .value_kind:     by_value
      - .offset:         4
        .size:           4
        .value_kind:     by_value
      - .offset:         8
        .size:           4
        .value_kind:     by_value
      - .offset:         12
        .size:           4
        .value_kind:     by_value
      - .offset:         16
        .size:           4
        .value_kind:     by_value
      - .offset:         20
        .size:           8
        .value_kind:     by_value
      - .address_space:  global
        .offset:         32
        .size:           8
        .value_kind:     global_buffer
      - .offset:         40
        .size:           8
        .value_kind:     by_value
      - .offset:         48
        .size:           4
        .value_kind:     by_value
      - .offset:         56
        .size:           8
        .value_kind:     by_value
      - .address_space:  global
        .offset:         64
        .size:           8
        .value_kind:     global_buffer
      - .offset:         72
        .size:           8
        .value_kind:     by_value
      - .offset:         80
        .size:           4
        .value_kind:     by_value
      - .offset:         88
        .size:           8
        .value_kind:     by_value
      - .offset:         96
        .size:           4
        .value_kind:     by_value
      - .offset:         104
        .size:           4
        .value_kind:     hidden_block_count_x
      - .offset:         108
        .size:           4
        .value_kind:     hidden_block_count_y
      - .offset:         112
        .size:           4
        .value_kind:     hidden_block_count_z
      - .offset:         116
        .size:           2
        .value_kind:     hidden_group_size_x
      - .offset:         118
        .size:           2
        .value_kind:     hidden_group_size_y
      - .offset:         120
        .size:           2
        .value_kind:     hidden_group_size_z
      - .offset:         122
        .size:           2
        .value_kind:     hidden_remainder_x
      - .offset:         124
        .size:           2
        .value_kind:     hidden_remainder_y
      - .offset:         126
        .size:           2
        .value_kind:     hidden_remainder_z
      - .offset:         144
        .size:           8
        .value_kind:     hidden_global_offset_x
      - .offset:         152
        .size:           8
        .value_kind:     hidden_global_offset_y
      - .offset:         160
        .size:           8
        .value_kind:     hidden_global_offset_z
      - .offset:         168
        .size:           2
        .value_kind:     hidden_grid_dims
    .group_segment_fixed_size: 1536
    .kernarg_segment_align: 8
    .kernarg_segment_size: 360
    .language:       OpenCL C
    .language_version:
      - 2
      - 0
    .max_flat_workgroup_size: 8
    .name:           _ZL38rocblas_trsm_small_left_device_sharedBILi8ELi8ELb0E19rocblas_complex_numIfES1_PKPKS1_PKPS1_Ev13rocblas_fill_18rocblas_operation_17rocblas_diagonal_iiT3_T4_lilT5_lili
    .private_segment_fixed_size: 0
    .sgpr_count:     42
    .sgpr_spill_count: 0
    .symbol:         _ZL38rocblas_trsm_small_left_device_sharedBILi8ELi8ELb0E19rocblas_complex_numIfES1_PKPKS1_PKPS1_Ev13rocblas_fill_18rocblas_operation_17rocblas_diagonal_iiT3_T4_lilT5_lili.kd
    .uniform_work_group_size: 1
    .uses_dynamic_stack: false
    .vgpr_count:     24
    .vgpr_spill_count: 0
    .wavefront_size: 32
    .workgroup_processor_mode: 1
  - .args:
      - .offset:         0
        .size:           4
        .value_kind:     by_value
      - .offset:         4
        .size:           4
        .value_kind:     by_value
      - .offset:         8
        .size:           4
        .value_kind:     by_value
      - .offset:         12
        .size:           4
        .value_kind:     by_value
      - .offset:         16
        .size:           4
        .value_kind:     by_value
      - .offset:         20
        .size:           8
        .value_kind:     by_value
      - .address_space:  global
        .offset:         32
        .size:           8
        .value_kind:     global_buffer
      - .offset:         40
        .size:           8
        .value_kind:     by_value
      - .offset:         48
        .size:           4
        .value_kind:     by_value
      - .offset:         56
        .size:           8
        .value_kind:     by_value
      - .address_space:  global
        .offset:         64
        .size:           8
        .value_kind:     global_buffer
      - .offset:         72
        .size:           8
        .value_kind:     by_value
      - .offset:         80
        .size:           4
        .value_kind:     by_value
      - .offset:         88
        .size:           8
        .value_kind:     by_value
      - .offset:         96
        .size:           4
        .value_kind:     by_value
      - .offset:         104
        .size:           4
        .value_kind:     hidden_block_count_x
      - .offset:         108
        .size:           4
        .value_kind:     hidden_block_count_y
      - .offset:         112
        .size:           4
        .value_kind:     hidden_block_count_z
      - .offset:         116
        .size:           2
        .value_kind:     hidden_group_size_x
      - .offset:         118
        .size:           2
        .value_kind:     hidden_group_size_y
      - .offset:         120
        .size:           2
        .value_kind:     hidden_group_size_z
      - .offset:         122
        .size:           2
        .value_kind:     hidden_remainder_x
      - .offset:         124
        .size:           2
        .value_kind:     hidden_remainder_y
      - .offset:         126
        .size:           2
        .value_kind:     hidden_remainder_z
      - .offset:         144
        .size:           8
        .value_kind:     hidden_global_offset_x
      - .offset:         152
        .size:           8
        .value_kind:     hidden_global_offset_y
      - .offset:         160
        .size:           8
        .value_kind:     hidden_global_offset_z
      - .offset:         168
        .size:           2
        .value_kind:     hidden_grid_dims
    .group_segment_fixed_size: 1024
    .kernarg_segment_align: 8
    .kernarg_segment_size: 360
    .language:       OpenCL C
    .language_version:
      - 2
      - 0
    .max_flat_workgroup_size: 8
    .name:           _ZL30rocblas_trsm_small_left_deviceILi8ELi8ELb0E19rocblas_complex_numIfES1_PKPKS1_PKPS1_Ev13rocblas_fill_18rocblas_operation_17rocblas_diagonal_iiT3_T4_lilT5_lili
    .private_segment_fixed_size: 0
    .sgpr_count:     42
    .sgpr_spill_count: 0
    .symbol:         _ZL30rocblas_trsm_small_left_deviceILi8ELi8ELb0E19rocblas_complex_numIfES1_PKPKS1_PKPS1_Ev13rocblas_fill_18rocblas_operation_17rocblas_diagonal_iiT3_T4_lilT5_lili.kd
    .uniform_work_group_size: 1
    .uses_dynamic_stack: false
    .vgpr_count:     28
    .vgpr_spill_count: 0
    .wavefront_size: 32
    .workgroup_processor_mode: 1
  - .args:
      - .offset:         0
        .size:           4
        .value_kind:     by_value
      - .offset:         4
        .size:           4
        .value_kind:     by_value
      - .offset:         8
        .size:           4
        .value_kind:     by_value
      - .offset:         12
        .size:           4
        .value_kind:     by_value
      - .offset:         16
        .size:           4
        .value_kind:     by_value
      - .offset:         20
        .size:           8
        .value_kind:     by_value
      - .address_space:  global
        .offset:         32
        .size:           8
        .value_kind:     global_buffer
      - .offset:         40
        .size:           8
        .value_kind:     by_value
      - .offset:         48
        .size:           4
        .value_kind:     by_value
      - .offset:         56
        .size:           8
        .value_kind:     by_value
      - .address_space:  global
        .offset:         64
        .size:           8
        .value_kind:     global_buffer
      - .offset:         72
        .size:           8
        .value_kind:     by_value
      - .offset:         80
        .size:           4
        .value_kind:     by_value
      - .offset:         88
        .size:           8
        .value_kind:     by_value
      - .offset:         96
        .size:           4
        .value_kind:     by_value
      - .offset:         104
        .size:           4
        .value_kind:     hidden_block_count_x
      - .offset:         108
        .size:           4
        .value_kind:     hidden_block_count_y
      - .offset:         112
        .size:           4
        .value_kind:     hidden_block_count_z
      - .offset:         116
        .size:           2
        .value_kind:     hidden_group_size_x
      - .offset:         118
        .size:           2
        .value_kind:     hidden_group_size_y
      - .offset:         120
        .size:           2
        .value_kind:     hidden_group_size_z
      - .offset:         122
        .size:           2
        .value_kind:     hidden_remainder_x
      - .offset:         124
        .size:           2
        .value_kind:     hidden_remainder_y
      - .offset:         126
        .size:           2
        .value_kind:     hidden_remainder_z
      - .offset:         144
        .size:           8
        .value_kind:     hidden_global_offset_x
      - .offset:         152
        .size:           8
        .value_kind:     hidden_global_offset_y
      - .offset:         160
        .size:           8
        .value_kind:     hidden_global_offset_z
      - .offset:         168
        .size:           2
        .value_kind:     hidden_grid_dims
    .group_segment_fixed_size: 1536
    .kernarg_segment_align: 8
    .kernarg_segment_size: 360
    .language:       OpenCL C
    .language_version:
      - 2
      - 0
    .max_flat_workgroup_size: 8
    .name:           _ZL38rocblas_trsm_small_left_device_sharedBILi8ELi8ELb1E19rocblas_complex_numIfES1_PKPKS1_PKPS1_Ev13rocblas_fill_18rocblas_operation_17rocblas_diagonal_iiT3_T4_lilT5_lili
    .private_segment_fixed_size: 0
    .sgpr_count:     42
    .sgpr_spill_count: 0
    .symbol:         _ZL38rocblas_trsm_small_left_device_sharedBILi8ELi8ELb1E19rocblas_complex_numIfES1_PKPKS1_PKPS1_Ev13rocblas_fill_18rocblas_operation_17rocblas_diagonal_iiT3_T4_lilT5_lili.kd
    .uniform_work_group_size: 1
    .uses_dynamic_stack: false
    .vgpr_count:     24
    .vgpr_spill_count: 0
    .wavefront_size: 32
    .workgroup_processor_mode: 1
  - .args:
      - .offset:         0
        .size:           4
        .value_kind:     by_value
      - .offset:         4
        .size:           4
        .value_kind:     by_value
      - .offset:         8
        .size:           4
        .value_kind:     by_value
      - .offset:         12
        .size:           4
        .value_kind:     by_value
      - .offset:         16
        .size:           4
        .value_kind:     by_value
      - .offset:         20
        .size:           8
        .value_kind:     by_value
      - .address_space:  global
        .offset:         32
        .size:           8
        .value_kind:     global_buffer
      - .offset:         40
        .size:           8
        .value_kind:     by_value
      - .offset:         48
        .size:           4
        .value_kind:     by_value
      - .offset:         56
        .size:           8
        .value_kind:     by_value
      - .address_space:  global
        .offset:         64
        .size:           8
        .value_kind:     global_buffer
      - .offset:         72
        .size:           8
        .value_kind:     by_value
      - .offset:         80
        .size:           4
        .value_kind:     by_value
      - .offset:         88
        .size:           8
        .value_kind:     by_value
      - .offset:         96
        .size:           4
        .value_kind:     by_value
      - .offset:         104
        .size:           4
        .value_kind:     hidden_block_count_x
      - .offset:         108
        .size:           4
        .value_kind:     hidden_block_count_y
      - .offset:         112
        .size:           4
        .value_kind:     hidden_block_count_z
      - .offset:         116
        .size:           2
        .value_kind:     hidden_group_size_x
      - .offset:         118
        .size:           2
        .value_kind:     hidden_group_size_y
      - .offset:         120
        .size:           2
        .value_kind:     hidden_group_size_z
      - .offset:         122
        .size:           2
        .value_kind:     hidden_remainder_x
      - .offset:         124
        .size:           2
        .value_kind:     hidden_remainder_y
      - .offset:         126
        .size:           2
        .value_kind:     hidden_remainder_z
      - .offset:         144
        .size:           8
        .value_kind:     hidden_global_offset_x
      - .offset:         152
        .size:           8
        .value_kind:     hidden_global_offset_y
      - .offset:         160
        .size:           8
        .value_kind:     hidden_global_offset_z
      - .offset:         168
        .size:           2
        .value_kind:     hidden_grid_dims
    .group_segment_fixed_size: 1024
    .kernarg_segment_align: 8
    .kernarg_segment_size: 360
    .language:       OpenCL C
    .language_version:
      - 2
      - 0
    .max_flat_workgroup_size: 8
    .name:           _ZL30rocblas_trsm_small_left_deviceILi8ELi8ELb1E19rocblas_complex_numIfES1_PKPKS1_PKPS1_Ev13rocblas_fill_18rocblas_operation_17rocblas_diagonal_iiT3_T4_lilT5_lili
    .private_segment_fixed_size: 0
    .sgpr_count:     42
    .sgpr_spill_count: 0
    .symbol:         _ZL30rocblas_trsm_small_left_deviceILi8ELi8ELb1E19rocblas_complex_numIfES1_PKPKS1_PKPS1_Ev13rocblas_fill_18rocblas_operation_17rocblas_diagonal_iiT3_T4_lilT5_lili.kd
    .uniform_work_group_size: 1
    .uses_dynamic_stack: false
    .vgpr_count:     26
    .vgpr_spill_count: 0
    .wavefront_size: 32
    .workgroup_processor_mode: 1
  - .args:
      - .offset:         0
        .size:           4
        .value_kind:     by_value
      - .offset:         4
        .size:           4
        .value_kind:     by_value
      - .offset:         8
        .size:           4
        .value_kind:     by_value
      - .offset:         12
        .size:           4
        .value_kind:     by_value
      - .offset:         16
        .size:           4
        .value_kind:     by_value
      - .offset:         20
        .size:           8
        .value_kind:     by_value
      - .address_space:  global
        .offset:         32
        .size:           8
        .value_kind:     global_buffer
      - .offset:         40
        .size:           8
        .value_kind:     by_value
      - .offset:         48
        .size:           4
        .value_kind:     by_value
      - .offset:         56
        .size:           8
        .value_kind:     by_value
      - .address_space:  global
        .offset:         64
        .size:           8
        .value_kind:     global_buffer
      - .offset:         72
        .size:           8
        .value_kind:     by_value
      - .offset:         80
        .size:           4
        .value_kind:     by_value
      - .offset:         88
        .size:           8
        .value_kind:     by_value
      - .offset:         96
        .size:           4
        .value_kind:     by_value
      - .offset:         104
        .size:           4
        .value_kind:     hidden_block_count_x
      - .offset:         108
        .size:           4
        .value_kind:     hidden_block_count_y
      - .offset:         112
        .size:           4
        .value_kind:     hidden_block_count_z
      - .offset:         116
        .size:           2
        .value_kind:     hidden_group_size_x
      - .offset:         118
        .size:           2
        .value_kind:     hidden_group_size_y
      - .offset:         120
        .size:           2
        .value_kind:     hidden_group_size_z
      - .offset:         122
        .size:           2
        .value_kind:     hidden_remainder_x
      - .offset:         124
        .size:           2
        .value_kind:     hidden_remainder_y
      - .offset:         126
        .size:           2
        .value_kind:     hidden_remainder_z
      - .offset:         144
        .size:           8
        .value_kind:     hidden_global_offset_x
      - .offset:         152
        .size:           8
        .value_kind:     hidden_global_offset_y
      - .offset:         160
        .size:           8
        .value_kind:     hidden_global_offset_z
      - .offset:         168
        .size:           2
        .value_kind:     hidden_grid_dims
    .group_segment_fixed_size: 1024
    .kernarg_segment_align: 8
    .kernarg_segment_size: 360
    .language:       OpenCL C
    .language_version:
      - 2
      - 0
    .max_flat_workgroup_size: 8
    .name:           _ZL31rocblas_trsm_small_right_deviceI19rocblas_complex_numIfES1_PKPKS1_PKPS1_Li8EEv13rocblas_fill_18rocblas_operation_17rocblas_diagonal_iiT0_T1_lilT2_lili
    .private_segment_fixed_size: 0
    .sgpr_count:     44
    .sgpr_spill_count: 0
    .symbol:         _ZL31rocblas_trsm_small_right_deviceI19rocblas_complex_numIfES1_PKPKS1_PKPS1_Li8EEv13rocblas_fill_18rocblas_operation_17rocblas_diagonal_iiT0_T1_lilT2_lili.kd
    .uniform_work_group_size: 1
    .uses_dynamic_stack: false
    .vgpr_count:     42
    .vgpr_spill_count: 0
    .wavefront_size: 32
    .workgroup_processor_mode: 1
  - .args:
      - .offset:         0
        .size:           4
        .value_kind:     by_value
      - .offset:         4
        .size:           4
        .value_kind:     by_value
      - .offset:         8
        .size:           4
        .value_kind:     by_value
      - .offset:         12
        .size:           4
        .value_kind:     by_value
      - .offset:         16
        .size:           4
        .value_kind:     by_value
      - .offset:         20
        .size:           8
        .value_kind:     by_value
      - .address_space:  global
        .offset:         32
        .size:           8
        .value_kind:     global_buffer
      - .offset:         40
        .size:           8
        .value_kind:     by_value
      - .offset:         48
        .size:           4
        .value_kind:     by_value
      - .offset:         56
        .size:           8
        .value_kind:     by_value
      - .address_space:  global
        .offset:         64
        .size:           8
        .value_kind:     global_buffer
      - .offset:         72
        .size:           8
        .value_kind:     by_value
      - .offset:         80
        .size:           4
        .value_kind:     by_value
      - .offset:         88
        .size:           8
        .value_kind:     by_value
      - .offset:         96
        .size:           4
        .value_kind:     by_value
      - .offset:         104
        .size:           4
        .value_kind:     hidden_block_count_x
      - .offset:         108
        .size:           4
        .value_kind:     hidden_block_count_y
      - .offset:         112
        .size:           4
        .value_kind:     hidden_block_count_z
      - .offset:         116
        .size:           2
        .value_kind:     hidden_group_size_x
      - .offset:         118
        .size:           2
        .value_kind:     hidden_group_size_y
      - .offset:         120
        .size:           2
        .value_kind:     hidden_group_size_z
      - .offset:         122
        .size:           2
        .value_kind:     hidden_remainder_x
      - .offset:         124
        .size:           2
        .value_kind:     hidden_remainder_y
      - .offset:         126
        .size:           2
        .value_kind:     hidden_remainder_z
      - .offset:         144
        .size:           8
        .value_kind:     hidden_global_offset_x
      - .offset:         152
        .size:           8
        .value_kind:     hidden_global_offset_y
      - .offset:         160
        .size:           8
        .value_kind:     hidden_global_offset_z
      - .offset:         168
        .size:           2
        .value_kind:     hidden_grid_dims
    .group_segment_fixed_size: 2304
    .kernarg_segment_align: 8
    .kernarg_segment_size: 360
    .language:       OpenCL C
    .language_version:
      - 2
      - 0
    .max_flat_workgroup_size: 12
    .name:           _ZL38rocblas_trsm_small_left_device_sharedBILi12ELi12ELb0E19rocblas_complex_numIfES1_PKPKS1_PKPS1_Ev13rocblas_fill_18rocblas_operation_17rocblas_diagonal_iiT3_T4_lilT5_lili
    .private_segment_fixed_size: 112
    .sgpr_count:     45
    .sgpr_spill_count: 0
    .symbol:         _ZL38rocblas_trsm_small_left_device_sharedBILi12ELi12ELb0E19rocblas_complex_numIfES1_PKPKS1_PKPS1_Ev13rocblas_fill_18rocblas_operation_17rocblas_diagonal_iiT3_T4_lilT5_lili.kd
    .uniform_work_group_size: 1
    .uses_dynamic_stack: false
    .vgpr_count:     22
    .vgpr_spill_count: 0
    .wavefront_size: 32
    .workgroup_processor_mode: 1
  - .args:
      - .offset:         0
        .size:           4
        .value_kind:     by_value
      - .offset:         4
        .size:           4
        .value_kind:     by_value
      - .offset:         8
        .size:           4
        .value_kind:     by_value
      - .offset:         12
        .size:           4
        .value_kind:     by_value
      - .offset:         16
        .size:           4
        .value_kind:     by_value
      - .offset:         20
        .size:           8
        .value_kind:     by_value
      - .address_space:  global
        .offset:         32
        .size:           8
        .value_kind:     global_buffer
      - .offset:         40
        .size:           8
        .value_kind:     by_value
      - .offset:         48
        .size:           4
        .value_kind:     by_value
      - .offset:         56
        .size:           8
        .value_kind:     by_value
      - .address_space:  global
        .offset:         64
        .size:           8
        .value_kind:     global_buffer
      - .offset:         72
        .size:           8
        .value_kind:     by_value
      - .offset:         80
        .size:           4
        .value_kind:     by_value
      - .offset:         88
        .size:           8
        .value_kind:     by_value
      - .offset:         96
        .size:           4
        .value_kind:     by_value
      - .offset:         104
        .size:           4
        .value_kind:     hidden_block_count_x
      - .offset:         108
        .size:           4
        .value_kind:     hidden_block_count_y
      - .offset:         112
        .size:           4
        .value_kind:     hidden_block_count_z
      - .offset:         116
        .size:           2
        .value_kind:     hidden_group_size_x
      - .offset:         118
        .size:           2
        .value_kind:     hidden_group_size_y
      - .offset:         120
        .size:           2
        .value_kind:     hidden_group_size_z
      - .offset:         122
        .size:           2
        .value_kind:     hidden_remainder_x
      - .offset:         124
        .size:           2
        .value_kind:     hidden_remainder_y
      - .offset:         126
        .size:           2
        .value_kind:     hidden_remainder_z
      - .offset:         144
        .size:           8
        .value_kind:     hidden_global_offset_x
      - .offset:         152
        .size:           8
        .value_kind:     hidden_global_offset_y
      - .offset:         160
        .size:           8
        .value_kind:     hidden_global_offset_z
      - .offset:         168
        .size:           2
        .value_kind:     hidden_grid_dims
    .group_segment_fixed_size: 1152
    .kernarg_segment_align: 8
    .kernarg_segment_size: 360
    .language:       OpenCL C
    .language_version:
      - 2
      - 0
    .max_flat_workgroup_size: 12
    .name:           _ZL30rocblas_trsm_small_left_deviceILi12ELi12ELb0E19rocblas_complex_numIfES1_PKPKS1_PKPS1_Ev13rocblas_fill_18rocblas_operation_17rocblas_diagonal_iiT3_T4_lilT5_lili
    .private_segment_fixed_size: 112
    .sgpr_count:     47
    .sgpr_spill_count: 0
    .symbol:         _ZL30rocblas_trsm_small_left_deviceILi12ELi12ELb0E19rocblas_complex_numIfES1_PKPKS1_PKPS1_Ev13rocblas_fill_18rocblas_operation_17rocblas_diagonal_iiT3_T4_lilT5_lili.kd
    .uniform_work_group_size: 1
    .uses_dynamic_stack: false
    .vgpr_count:     25
    .vgpr_spill_count: 0
    .wavefront_size: 32
    .workgroup_processor_mode: 1
  - .args:
      - .offset:         0
        .size:           4
        .value_kind:     by_value
      - .offset:         4
        .size:           4
        .value_kind:     by_value
      - .offset:         8
        .size:           4
        .value_kind:     by_value
      - .offset:         12
        .size:           4
        .value_kind:     by_value
      - .offset:         16
        .size:           4
        .value_kind:     by_value
      - .offset:         20
        .size:           8
        .value_kind:     by_value
      - .address_space:  global
        .offset:         32
        .size:           8
        .value_kind:     global_buffer
      - .offset:         40
        .size:           8
        .value_kind:     by_value
      - .offset:         48
        .size:           4
        .value_kind:     by_value
      - .offset:         56
        .size:           8
        .value_kind:     by_value
      - .address_space:  global
        .offset:         64
        .size:           8
        .value_kind:     global_buffer
      - .offset:         72
        .size:           8
        .value_kind:     by_value
      - .offset:         80
        .size:           4
        .value_kind:     by_value
      - .offset:         88
        .size:           8
        .value_kind:     by_value
      - .offset:         96
        .size:           4
        .value_kind:     by_value
      - .offset:         104
        .size:           4
        .value_kind:     hidden_block_count_x
      - .offset:         108
        .size:           4
        .value_kind:     hidden_block_count_y
      - .offset:         112
        .size:           4
        .value_kind:     hidden_block_count_z
      - .offset:         116
        .size:           2
        .value_kind:     hidden_group_size_x
      - .offset:         118
        .size:           2
        .value_kind:     hidden_group_size_y
      - .offset:         120
        .size:           2
        .value_kind:     hidden_group_size_z
      - .offset:         122
        .size:           2
        .value_kind:     hidden_remainder_x
      - .offset:         124
        .size:           2
        .value_kind:     hidden_remainder_y
      - .offset:         126
        .size:           2
        .value_kind:     hidden_remainder_z
      - .offset:         144
        .size:           8
        .value_kind:     hidden_global_offset_x
      - .offset:         152
        .size:           8
        .value_kind:     hidden_global_offset_y
      - .offset:         160
        .size:           8
        .value_kind:     hidden_global_offset_z
      - .offset:         168
        .size:           2
        .value_kind:     hidden_grid_dims
    .group_segment_fixed_size: 2304
    .kernarg_segment_align: 8
    .kernarg_segment_size: 360
    .language:       OpenCL C
    .language_version:
      - 2
      - 0
    .max_flat_workgroup_size: 12
    .name:           _ZL38rocblas_trsm_small_left_device_sharedBILi12ELi12ELb1E19rocblas_complex_numIfES1_PKPKS1_PKPS1_Ev13rocblas_fill_18rocblas_operation_17rocblas_diagonal_iiT3_T4_lilT5_lili
    .private_segment_fixed_size: 112
    .sgpr_count:     45
    .sgpr_spill_count: 0
    .symbol:         _ZL38rocblas_trsm_small_left_device_sharedBILi12ELi12ELb1E19rocblas_complex_numIfES1_PKPKS1_PKPS1_Ev13rocblas_fill_18rocblas_operation_17rocblas_diagonal_iiT3_T4_lilT5_lili.kd
    .uniform_work_group_size: 1
    .uses_dynamic_stack: false
    .vgpr_count:     22
    .vgpr_spill_count: 0
    .wavefront_size: 32
    .workgroup_processor_mode: 1
  - .args:
      - .offset:         0
        .size:           4
        .value_kind:     by_value
      - .offset:         4
        .size:           4
        .value_kind:     by_value
      - .offset:         8
        .size:           4
        .value_kind:     by_value
      - .offset:         12
        .size:           4
        .value_kind:     by_value
      - .offset:         16
        .size:           4
        .value_kind:     by_value
      - .offset:         20
        .size:           8
        .value_kind:     by_value
      - .address_space:  global
        .offset:         32
        .size:           8
        .value_kind:     global_buffer
      - .offset:         40
        .size:           8
        .value_kind:     by_value
      - .offset:         48
        .size:           4
        .value_kind:     by_value
      - .offset:         56
        .size:           8
        .value_kind:     by_value
      - .address_space:  global
        .offset:         64
        .size:           8
        .value_kind:     global_buffer
      - .offset:         72
        .size:           8
        .value_kind:     by_value
      - .offset:         80
        .size:           4
        .value_kind:     by_value
      - .offset:         88
        .size:           8
        .value_kind:     by_value
      - .offset:         96
        .size:           4
        .value_kind:     by_value
      - .offset:         104
        .size:           4
        .value_kind:     hidden_block_count_x
      - .offset:         108
        .size:           4
        .value_kind:     hidden_block_count_y
      - .offset:         112
        .size:           4
        .value_kind:     hidden_block_count_z
      - .offset:         116
        .size:           2
        .value_kind:     hidden_group_size_x
      - .offset:         118
        .size:           2
        .value_kind:     hidden_group_size_y
      - .offset:         120
        .size:           2
        .value_kind:     hidden_group_size_z
      - .offset:         122
        .size:           2
        .value_kind:     hidden_remainder_x
      - .offset:         124
        .size:           2
        .value_kind:     hidden_remainder_y
      - .offset:         126
        .size:           2
        .value_kind:     hidden_remainder_z
      - .offset:         144
        .size:           8
        .value_kind:     hidden_global_offset_x
      - .offset:         152
        .size:           8
        .value_kind:     hidden_global_offset_y
      - .offset:         160
        .size:           8
        .value_kind:     hidden_global_offset_z
      - .offset:         168
        .size:           2
        .value_kind:     hidden_grid_dims
    .group_segment_fixed_size: 1152
    .kernarg_segment_align: 8
    .kernarg_segment_size: 360
    .language:       OpenCL C
    .language_version:
      - 2
      - 0
    .max_flat_workgroup_size: 12
    .name:           _ZL30rocblas_trsm_small_left_deviceILi12ELi12ELb1E19rocblas_complex_numIfES1_PKPKS1_PKPS1_Ev13rocblas_fill_18rocblas_operation_17rocblas_diagonal_iiT3_T4_lilT5_lili
    .private_segment_fixed_size: 112
    .sgpr_count:     46
    .sgpr_spill_count: 0
    .symbol:         _ZL30rocblas_trsm_small_left_deviceILi12ELi12ELb1E19rocblas_complex_numIfES1_PKPKS1_PKPS1_Ev13rocblas_fill_18rocblas_operation_17rocblas_diagonal_iiT3_T4_lilT5_lili.kd
    .uniform_work_group_size: 1
    .uses_dynamic_stack: false
    .vgpr_count:     23
    .vgpr_spill_count: 0
    .wavefront_size: 32
    .workgroup_processor_mode: 1
  - .args:
      - .offset:         0
        .size:           4
        .value_kind:     by_value
      - .offset:         4
        .size:           4
        .value_kind:     by_value
      - .offset:         8
        .size:           4
        .value_kind:     by_value
      - .offset:         12
        .size:           4
        .value_kind:     by_value
      - .offset:         16
        .size:           4
        .value_kind:     by_value
      - .offset:         20
        .size:           8
        .value_kind:     by_value
      - .address_space:  global
        .offset:         32
        .size:           8
        .value_kind:     global_buffer
      - .offset:         40
        .size:           8
        .value_kind:     by_value
      - .offset:         48
        .size:           4
        .value_kind:     by_value
      - .offset:         56
        .size:           8
        .value_kind:     by_value
      - .address_space:  global
        .offset:         64
        .size:           8
        .value_kind:     global_buffer
      - .offset:         72
        .size:           8
        .value_kind:     by_value
      - .offset:         80
        .size:           4
        .value_kind:     by_value
      - .offset:         88
        .size:           8
        .value_kind:     by_value
      - .offset:         96
        .size:           4
        .value_kind:     by_value
      - .offset:         104
        .size:           4
        .value_kind:     hidden_block_count_x
      - .offset:         108
        .size:           4
        .value_kind:     hidden_block_count_y
      - .offset:         112
        .size:           4
        .value_kind:     hidden_block_count_z
      - .offset:         116
        .size:           2
        .value_kind:     hidden_group_size_x
      - .offset:         118
        .size:           2
        .value_kind:     hidden_group_size_y
      - .offset:         120
        .size:           2
        .value_kind:     hidden_group_size_z
      - .offset:         122
        .size:           2
        .value_kind:     hidden_remainder_x
      - .offset:         124
        .size:           2
        .value_kind:     hidden_remainder_y
      - .offset:         126
        .size:           2
        .value_kind:     hidden_remainder_z
      - .offset:         144
        .size:           8
        .value_kind:     hidden_global_offset_x
      - .offset:         152
        .size:           8
        .value_kind:     hidden_global_offset_y
      - .offset:         160
        .size:           8
        .value_kind:     hidden_global_offset_z
      - .offset:         168
        .size:           2
        .value_kind:     hidden_grid_dims
    .group_segment_fixed_size: 2304
    .kernarg_segment_align: 8
    .kernarg_segment_size: 360
    .language:       OpenCL C
    .language_version:
      - 2
      - 0
    .max_flat_workgroup_size: 12
    .name:           _ZL31rocblas_trsm_small_right_deviceI19rocblas_complex_numIfES1_PKPKS1_PKPS1_Li12EEv13rocblas_fill_18rocblas_operation_17rocblas_diagonal_iiT0_T1_lilT2_lili
    .private_segment_fixed_size: 0
    .sgpr_count:     42
    .sgpr_spill_count: 0
    .symbol:         _ZL31rocblas_trsm_small_right_deviceI19rocblas_complex_numIfES1_PKPKS1_PKPS1_Li12EEv13rocblas_fill_18rocblas_operation_17rocblas_diagonal_iiT0_T1_lilT2_lili.kd
    .uniform_work_group_size: 1
    .uses_dynamic_stack: false
    .vgpr_count:     42
    .vgpr_spill_count: 0
    .wavefront_size: 32
    .workgroup_processor_mode: 1
  - .args:
      - .offset:         0
        .size:           4
        .value_kind:     by_value
      - .offset:         4
        .size:           4
        .value_kind:     by_value
      - .offset:         8
        .size:           4
        .value_kind:     by_value
      - .offset:         12
        .size:           4
        .value_kind:     by_value
      - .offset:         16
        .size:           4
        .value_kind:     by_value
      - .offset:         20
        .size:           8
        .value_kind:     by_value
      - .address_space:  global
        .offset:         32
        .size:           8
        .value_kind:     global_buffer
      - .offset:         40
        .size:           8
        .value_kind:     by_value
      - .offset:         48
        .size:           4
        .value_kind:     by_value
      - .offset:         56
        .size:           8
        .value_kind:     by_value
      - .address_space:  global
        .offset:         64
        .size:           8
        .value_kind:     global_buffer
      - .offset:         72
        .size:           8
        .value_kind:     by_value
      - .offset:         80
        .size:           4
        .value_kind:     by_value
      - .offset:         88
        .size:           8
        .value_kind:     by_value
      - .offset:         96
        .size:           4
        .value_kind:     by_value
      - .offset:         104
        .size:           4
        .value_kind:     hidden_block_count_x
      - .offset:         108
        .size:           4
        .value_kind:     hidden_block_count_y
      - .offset:         112
        .size:           4
        .value_kind:     hidden_block_count_z
      - .offset:         116
        .size:           2
        .value_kind:     hidden_group_size_x
      - .offset:         118
        .size:           2
        .value_kind:     hidden_group_size_y
      - .offset:         120
        .size:           2
        .value_kind:     hidden_group_size_z
      - .offset:         122
        .size:           2
        .value_kind:     hidden_remainder_x
      - .offset:         124
        .size:           2
        .value_kind:     hidden_remainder_y
      - .offset:         126
        .size:           2
        .value_kind:     hidden_remainder_z
      - .offset:         144
        .size:           8
        .value_kind:     hidden_global_offset_x
      - .offset:         152
        .size:           8
        .value_kind:     hidden_global_offset_y
      - .offset:         160
        .size:           8
        .value_kind:     hidden_global_offset_z
      - .offset:         168
        .size:           2
        .value_kind:     hidden_grid_dims
    .group_segment_fixed_size: 4096
    .kernarg_segment_align: 8
    .kernarg_segment_size: 360
    .language:       OpenCL C
    .language_version:
      - 2
      - 0
    .max_flat_workgroup_size: 16
    .name:           _ZL38rocblas_trsm_small_left_device_sharedBILi16ELi16ELb0E19rocblas_complex_numIfES1_PKPKS1_PKPS1_Ev13rocblas_fill_18rocblas_operation_17rocblas_diagonal_iiT3_T4_lilT5_lili
    .private_segment_fixed_size: 144
    .sgpr_count:     45
    .sgpr_spill_count: 0
    .symbol:         _ZL38rocblas_trsm_small_left_device_sharedBILi16ELi16ELb0E19rocblas_complex_numIfES1_PKPKS1_PKPS1_Ev13rocblas_fill_18rocblas_operation_17rocblas_diagonal_iiT3_T4_lilT5_lili.kd
    .uniform_work_group_size: 1
    .uses_dynamic_stack: false
    .vgpr_count:     21
    .vgpr_spill_count: 0
    .wavefront_size: 32
    .workgroup_processor_mode: 1
  - .args:
      - .offset:         0
        .size:           4
        .value_kind:     by_value
      - .offset:         4
        .size:           4
        .value_kind:     by_value
      - .offset:         8
        .size:           4
        .value_kind:     by_value
      - .offset:         12
        .size:           4
        .value_kind:     by_value
      - .offset:         16
        .size:           4
        .value_kind:     by_value
      - .offset:         20
        .size:           8
        .value_kind:     by_value
      - .address_space:  global
        .offset:         32
        .size:           8
        .value_kind:     global_buffer
      - .offset:         40
        .size:           8
        .value_kind:     by_value
      - .offset:         48
        .size:           4
        .value_kind:     by_value
      - .offset:         56
        .size:           8
        .value_kind:     by_value
      - .address_space:  global
        .offset:         64
        .size:           8
        .value_kind:     global_buffer
      - .offset:         72
        .size:           8
        .value_kind:     by_value
      - .offset:         80
        .size:           4
        .value_kind:     by_value
      - .offset:         88
        .size:           8
        .value_kind:     by_value
      - .offset:         96
        .size:           4
        .value_kind:     by_value
      - .offset:         104
        .size:           4
        .value_kind:     hidden_block_count_x
      - .offset:         108
        .size:           4
        .value_kind:     hidden_block_count_y
      - .offset:         112
        .size:           4
        .value_kind:     hidden_block_count_z
      - .offset:         116
        .size:           2
        .value_kind:     hidden_group_size_x
      - .offset:         118
        .size:           2
        .value_kind:     hidden_group_size_y
      - .offset:         120
        .size:           2
        .value_kind:     hidden_group_size_z
      - .offset:         122
        .size:           2
        .value_kind:     hidden_remainder_x
      - .offset:         124
        .size:           2
        .value_kind:     hidden_remainder_y
      - .offset:         126
        .size:           2
        .value_kind:     hidden_remainder_z
      - .offset:         144
        .size:           8
        .value_kind:     hidden_global_offset_x
      - .offset:         152
        .size:           8
        .value_kind:     hidden_global_offset_y
      - .offset:         160
        .size:           8
        .value_kind:     hidden_global_offset_z
      - .offset:         168
        .size:           2
        .value_kind:     hidden_grid_dims
    .group_segment_fixed_size: 2048
    .kernarg_segment_align: 8
    .kernarg_segment_size: 360
    .language:       OpenCL C
    .language_version:
      - 2
      - 0
    .max_flat_workgroup_size: 16
    .name:           _ZL30rocblas_trsm_small_left_deviceILi16ELi16ELb0E19rocblas_complex_numIfES1_PKPKS1_PKPS1_Ev13rocblas_fill_18rocblas_operation_17rocblas_diagonal_iiT3_T4_lilT5_lili
    .private_segment_fixed_size: 144
    .sgpr_count:     47
    .sgpr_spill_count: 0
    .symbol:         _ZL30rocblas_trsm_small_left_deviceILi16ELi16ELb0E19rocblas_complex_numIfES1_PKPKS1_PKPS1_Ev13rocblas_fill_18rocblas_operation_17rocblas_diagonal_iiT3_T4_lilT5_lili.kd
    .uniform_work_group_size: 1
    .uses_dynamic_stack: false
    .vgpr_count:     25
    .vgpr_spill_count: 0
    .wavefront_size: 32
    .workgroup_processor_mode: 1
  - .args:
      - .offset:         0
        .size:           4
        .value_kind:     by_value
      - .offset:         4
        .size:           4
        .value_kind:     by_value
      - .offset:         8
        .size:           4
        .value_kind:     by_value
      - .offset:         12
        .size:           4
        .value_kind:     by_value
      - .offset:         16
        .size:           4
        .value_kind:     by_value
      - .offset:         20
        .size:           8
        .value_kind:     by_value
      - .address_space:  global
        .offset:         32
        .size:           8
        .value_kind:     global_buffer
      - .offset:         40
        .size:           8
        .value_kind:     by_value
      - .offset:         48
        .size:           4
        .value_kind:     by_value
      - .offset:         56
        .size:           8
        .value_kind:     by_value
      - .address_space:  global
        .offset:         64
        .size:           8
        .value_kind:     global_buffer
      - .offset:         72
        .size:           8
        .value_kind:     by_value
      - .offset:         80
        .size:           4
        .value_kind:     by_value
      - .offset:         88
        .size:           8
        .value_kind:     by_value
      - .offset:         96
        .size:           4
        .value_kind:     by_value
      - .offset:         104
        .size:           4
        .value_kind:     hidden_block_count_x
      - .offset:         108
        .size:           4
        .value_kind:     hidden_block_count_y
      - .offset:         112
        .size:           4
        .value_kind:     hidden_block_count_z
      - .offset:         116
        .size:           2
        .value_kind:     hidden_group_size_x
      - .offset:         118
        .size:           2
        .value_kind:     hidden_group_size_y
      - .offset:         120
        .size:           2
        .value_kind:     hidden_group_size_z
      - .offset:         122
        .size:           2
        .value_kind:     hidden_remainder_x
      - .offset:         124
        .size:           2
        .value_kind:     hidden_remainder_y
      - .offset:         126
        .size:           2
        .value_kind:     hidden_remainder_z
      - .offset:         144
        .size:           8
        .value_kind:     hidden_global_offset_x
      - .offset:         152
        .size:           8
        .value_kind:     hidden_global_offset_y
      - .offset:         160
        .size:           8
        .value_kind:     hidden_global_offset_z
      - .offset:         168
        .size:           2
        .value_kind:     hidden_grid_dims
    .group_segment_fixed_size: 4096
    .kernarg_segment_align: 8
    .kernarg_segment_size: 360
    .language:       OpenCL C
    .language_version:
      - 2
      - 0
    .max_flat_workgroup_size: 16
    .name:           _ZL38rocblas_trsm_small_left_device_sharedBILi16ELi16ELb1E19rocblas_complex_numIfES1_PKPKS1_PKPS1_Ev13rocblas_fill_18rocblas_operation_17rocblas_diagonal_iiT3_T4_lilT5_lili
    .private_segment_fixed_size: 144
    .sgpr_count:     45
    .sgpr_spill_count: 0
    .symbol:         _ZL38rocblas_trsm_small_left_device_sharedBILi16ELi16ELb1E19rocblas_complex_numIfES1_PKPKS1_PKPS1_Ev13rocblas_fill_18rocblas_operation_17rocblas_diagonal_iiT3_T4_lilT5_lili.kd
    .uniform_work_group_size: 1
    .uses_dynamic_stack: false
    .vgpr_count:     21
    .vgpr_spill_count: 0
    .wavefront_size: 32
    .workgroup_processor_mode: 1
  - .args:
      - .offset:         0
        .size:           4
        .value_kind:     by_value
      - .offset:         4
        .size:           4
        .value_kind:     by_value
      - .offset:         8
        .size:           4
        .value_kind:     by_value
      - .offset:         12
        .size:           4
        .value_kind:     by_value
      - .offset:         16
        .size:           4
        .value_kind:     by_value
      - .offset:         20
        .size:           8
        .value_kind:     by_value
      - .address_space:  global
        .offset:         32
        .size:           8
        .value_kind:     global_buffer
      - .offset:         40
        .size:           8
        .value_kind:     by_value
      - .offset:         48
        .size:           4
        .value_kind:     by_value
      - .offset:         56
        .size:           8
        .value_kind:     by_value
      - .address_space:  global
        .offset:         64
        .size:           8
        .value_kind:     global_buffer
      - .offset:         72
        .size:           8
        .value_kind:     by_value
      - .offset:         80
        .size:           4
        .value_kind:     by_value
      - .offset:         88
        .size:           8
        .value_kind:     by_value
      - .offset:         96
        .size:           4
        .value_kind:     by_value
      - .offset:         104
        .size:           4
        .value_kind:     hidden_block_count_x
      - .offset:         108
        .size:           4
        .value_kind:     hidden_block_count_y
      - .offset:         112
        .size:           4
        .value_kind:     hidden_block_count_z
      - .offset:         116
        .size:           2
        .value_kind:     hidden_group_size_x
      - .offset:         118
        .size:           2
        .value_kind:     hidden_group_size_y
      - .offset:         120
        .size:           2
        .value_kind:     hidden_group_size_z
      - .offset:         122
        .size:           2
        .value_kind:     hidden_remainder_x
      - .offset:         124
        .size:           2
        .value_kind:     hidden_remainder_y
      - .offset:         126
        .size:           2
        .value_kind:     hidden_remainder_z
      - .offset:         144
        .size:           8
        .value_kind:     hidden_global_offset_x
      - .offset:         152
        .size:           8
        .value_kind:     hidden_global_offset_y
      - .offset:         160
        .size:           8
        .value_kind:     hidden_global_offset_z
      - .offset:         168
        .size:           2
        .value_kind:     hidden_grid_dims
    .group_segment_fixed_size: 2048
    .kernarg_segment_align: 8
    .kernarg_segment_size: 360
    .language:       OpenCL C
    .language_version:
      - 2
      - 0
    .max_flat_workgroup_size: 16
    .name:           _ZL30rocblas_trsm_small_left_deviceILi16ELi16ELb1E19rocblas_complex_numIfES1_PKPKS1_PKPS1_Ev13rocblas_fill_18rocblas_operation_17rocblas_diagonal_iiT3_T4_lilT5_lili
    .private_segment_fixed_size: 144
    .sgpr_count:     46
    .sgpr_spill_count: 0
    .symbol:         _ZL30rocblas_trsm_small_left_deviceILi16ELi16ELb1E19rocblas_complex_numIfES1_PKPKS1_PKPS1_Ev13rocblas_fill_18rocblas_operation_17rocblas_diagonal_iiT3_T4_lilT5_lili.kd
    .uniform_work_group_size: 1
    .uses_dynamic_stack: false
    .vgpr_count:     23
    .vgpr_spill_count: 0
    .wavefront_size: 32
    .workgroup_processor_mode: 1
  - .args:
      - .offset:         0
        .size:           4
        .value_kind:     by_value
      - .offset:         4
        .size:           4
        .value_kind:     by_value
      - .offset:         8
        .size:           4
        .value_kind:     by_value
      - .offset:         12
        .size:           4
        .value_kind:     by_value
      - .offset:         16
        .size:           4
        .value_kind:     by_value
      - .offset:         20
        .size:           8
        .value_kind:     by_value
      - .address_space:  global
        .offset:         32
        .size:           8
        .value_kind:     global_buffer
      - .offset:         40
        .size:           8
        .value_kind:     by_value
      - .offset:         48
        .size:           4
        .value_kind:     by_value
      - .offset:         56
        .size:           8
        .value_kind:     by_value
      - .address_space:  global
        .offset:         64
        .size:           8
        .value_kind:     global_buffer
      - .offset:         72
        .size:           8
        .value_kind:     by_value
      - .offset:         80
        .size:           4
        .value_kind:     by_value
      - .offset:         88
        .size:           8
        .value_kind:     by_value
      - .offset:         96
        .size:           4
        .value_kind:     by_value
      - .offset:         104
        .size:           4
        .value_kind:     hidden_block_count_x
      - .offset:         108
        .size:           4
        .value_kind:     hidden_block_count_y
      - .offset:         112
        .size:           4
        .value_kind:     hidden_block_count_z
      - .offset:         116
        .size:           2
        .value_kind:     hidden_group_size_x
      - .offset:         118
        .size:           2
        .value_kind:     hidden_group_size_y
      - .offset:         120
        .size:           2
        .value_kind:     hidden_group_size_z
      - .offset:         122
        .size:           2
        .value_kind:     hidden_remainder_x
      - .offset:         124
        .size:           2
        .value_kind:     hidden_remainder_y
      - .offset:         126
        .size:           2
        .value_kind:     hidden_remainder_z
      - .offset:         144
        .size:           8
        .value_kind:     hidden_global_offset_x
      - .offset:         152
        .size:           8
        .value_kind:     hidden_global_offset_y
      - .offset:         160
        .size:           8
        .value_kind:     hidden_global_offset_z
      - .offset:         168
        .size:           2
        .value_kind:     hidden_grid_dims
    .group_segment_fixed_size: 4096
    .kernarg_segment_align: 8
    .kernarg_segment_size: 360
    .language:       OpenCL C
    .language_version:
      - 2
      - 0
    .max_flat_workgroup_size: 16
    .name:           _ZL31rocblas_trsm_small_right_deviceI19rocblas_complex_numIfES1_PKPKS1_PKPS1_Li16EEv13rocblas_fill_18rocblas_operation_17rocblas_diagonal_iiT0_T1_lilT2_lili
    .private_segment_fixed_size: 0
    .sgpr_count:     43
    .sgpr_spill_count: 0
    .symbol:         _ZL31rocblas_trsm_small_right_deviceI19rocblas_complex_numIfES1_PKPKS1_PKPS1_Li16EEv13rocblas_fill_18rocblas_operation_17rocblas_diagonal_iiT0_T1_lilT2_lili.kd
    .uniform_work_group_size: 1
    .uses_dynamic_stack: false
    .vgpr_count:     42
    .vgpr_spill_count: 0
    .wavefront_size: 32
    .workgroup_processor_mode: 1
  - .args:
      - .offset:         0
        .size:           4
        .value_kind:     by_value
      - .offset:         4
        .size:           4
        .value_kind:     by_value
      - .offset:         8
        .size:           4
        .value_kind:     by_value
      - .offset:         12
        .size:           4
        .value_kind:     by_value
      - .offset:         16
        .size:           4
        .value_kind:     by_value
      - .offset:         20
        .size:           8
        .value_kind:     by_value
      - .address_space:  global
        .offset:         32
        .size:           8
        .value_kind:     global_buffer
      - .offset:         40
        .size:           8
        .value_kind:     by_value
      - .offset:         48
        .size:           4
        .value_kind:     by_value
      - .offset:         56
        .size:           8
        .value_kind:     by_value
      - .address_space:  global
        .offset:         64
        .size:           8
        .value_kind:     global_buffer
      - .offset:         72
        .size:           8
        .value_kind:     by_value
      - .offset:         80
        .size:           4
        .value_kind:     by_value
      - .offset:         88
        .size:           8
        .value_kind:     by_value
      - .offset:         96
        .size:           4
        .value_kind:     by_value
      - .offset:         104
        .size:           4
        .value_kind:     hidden_block_count_x
      - .offset:         108
        .size:           4
        .value_kind:     hidden_block_count_y
      - .offset:         112
        .size:           4
        .value_kind:     hidden_block_count_z
      - .offset:         116
        .size:           2
        .value_kind:     hidden_group_size_x
      - .offset:         118
        .size:           2
        .value_kind:     hidden_group_size_y
      - .offset:         120
        .size:           2
        .value_kind:     hidden_group_size_z
      - .offset:         122
        .size:           2
        .value_kind:     hidden_remainder_x
      - .offset:         124
        .size:           2
        .value_kind:     hidden_remainder_y
      - .offset:         126
        .size:           2
        .value_kind:     hidden_remainder_z
      - .offset:         144
        .size:           8
        .value_kind:     hidden_global_offset_x
      - .offset:         152
        .size:           8
        .value_kind:     hidden_global_offset_y
      - .offset:         160
        .size:           8
        .value_kind:     hidden_global_offset_z
      - .offset:         168
        .size:           2
        .value_kind:     hidden_grid_dims
    .group_segment_fixed_size: 6400
    .kernarg_segment_align: 8
    .kernarg_segment_size: 360
    .language:       OpenCL C
    .language_version:
      - 2
      - 0
    .max_flat_workgroup_size: 20
    .name:           _ZL38rocblas_trsm_small_left_device_sharedBILi20ELi20ELb0E19rocblas_complex_numIfES1_PKPKS1_PKPS1_Ev13rocblas_fill_18rocblas_operation_17rocblas_diagonal_iiT3_T4_lilT5_lili
    .private_segment_fixed_size: 176
    .sgpr_count:     45
    .sgpr_spill_count: 0
    .symbol:         _ZL38rocblas_trsm_small_left_device_sharedBILi20ELi20ELb0E19rocblas_complex_numIfES1_PKPKS1_PKPS1_Ev13rocblas_fill_18rocblas_operation_17rocblas_diagonal_iiT3_T4_lilT5_lili.kd
    .uniform_work_group_size: 1
    .uses_dynamic_stack: false
    .vgpr_count:     22
    .vgpr_spill_count: 0
    .wavefront_size: 32
    .workgroup_processor_mode: 1
  - .args:
      - .offset:         0
        .size:           4
        .value_kind:     by_value
      - .offset:         4
        .size:           4
        .value_kind:     by_value
      - .offset:         8
        .size:           4
        .value_kind:     by_value
      - .offset:         12
        .size:           4
        .value_kind:     by_value
      - .offset:         16
        .size:           4
        .value_kind:     by_value
      - .offset:         20
        .size:           8
        .value_kind:     by_value
      - .address_space:  global
        .offset:         32
        .size:           8
        .value_kind:     global_buffer
      - .offset:         40
        .size:           8
        .value_kind:     by_value
      - .offset:         48
        .size:           4
        .value_kind:     by_value
      - .offset:         56
        .size:           8
        .value_kind:     by_value
      - .address_space:  global
        .offset:         64
        .size:           8
        .value_kind:     global_buffer
      - .offset:         72
        .size:           8
        .value_kind:     by_value
      - .offset:         80
        .size:           4
        .value_kind:     by_value
      - .offset:         88
        .size:           8
        .value_kind:     by_value
      - .offset:         96
        .size:           4
        .value_kind:     by_value
      - .offset:         104
        .size:           4
        .value_kind:     hidden_block_count_x
      - .offset:         108
        .size:           4
        .value_kind:     hidden_block_count_y
      - .offset:         112
        .size:           4
        .value_kind:     hidden_block_count_z
      - .offset:         116
        .size:           2
        .value_kind:     hidden_group_size_x
      - .offset:         118
        .size:           2
        .value_kind:     hidden_group_size_y
      - .offset:         120
        .size:           2
        .value_kind:     hidden_group_size_z
      - .offset:         122
        .size:           2
        .value_kind:     hidden_remainder_x
      - .offset:         124
        .size:           2
        .value_kind:     hidden_remainder_y
      - .offset:         126
        .size:           2
        .value_kind:     hidden_remainder_z
      - .offset:         144
        .size:           8
        .value_kind:     hidden_global_offset_x
      - .offset:         152
        .size:           8
        .value_kind:     hidden_global_offset_y
      - .offset:         160
        .size:           8
        .value_kind:     hidden_global_offset_z
      - .offset:         168
        .size:           2
        .value_kind:     hidden_grid_dims
    .group_segment_fixed_size: 3200
    .kernarg_segment_align: 8
    .kernarg_segment_size: 360
    .language:       OpenCL C
    .language_version:
      - 2
      - 0
    .max_flat_workgroup_size: 20
    .name:           _ZL30rocblas_trsm_small_left_deviceILi20ELi20ELb0E19rocblas_complex_numIfES1_PKPKS1_PKPS1_Ev13rocblas_fill_18rocblas_operation_17rocblas_diagonal_iiT3_T4_lilT5_lili
    .private_segment_fixed_size: 176
    .sgpr_count:     47
    .sgpr_spill_count: 0
    .symbol:         _ZL30rocblas_trsm_small_left_deviceILi20ELi20ELb0E19rocblas_complex_numIfES1_PKPKS1_PKPS1_Ev13rocblas_fill_18rocblas_operation_17rocblas_diagonal_iiT3_T4_lilT5_lili.kd
    .uniform_work_group_size: 1
    .uses_dynamic_stack: false
    .vgpr_count:     25
    .vgpr_spill_count: 0
    .wavefront_size: 32
    .workgroup_processor_mode: 1
  - .args:
      - .offset:         0
        .size:           4
        .value_kind:     by_value
      - .offset:         4
        .size:           4
        .value_kind:     by_value
      - .offset:         8
        .size:           4
        .value_kind:     by_value
      - .offset:         12
        .size:           4
        .value_kind:     by_value
      - .offset:         16
        .size:           4
        .value_kind:     by_value
      - .offset:         20
        .size:           8
        .value_kind:     by_value
      - .address_space:  global
        .offset:         32
        .size:           8
        .value_kind:     global_buffer
      - .offset:         40
        .size:           8
        .value_kind:     by_value
      - .offset:         48
        .size:           4
        .value_kind:     by_value
      - .offset:         56
        .size:           8
        .value_kind:     by_value
      - .address_space:  global
        .offset:         64
        .size:           8
        .value_kind:     global_buffer
      - .offset:         72
        .size:           8
        .value_kind:     by_value
      - .offset:         80
        .size:           4
        .value_kind:     by_value
      - .offset:         88
        .size:           8
        .value_kind:     by_value
      - .offset:         96
        .size:           4
        .value_kind:     by_value
      - .offset:         104
        .size:           4
        .value_kind:     hidden_block_count_x
      - .offset:         108
        .size:           4
        .value_kind:     hidden_block_count_y
      - .offset:         112
        .size:           4
        .value_kind:     hidden_block_count_z
      - .offset:         116
        .size:           2
        .value_kind:     hidden_group_size_x
      - .offset:         118
        .size:           2
        .value_kind:     hidden_group_size_y
      - .offset:         120
        .size:           2
        .value_kind:     hidden_group_size_z
      - .offset:         122
        .size:           2
        .value_kind:     hidden_remainder_x
      - .offset:         124
        .size:           2
        .value_kind:     hidden_remainder_y
      - .offset:         126
        .size:           2
        .value_kind:     hidden_remainder_z
      - .offset:         144
        .size:           8
        .value_kind:     hidden_global_offset_x
      - .offset:         152
        .size:           8
        .value_kind:     hidden_global_offset_y
      - .offset:         160
        .size:           8
        .value_kind:     hidden_global_offset_z
      - .offset:         168
        .size:           2
        .value_kind:     hidden_grid_dims
    .group_segment_fixed_size: 6400
    .kernarg_segment_align: 8
    .kernarg_segment_size: 360
    .language:       OpenCL C
    .language_version:
      - 2
      - 0
    .max_flat_workgroup_size: 20
    .name:           _ZL38rocblas_trsm_small_left_device_sharedBILi20ELi20ELb1E19rocblas_complex_numIfES1_PKPKS1_PKPS1_Ev13rocblas_fill_18rocblas_operation_17rocblas_diagonal_iiT3_T4_lilT5_lili
    .private_segment_fixed_size: 176
    .sgpr_count:     45
    .sgpr_spill_count: 0
    .symbol:         _ZL38rocblas_trsm_small_left_device_sharedBILi20ELi20ELb1E19rocblas_complex_numIfES1_PKPKS1_PKPS1_Ev13rocblas_fill_18rocblas_operation_17rocblas_diagonal_iiT3_T4_lilT5_lili.kd
    .uniform_work_group_size: 1
    .uses_dynamic_stack: false
    .vgpr_count:     22
    .vgpr_spill_count: 0
    .wavefront_size: 32
    .workgroup_processor_mode: 1
  - .args:
      - .offset:         0
        .size:           4
        .value_kind:     by_value
      - .offset:         4
        .size:           4
        .value_kind:     by_value
      - .offset:         8
        .size:           4
        .value_kind:     by_value
      - .offset:         12
        .size:           4
        .value_kind:     by_value
      - .offset:         16
        .size:           4
        .value_kind:     by_value
      - .offset:         20
        .size:           8
        .value_kind:     by_value
      - .address_space:  global
        .offset:         32
        .size:           8
        .value_kind:     global_buffer
      - .offset:         40
        .size:           8
        .value_kind:     by_value
      - .offset:         48
        .size:           4
        .value_kind:     by_value
      - .offset:         56
        .size:           8
        .value_kind:     by_value
      - .address_space:  global
        .offset:         64
        .size:           8
        .value_kind:     global_buffer
      - .offset:         72
        .size:           8
        .value_kind:     by_value
      - .offset:         80
        .size:           4
        .value_kind:     by_value
      - .offset:         88
        .size:           8
        .value_kind:     by_value
      - .offset:         96
        .size:           4
        .value_kind:     by_value
      - .offset:         104
        .size:           4
        .value_kind:     hidden_block_count_x
      - .offset:         108
        .size:           4
        .value_kind:     hidden_block_count_y
      - .offset:         112
        .size:           4
        .value_kind:     hidden_block_count_z
      - .offset:         116
        .size:           2
        .value_kind:     hidden_group_size_x
      - .offset:         118
        .size:           2
        .value_kind:     hidden_group_size_y
      - .offset:         120
        .size:           2
        .value_kind:     hidden_group_size_z
      - .offset:         122
        .size:           2
        .value_kind:     hidden_remainder_x
      - .offset:         124
        .size:           2
        .value_kind:     hidden_remainder_y
      - .offset:         126
        .size:           2
        .value_kind:     hidden_remainder_z
      - .offset:         144
        .size:           8
        .value_kind:     hidden_global_offset_x
      - .offset:         152
        .size:           8
        .value_kind:     hidden_global_offset_y
      - .offset:         160
        .size:           8
        .value_kind:     hidden_global_offset_z
      - .offset:         168
        .size:           2
        .value_kind:     hidden_grid_dims
    .group_segment_fixed_size: 3200
    .kernarg_segment_align: 8
    .kernarg_segment_size: 360
    .language:       OpenCL C
    .language_version:
      - 2
      - 0
    .max_flat_workgroup_size: 20
    .name:           _ZL30rocblas_trsm_small_left_deviceILi20ELi20ELb1E19rocblas_complex_numIfES1_PKPKS1_PKPS1_Ev13rocblas_fill_18rocblas_operation_17rocblas_diagonal_iiT3_T4_lilT5_lili
    .private_segment_fixed_size: 176
    .sgpr_count:     46
    .sgpr_spill_count: 0
    .symbol:         _ZL30rocblas_trsm_small_left_deviceILi20ELi20ELb1E19rocblas_complex_numIfES1_PKPKS1_PKPS1_Ev13rocblas_fill_18rocblas_operation_17rocblas_diagonal_iiT3_T4_lilT5_lili.kd
    .uniform_work_group_size: 1
    .uses_dynamic_stack: false
    .vgpr_count:     23
    .vgpr_spill_count: 0
    .wavefront_size: 32
    .workgroup_processor_mode: 1
  - .args:
      - .offset:         0
        .size:           4
        .value_kind:     by_value
      - .offset:         4
        .size:           4
        .value_kind:     by_value
      - .offset:         8
        .size:           4
        .value_kind:     by_value
      - .offset:         12
        .size:           4
        .value_kind:     by_value
      - .offset:         16
        .size:           4
        .value_kind:     by_value
      - .offset:         20
        .size:           8
        .value_kind:     by_value
      - .address_space:  global
        .offset:         32
        .size:           8
        .value_kind:     global_buffer
      - .offset:         40
        .size:           8
        .value_kind:     by_value
      - .offset:         48
        .size:           4
        .value_kind:     by_value
      - .offset:         56
        .size:           8
        .value_kind:     by_value
      - .address_space:  global
        .offset:         64
        .size:           8
        .value_kind:     global_buffer
      - .offset:         72
        .size:           8
        .value_kind:     by_value
      - .offset:         80
        .size:           4
        .value_kind:     by_value
      - .offset:         88
        .size:           8
        .value_kind:     by_value
      - .offset:         96
        .size:           4
        .value_kind:     by_value
      - .offset:         104
        .size:           4
        .value_kind:     hidden_block_count_x
      - .offset:         108
        .size:           4
        .value_kind:     hidden_block_count_y
      - .offset:         112
        .size:           4
        .value_kind:     hidden_block_count_z
      - .offset:         116
        .size:           2
        .value_kind:     hidden_group_size_x
      - .offset:         118
        .size:           2
        .value_kind:     hidden_group_size_y
      - .offset:         120
        .size:           2
        .value_kind:     hidden_group_size_z
      - .offset:         122
        .size:           2
        .value_kind:     hidden_remainder_x
      - .offset:         124
        .size:           2
        .value_kind:     hidden_remainder_y
      - .offset:         126
        .size:           2
        .value_kind:     hidden_remainder_z
      - .offset:         144
        .size:           8
        .value_kind:     hidden_global_offset_x
      - .offset:         152
        .size:           8
        .value_kind:     hidden_global_offset_y
      - .offset:         160
        .size:           8
        .value_kind:     hidden_global_offset_z
      - .offset:         168
        .size:           2
        .value_kind:     hidden_grid_dims
    .group_segment_fixed_size: 6400
    .kernarg_segment_align: 8
    .kernarg_segment_size: 360
    .language:       OpenCL C
    .language_version:
      - 2
      - 0
    .max_flat_workgroup_size: 20
    .name:           _ZL31rocblas_trsm_small_right_deviceI19rocblas_complex_numIfES1_PKPKS1_PKPS1_Li20EEv13rocblas_fill_18rocblas_operation_17rocblas_diagonal_iiT0_T1_lilT2_lili
    .private_segment_fixed_size: 0
    .sgpr_count:     42
    .sgpr_spill_count: 0
    .symbol:         _ZL31rocblas_trsm_small_right_deviceI19rocblas_complex_numIfES1_PKPKS1_PKPS1_Li20EEv13rocblas_fill_18rocblas_operation_17rocblas_diagonal_iiT0_T1_lilT2_lili.kd
    .uniform_work_group_size: 1
    .uses_dynamic_stack: false
    .vgpr_count:     42
    .vgpr_spill_count: 0
    .wavefront_size: 32
    .workgroup_processor_mode: 1
  - .args:
      - .offset:         0
        .size:           4
        .value_kind:     by_value
      - .offset:         4
        .size:           4
        .value_kind:     by_value
      - .offset:         8
        .size:           4
        .value_kind:     by_value
      - .offset:         12
        .size:           4
        .value_kind:     by_value
      - .offset:         16
        .size:           4
        .value_kind:     by_value
      - .offset:         20
        .size:           8
        .value_kind:     by_value
      - .address_space:  global
        .offset:         32
        .size:           8
        .value_kind:     global_buffer
      - .offset:         40
        .size:           8
        .value_kind:     by_value
      - .offset:         48
        .size:           4
        .value_kind:     by_value
      - .offset:         56
        .size:           8
        .value_kind:     by_value
      - .address_space:  global
        .offset:         64
        .size:           8
        .value_kind:     global_buffer
      - .offset:         72
        .size:           8
        .value_kind:     by_value
      - .offset:         80
        .size:           4
        .value_kind:     by_value
      - .offset:         88
        .size:           8
        .value_kind:     by_value
      - .offset:         96
        .size:           4
        .value_kind:     by_value
      - .offset:         104
        .size:           4
        .value_kind:     hidden_block_count_x
      - .offset:         108
        .size:           4
        .value_kind:     hidden_block_count_y
      - .offset:         112
        .size:           4
        .value_kind:     hidden_block_count_z
      - .offset:         116
        .size:           2
        .value_kind:     hidden_group_size_x
      - .offset:         118
        .size:           2
        .value_kind:     hidden_group_size_y
      - .offset:         120
        .size:           2
        .value_kind:     hidden_group_size_z
      - .offset:         122
        .size:           2
        .value_kind:     hidden_remainder_x
      - .offset:         124
        .size:           2
        .value_kind:     hidden_remainder_y
      - .offset:         126
        .size:           2
        .value_kind:     hidden_remainder_z
      - .offset:         144
        .size:           8
        .value_kind:     hidden_global_offset_x
      - .offset:         152
        .size:           8
        .value_kind:     hidden_global_offset_y
      - .offset:         160
        .size:           8
        .value_kind:     hidden_global_offset_z
      - .offset:         168
        .size:           2
        .value_kind:     hidden_grid_dims
    .group_segment_fixed_size: 9216
    .kernarg_segment_align: 8
    .kernarg_segment_size: 360
    .language:       OpenCL C
    .language_version:
      - 2
      - 0
    .max_flat_workgroup_size: 24
    .name:           _ZL38rocblas_trsm_small_left_device_sharedBILi24ELi24ELb0E19rocblas_complex_numIfES1_PKPKS1_PKPS1_Ev13rocblas_fill_18rocblas_operation_17rocblas_diagonal_iiT3_T4_lilT5_lili
    .private_segment_fixed_size: 208
    .sgpr_count:     45
    .sgpr_spill_count: 0
    .symbol:         _ZL38rocblas_trsm_small_left_device_sharedBILi24ELi24ELb0E19rocblas_complex_numIfES1_PKPKS1_PKPS1_Ev13rocblas_fill_18rocblas_operation_17rocblas_diagonal_iiT3_T4_lilT5_lili.kd
    .uniform_work_group_size: 1
    .uses_dynamic_stack: false
    .vgpr_count:     22
    .vgpr_spill_count: 0
    .wavefront_size: 32
    .workgroup_processor_mode: 1
  - .args:
      - .offset:         0
        .size:           4
        .value_kind:     by_value
      - .offset:         4
        .size:           4
        .value_kind:     by_value
      - .offset:         8
        .size:           4
        .value_kind:     by_value
      - .offset:         12
        .size:           4
        .value_kind:     by_value
      - .offset:         16
        .size:           4
        .value_kind:     by_value
      - .offset:         20
        .size:           8
        .value_kind:     by_value
      - .address_space:  global
        .offset:         32
        .size:           8
        .value_kind:     global_buffer
      - .offset:         40
        .size:           8
        .value_kind:     by_value
      - .offset:         48
        .size:           4
        .value_kind:     by_value
      - .offset:         56
        .size:           8
        .value_kind:     by_value
      - .address_space:  global
        .offset:         64
        .size:           8
        .value_kind:     global_buffer
      - .offset:         72
        .size:           8
        .value_kind:     by_value
      - .offset:         80
        .size:           4
        .value_kind:     by_value
      - .offset:         88
        .size:           8
        .value_kind:     by_value
      - .offset:         96
        .size:           4
        .value_kind:     by_value
      - .offset:         104
        .size:           4
        .value_kind:     hidden_block_count_x
      - .offset:         108
        .size:           4
        .value_kind:     hidden_block_count_y
      - .offset:         112
        .size:           4
        .value_kind:     hidden_block_count_z
      - .offset:         116
        .size:           2
        .value_kind:     hidden_group_size_x
      - .offset:         118
        .size:           2
        .value_kind:     hidden_group_size_y
      - .offset:         120
        .size:           2
        .value_kind:     hidden_group_size_z
      - .offset:         122
        .size:           2
        .value_kind:     hidden_remainder_x
      - .offset:         124
        .size:           2
        .value_kind:     hidden_remainder_y
      - .offset:         126
        .size:           2
        .value_kind:     hidden_remainder_z
      - .offset:         144
        .size:           8
        .value_kind:     hidden_global_offset_x
      - .offset:         152
        .size:           8
        .value_kind:     hidden_global_offset_y
      - .offset:         160
        .size:           8
        .value_kind:     hidden_global_offset_z
      - .offset:         168
        .size:           2
        .value_kind:     hidden_grid_dims
    .group_segment_fixed_size: 4608
    .kernarg_segment_align: 8
    .kernarg_segment_size: 360
    .language:       OpenCL C
    .language_version:
      - 2
      - 0
    .max_flat_workgroup_size: 24
    .name:           _ZL30rocblas_trsm_small_left_deviceILi24ELi24ELb0E19rocblas_complex_numIfES1_PKPKS1_PKPS1_Ev13rocblas_fill_18rocblas_operation_17rocblas_diagonal_iiT3_T4_lilT5_lili
    .private_segment_fixed_size: 208
    .sgpr_count:     47
    .sgpr_spill_count: 0
    .symbol:         _ZL30rocblas_trsm_small_left_deviceILi24ELi24ELb0E19rocblas_complex_numIfES1_PKPKS1_PKPS1_Ev13rocblas_fill_18rocblas_operation_17rocblas_diagonal_iiT3_T4_lilT5_lili.kd
    .uniform_work_group_size: 1
    .uses_dynamic_stack: false
    .vgpr_count:     25
    .vgpr_spill_count: 0
    .wavefront_size: 32
    .workgroup_processor_mode: 1
  - .args:
      - .offset:         0
        .size:           4
        .value_kind:     by_value
      - .offset:         4
        .size:           4
        .value_kind:     by_value
      - .offset:         8
        .size:           4
        .value_kind:     by_value
      - .offset:         12
        .size:           4
        .value_kind:     by_value
      - .offset:         16
        .size:           4
        .value_kind:     by_value
      - .offset:         20
        .size:           8
        .value_kind:     by_value
      - .address_space:  global
        .offset:         32
        .size:           8
        .value_kind:     global_buffer
      - .offset:         40
        .size:           8
        .value_kind:     by_value
      - .offset:         48
        .size:           4
        .value_kind:     by_value
      - .offset:         56
        .size:           8
        .value_kind:     by_value
      - .address_space:  global
        .offset:         64
        .size:           8
        .value_kind:     global_buffer
      - .offset:         72
        .size:           8
        .value_kind:     by_value
      - .offset:         80
        .size:           4
        .value_kind:     by_value
      - .offset:         88
        .size:           8
        .value_kind:     by_value
      - .offset:         96
        .size:           4
        .value_kind:     by_value
      - .offset:         104
        .size:           4
        .value_kind:     hidden_block_count_x
      - .offset:         108
        .size:           4
        .value_kind:     hidden_block_count_y
      - .offset:         112
        .size:           4
        .value_kind:     hidden_block_count_z
      - .offset:         116
        .size:           2
        .value_kind:     hidden_group_size_x
      - .offset:         118
        .size:           2
        .value_kind:     hidden_group_size_y
      - .offset:         120
        .size:           2
        .value_kind:     hidden_group_size_z
      - .offset:         122
        .size:           2
        .value_kind:     hidden_remainder_x
      - .offset:         124
        .size:           2
        .value_kind:     hidden_remainder_y
      - .offset:         126
        .size:           2
        .value_kind:     hidden_remainder_z
      - .offset:         144
        .size:           8
        .value_kind:     hidden_global_offset_x
      - .offset:         152
        .size:           8
        .value_kind:     hidden_global_offset_y
      - .offset:         160
        .size:           8
        .value_kind:     hidden_global_offset_z
      - .offset:         168
        .size:           2
        .value_kind:     hidden_grid_dims
    .group_segment_fixed_size: 9216
    .kernarg_segment_align: 8
    .kernarg_segment_size: 360
    .language:       OpenCL C
    .language_version:
      - 2
      - 0
    .max_flat_workgroup_size: 24
    .name:           _ZL38rocblas_trsm_small_left_device_sharedBILi24ELi24ELb1E19rocblas_complex_numIfES1_PKPKS1_PKPS1_Ev13rocblas_fill_18rocblas_operation_17rocblas_diagonal_iiT3_T4_lilT5_lili
    .private_segment_fixed_size: 208
    .sgpr_count:     45
    .sgpr_spill_count: 0
    .symbol:         _ZL38rocblas_trsm_small_left_device_sharedBILi24ELi24ELb1E19rocblas_complex_numIfES1_PKPKS1_PKPS1_Ev13rocblas_fill_18rocblas_operation_17rocblas_diagonal_iiT3_T4_lilT5_lili.kd
    .uniform_work_group_size: 1
    .uses_dynamic_stack: false
    .vgpr_count:     22
    .vgpr_spill_count: 0
    .wavefront_size: 32
    .workgroup_processor_mode: 1
  - .args:
      - .offset:         0
        .size:           4
        .value_kind:     by_value
      - .offset:         4
        .size:           4
        .value_kind:     by_value
      - .offset:         8
        .size:           4
        .value_kind:     by_value
      - .offset:         12
        .size:           4
        .value_kind:     by_value
      - .offset:         16
        .size:           4
        .value_kind:     by_value
      - .offset:         20
        .size:           8
        .value_kind:     by_value
      - .address_space:  global
        .offset:         32
        .size:           8
        .value_kind:     global_buffer
      - .offset:         40
        .size:           8
        .value_kind:     by_value
      - .offset:         48
        .size:           4
        .value_kind:     by_value
      - .offset:         56
        .size:           8
        .value_kind:     by_value
      - .address_space:  global
        .offset:         64
        .size:           8
        .value_kind:     global_buffer
      - .offset:         72
        .size:           8
        .value_kind:     by_value
      - .offset:         80
        .size:           4
        .value_kind:     by_value
      - .offset:         88
        .size:           8
        .value_kind:     by_value
      - .offset:         96
        .size:           4
        .value_kind:     by_value
      - .offset:         104
        .size:           4
        .value_kind:     hidden_block_count_x
      - .offset:         108
        .size:           4
        .value_kind:     hidden_block_count_y
      - .offset:         112
        .size:           4
        .value_kind:     hidden_block_count_z
      - .offset:         116
        .size:           2
        .value_kind:     hidden_group_size_x
      - .offset:         118
        .size:           2
        .value_kind:     hidden_group_size_y
      - .offset:         120
        .size:           2
        .value_kind:     hidden_group_size_z
      - .offset:         122
        .size:           2
        .value_kind:     hidden_remainder_x
      - .offset:         124
        .size:           2
        .value_kind:     hidden_remainder_y
      - .offset:         126
        .size:           2
        .value_kind:     hidden_remainder_z
      - .offset:         144
        .size:           8
        .value_kind:     hidden_global_offset_x
      - .offset:         152
        .size:           8
        .value_kind:     hidden_global_offset_y
      - .offset:         160
        .size:           8
        .value_kind:     hidden_global_offset_z
      - .offset:         168
        .size:           2
        .value_kind:     hidden_grid_dims
    .group_segment_fixed_size: 4608
    .kernarg_segment_align: 8
    .kernarg_segment_size: 360
    .language:       OpenCL C
    .language_version:
      - 2
      - 0
    .max_flat_workgroup_size: 24
    .name:           _ZL30rocblas_trsm_small_left_deviceILi24ELi24ELb1E19rocblas_complex_numIfES1_PKPKS1_PKPS1_Ev13rocblas_fill_18rocblas_operation_17rocblas_diagonal_iiT3_T4_lilT5_lili
    .private_segment_fixed_size: 208
    .sgpr_count:     46
    .sgpr_spill_count: 0
    .symbol:         _ZL30rocblas_trsm_small_left_deviceILi24ELi24ELb1E19rocblas_complex_numIfES1_PKPKS1_PKPS1_Ev13rocblas_fill_18rocblas_operation_17rocblas_diagonal_iiT3_T4_lilT5_lili.kd
    .uniform_work_group_size: 1
    .uses_dynamic_stack: false
    .vgpr_count:     23
    .vgpr_spill_count: 0
    .wavefront_size: 32
    .workgroup_processor_mode: 1
  - .args:
      - .offset:         0
        .size:           4
        .value_kind:     by_value
      - .offset:         4
        .size:           4
        .value_kind:     by_value
      - .offset:         8
        .size:           4
        .value_kind:     by_value
      - .offset:         12
        .size:           4
        .value_kind:     by_value
      - .offset:         16
        .size:           4
        .value_kind:     by_value
      - .offset:         20
        .size:           8
        .value_kind:     by_value
      - .address_space:  global
        .offset:         32
        .size:           8
        .value_kind:     global_buffer
      - .offset:         40
        .size:           8
        .value_kind:     by_value
      - .offset:         48
        .size:           4
        .value_kind:     by_value
      - .offset:         56
        .size:           8
        .value_kind:     by_value
      - .address_space:  global
        .offset:         64
        .size:           8
        .value_kind:     global_buffer
      - .offset:         72
        .size:           8
        .value_kind:     by_value
      - .offset:         80
        .size:           4
        .value_kind:     by_value
      - .offset:         88
        .size:           8
        .value_kind:     by_value
      - .offset:         96
        .size:           4
        .value_kind:     by_value
      - .offset:         104
        .size:           4
        .value_kind:     hidden_block_count_x
      - .offset:         108
        .size:           4
        .value_kind:     hidden_block_count_y
      - .offset:         112
        .size:           4
        .value_kind:     hidden_block_count_z
      - .offset:         116
        .size:           2
        .value_kind:     hidden_group_size_x
      - .offset:         118
        .size:           2
        .value_kind:     hidden_group_size_y
      - .offset:         120
        .size:           2
        .value_kind:     hidden_group_size_z
      - .offset:         122
        .size:           2
        .value_kind:     hidden_remainder_x
      - .offset:         124
        .size:           2
        .value_kind:     hidden_remainder_y
      - .offset:         126
        .size:           2
        .value_kind:     hidden_remainder_z
      - .offset:         144
        .size:           8
        .value_kind:     hidden_global_offset_x
      - .offset:         152
        .size:           8
        .value_kind:     hidden_global_offset_y
      - .offset:         160
        .size:           8
        .value_kind:     hidden_global_offset_z
      - .offset:         168
        .size:           2
        .value_kind:     hidden_grid_dims
    .group_segment_fixed_size: 9216
    .kernarg_segment_align: 8
    .kernarg_segment_size: 360
    .language:       OpenCL C
    .language_version:
      - 2
      - 0
    .max_flat_workgroup_size: 24
    .name:           _ZL31rocblas_trsm_small_right_deviceI19rocblas_complex_numIfES1_PKPKS1_PKPS1_Li24EEv13rocblas_fill_18rocblas_operation_17rocblas_diagonal_iiT0_T1_lilT2_lili
    .private_segment_fixed_size: 0
    .sgpr_count:     42
    .sgpr_spill_count: 0
    .symbol:         _ZL31rocblas_trsm_small_right_deviceI19rocblas_complex_numIfES1_PKPKS1_PKPS1_Li24EEv13rocblas_fill_18rocblas_operation_17rocblas_diagonal_iiT0_T1_lilT2_lili.kd
    .uniform_work_group_size: 1
    .uses_dynamic_stack: false
    .vgpr_count:     42
    .vgpr_spill_count: 0
    .wavefront_size: 32
    .workgroup_processor_mode: 1
  - .args:
      - .offset:         0
        .size:           4
        .value_kind:     by_value
      - .offset:         4
        .size:           4
        .value_kind:     by_value
      - .offset:         8
        .size:           4
        .value_kind:     by_value
      - .offset:         12
        .size:           4
        .value_kind:     by_value
      - .offset:         16
        .size:           4
        .value_kind:     by_value
      - .offset:         20
        .size:           8
        .value_kind:     by_value
      - .address_space:  global
        .offset:         32
        .size:           8
        .value_kind:     global_buffer
      - .offset:         40
        .size:           8
        .value_kind:     by_value
      - .offset:         48
        .size:           4
        .value_kind:     by_value
      - .offset:         56
        .size:           8
        .value_kind:     by_value
      - .address_space:  global
        .offset:         64
        .size:           8
        .value_kind:     global_buffer
      - .offset:         72
        .size:           8
        .value_kind:     by_value
      - .offset:         80
        .size:           4
        .value_kind:     by_value
      - .offset:         88
        .size:           8
        .value_kind:     by_value
      - .offset:         96
        .size:           4
        .value_kind:     by_value
      - .offset:         104
        .size:           4
        .value_kind:     hidden_block_count_x
      - .offset:         108
        .size:           4
        .value_kind:     hidden_block_count_y
      - .offset:         112
        .size:           4
        .value_kind:     hidden_block_count_z
      - .offset:         116
        .size:           2
        .value_kind:     hidden_group_size_x
      - .offset:         118
        .size:           2
        .value_kind:     hidden_group_size_y
      - .offset:         120
        .size:           2
        .value_kind:     hidden_group_size_z
      - .offset:         122
        .size:           2
        .value_kind:     hidden_remainder_x
      - .offset:         124
        .size:           2
        .value_kind:     hidden_remainder_y
      - .offset:         126
        .size:           2
        .value_kind:     hidden_remainder_z
      - .offset:         144
        .size:           8
        .value_kind:     hidden_global_offset_x
      - .offset:         152
        .size:           8
        .value_kind:     hidden_global_offset_y
      - .offset:         160
        .size:           8
        .value_kind:     hidden_global_offset_z
      - .offset:         168
        .size:           2
        .value_kind:     hidden_grid_dims
    .group_segment_fixed_size: 12544
    .kernarg_segment_align: 8
    .kernarg_segment_size: 360
    .language:       OpenCL C
    .language_version:
      - 2
      - 0
    .max_flat_workgroup_size: 28
    .name:           _ZL38rocblas_trsm_small_left_device_sharedBILi28ELi28ELb0E19rocblas_complex_numIfES1_PKPKS1_PKPS1_Ev13rocblas_fill_18rocblas_operation_17rocblas_diagonal_iiT3_T4_lilT5_lili
    .private_segment_fixed_size: 240
    .sgpr_count:     45
    .sgpr_spill_count: 0
    .symbol:         _ZL38rocblas_trsm_small_left_device_sharedBILi28ELi28ELb0E19rocblas_complex_numIfES1_PKPKS1_PKPS1_Ev13rocblas_fill_18rocblas_operation_17rocblas_diagonal_iiT3_T4_lilT5_lili.kd
    .uniform_work_group_size: 1
    .uses_dynamic_stack: false
    .vgpr_count:     22
    .vgpr_spill_count: 0
    .wavefront_size: 32
    .workgroup_processor_mode: 1
  - .args:
      - .offset:         0
        .size:           4
        .value_kind:     by_value
      - .offset:         4
        .size:           4
        .value_kind:     by_value
      - .offset:         8
        .size:           4
        .value_kind:     by_value
      - .offset:         12
        .size:           4
        .value_kind:     by_value
      - .offset:         16
        .size:           4
        .value_kind:     by_value
      - .offset:         20
        .size:           8
        .value_kind:     by_value
      - .address_space:  global
        .offset:         32
        .size:           8
        .value_kind:     global_buffer
      - .offset:         40
        .size:           8
        .value_kind:     by_value
      - .offset:         48
        .size:           4
        .value_kind:     by_value
      - .offset:         56
        .size:           8
        .value_kind:     by_value
      - .address_space:  global
        .offset:         64
        .size:           8
        .value_kind:     global_buffer
      - .offset:         72
        .size:           8
        .value_kind:     by_value
      - .offset:         80
        .size:           4
        .value_kind:     by_value
      - .offset:         88
        .size:           8
        .value_kind:     by_value
      - .offset:         96
        .size:           4
        .value_kind:     by_value
      - .offset:         104
        .size:           4
        .value_kind:     hidden_block_count_x
      - .offset:         108
        .size:           4
        .value_kind:     hidden_block_count_y
      - .offset:         112
        .size:           4
        .value_kind:     hidden_block_count_z
      - .offset:         116
        .size:           2
        .value_kind:     hidden_group_size_x
      - .offset:         118
        .size:           2
        .value_kind:     hidden_group_size_y
      - .offset:         120
        .size:           2
        .value_kind:     hidden_group_size_z
      - .offset:         122
        .size:           2
        .value_kind:     hidden_remainder_x
      - .offset:         124
        .size:           2
        .value_kind:     hidden_remainder_y
      - .offset:         126
        .size:           2
        .value_kind:     hidden_remainder_z
      - .offset:         144
        .size:           8
        .value_kind:     hidden_global_offset_x
      - .offset:         152
        .size:           8
        .value_kind:     hidden_global_offset_y
      - .offset:         160
        .size:           8
        .value_kind:     hidden_global_offset_z
      - .offset:         168
        .size:           2
        .value_kind:     hidden_grid_dims
    .group_segment_fixed_size: 6272
    .kernarg_segment_align: 8
    .kernarg_segment_size: 360
    .language:       OpenCL C
    .language_version:
      - 2
      - 0
    .max_flat_workgroup_size: 28
    .name:           _ZL30rocblas_trsm_small_left_deviceILi28ELi28ELb0E19rocblas_complex_numIfES1_PKPKS1_PKPS1_Ev13rocblas_fill_18rocblas_operation_17rocblas_diagonal_iiT3_T4_lilT5_lili
    .private_segment_fixed_size: 240
    .sgpr_count:     47
    .sgpr_spill_count: 0
    .symbol:         _ZL30rocblas_trsm_small_left_deviceILi28ELi28ELb0E19rocblas_complex_numIfES1_PKPKS1_PKPS1_Ev13rocblas_fill_18rocblas_operation_17rocblas_diagonal_iiT3_T4_lilT5_lili.kd
    .uniform_work_group_size: 1
    .uses_dynamic_stack: false
    .vgpr_count:     25
    .vgpr_spill_count: 0
    .wavefront_size: 32
    .workgroup_processor_mode: 1
  - .args:
      - .offset:         0
        .size:           4
        .value_kind:     by_value
      - .offset:         4
        .size:           4
        .value_kind:     by_value
      - .offset:         8
        .size:           4
        .value_kind:     by_value
      - .offset:         12
        .size:           4
        .value_kind:     by_value
      - .offset:         16
        .size:           4
        .value_kind:     by_value
      - .offset:         20
        .size:           8
        .value_kind:     by_value
      - .address_space:  global
        .offset:         32
        .size:           8
        .value_kind:     global_buffer
      - .offset:         40
        .size:           8
        .value_kind:     by_value
      - .offset:         48
        .size:           4
        .value_kind:     by_value
      - .offset:         56
        .size:           8
        .value_kind:     by_value
      - .address_space:  global
        .offset:         64
        .size:           8
        .value_kind:     global_buffer
      - .offset:         72
        .size:           8
        .value_kind:     by_value
      - .offset:         80
        .size:           4
        .value_kind:     by_value
      - .offset:         88
        .size:           8
        .value_kind:     by_value
      - .offset:         96
        .size:           4
        .value_kind:     by_value
      - .offset:         104
        .size:           4
        .value_kind:     hidden_block_count_x
      - .offset:         108
        .size:           4
        .value_kind:     hidden_block_count_y
      - .offset:         112
        .size:           4
        .value_kind:     hidden_block_count_z
      - .offset:         116
        .size:           2
        .value_kind:     hidden_group_size_x
      - .offset:         118
        .size:           2
        .value_kind:     hidden_group_size_y
      - .offset:         120
        .size:           2
        .value_kind:     hidden_group_size_z
      - .offset:         122
        .size:           2
        .value_kind:     hidden_remainder_x
      - .offset:         124
        .size:           2
        .value_kind:     hidden_remainder_y
      - .offset:         126
        .size:           2
        .value_kind:     hidden_remainder_z
      - .offset:         144
        .size:           8
        .value_kind:     hidden_global_offset_x
      - .offset:         152
        .size:           8
        .value_kind:     hidden_global_offset_y
      - .offset:         160
        .size:           8
        .value_kind:     hidden_global_offset_z
      - .offset:         168
        .size:           2
        .value_kind:     hidden_grid_dims
    .group_segment_fixed_size: 12544
    .kernarg_segment_align: 8
    .kernarg_segment_size: 360
    .language:       OpenCL C
    .language_version:
      - 2
      - 0
    .max_flat_workgroup_size: 28
    .name:           _ZL38rocblas_trsm_small_left_device_sharedBILi28ELi28ELb1E19rocblas_complex_numIfES1_PKPKS1_PKPS1_Ev13rocblas_fill_18rocblas_operation_17rocblas_diagonal_iiT3_T4_lilT5_lili
    .private_segment_fixed_size: 240
    .sgpr_count:     45
    .sgpr_spill_count: 0
    .symbol:         _ZL38rocblas_trsm_small_left_device_sharedBILi28ELi28ELb1E19rocblas_complex_numIfES1_PKPKS1_PKPS1_Ev13rocblas_fill_18rocblas_operation_17rocblas_diagonal_iiT3_T4_lilT5_lili.kd
    .uniform_work_group_size: 1
    .uses_dynamic_stack: false
    .vgpr_count:     22
    .vgpr_spill_count: 0
    .wavefront_size: 32
    .workgroup_processor_mode: 1
  - .args:
      - .offset:         0
        .size:           4
        .value_kind:     by_value
      - .offset:         4
        .size:           4
        .value_kind:     by_value
      - .offset:         8
        .size:           4
        .value_kind:     by_value
      - .offset:         12
        .size:           4
        .value_kind:     by_value
      - .offset:         16
        .size:           4
        .value_kind:     by_value
      - .offset:         20
        .size:           8
        .value_kind:     by_value
      - .address_space:  global
        .offset:         32
        .size:           8
        .value_kind:     global_buffer
      - .offset:         40
        .size:           8
        .value_kind:     by_value
      - .offset:         48
        .size:           4
        .value_kind:     by_value
      - .offset:         56
        .size:           8
        .value_kind:     by_value
      - .address_space:  global
        .offset:         64
        .size:           8
        .value_kind:     global_buffer
      - .offset:         72
        .size:           8
        .value_kind:     by_value
      - .offset:         80
        .size:           4
        .value_kind:     by_value
      - .offset:         88
        .size:           8
        .value_kind:     by_value
      - .offset:         96
        .size:           4
        .value_kind:     by_value
      - .offset:         104
        .size:           4
        .value_kind:     hidden_block_count_x
      - .offset:         108
        .size:           4
        .value_kind:     hidden_block_count_y
      - .offset:         112
        .size:           4
        .value_kind:     hidden_block_count_z
      - .offset:         116
        .size:           2
        .value_kind:     hidden_group_size_x
      - .offset:         118
        .size:           2
        .value_kind:     hidden_group_size_y
      - .offset:         120
        .size:           2
        .value_kind:     hidden_group_size_z
      - .offset:         122
        .size:           2
        .value_kind:     hidden_remainder_x
      - .offset:         124
        .size:           2
        .value_kind:     hidden_remainder_y
      - .offset:         126
        .size:           2
        .value_kind:     hidden_remainder_z
      - .offset:         144
        .size:           8
        .value_kind:     hidden_global_offset_x
      - .offset:         152
        .size:           8
        .value_kind:     hidden_global_offset_y
      - .offset:         160
        .size:           8
        .value_kind:     hidden_global_offset_z
      - .offset:         168
        .size:           2
        .value_kind:     hidden_grid_dims
    .group_segment_fixed_size: 6272
    .kernarg_segment_align: 8
    .kernarg_segment_size: 360
    .language:       OpenCL C
    .language_version:
      - 2
      - 0
    .max_flat_workgroup_size: 28
    .name:           _ZL30rocblas_trsm_small_left_deviceILi28ELi28ELb1E19rocblas_complex_numIfES1_PKPKS1_PKPS1_Ev13rocblas_fill_18rocblas_operation_17rocblas_diagonal_iiT3_T4_lilT5_lili
    .private_segment_fixed_size: 240
    .sgpr_count:     46
    .sgpr_spill_count: 0
    .symbol:         _ZL30rocblas_trsm_small_left_deviceILi28ELi28ELb1E19rocblas_complex_numIfES1_PKPKS1_PKPS1_Ev13rocblas_fill_18rocblas_operation_17rocblas_diagonal_iiT3_T4_lilT5_lili.kd
    .uniform_work_group_size: 1
    .uses_dynamic_stack: false
    .vgpr_count:     23
    .vgpr_spill_count: 0
    .wavefront_size: 32
    .workgroup_processor_mode: 1
  - .args:
      - .offset:         0
        .size:           4
        .value_kind:     by_value
      - .offset:         4
        .size:           4
        .value_kind:     by_value
      - .offset:         8
        .size:           4
        .value_kind:     by_value
      - .offset:         12
        .size:           4
        .value_kind:     by_value
      - .offset:         16
        .size:           4
        .value_kind:     by_value
      - .offset:         20
        .size:           8
        .value_kind:     by_value
      - .address_space:  global
        .offset:         32
        .size:           8
        .value_kind:     global_buffer
      - .offset:         40
        .size:           8
        .value_kind:     by_value
      - .offset:         48
        .size:           4
        .value_kind:     by_value
      - .offset:         56
        .size:           8
        .value_kind:     by_value
      - .address_space:  global
        .offset:         64
        .size:           8
        .value_kind:     global_buffer
      - .offset:         72
        .size:           8
        .value_kind:     by_value
      - .offset:         80
        .size:           4
        .value_kind:     by_value
      - .offset:         88
        .size:           8
        .value_kind:     by_value
      - .offset:         96
        .size:           4
        .value_kind:     by_value
      - .offset:         104
        .size:           4
        .value_kind:     hidden_block_count_x
      - .offset:         108
        .size:           4
        .value_kind:     hidden_block_count_y
      - .offset:         112
        .size:           4
        .value_kind:     hidden_block_count_z
      - .offset:         116
        .size:           2
        .value_kind:     hidden_group_size_x
      - .offset:         118
        .size:           2
        .value_kind:     hidden_group_size_y
      - .offset:         120
        .size:           2
        .value_kind:     hidden_group_size_z
      - .offset:         122
        .size:           2
        .value_kind:     hidden_remainder_x
      - .offset:         124
        .size:           2
        .value_kind:     hidden_remainder_y
      - .offset:         126
        .size:           2
        .value_kind:     hidden_remainder_z
      - .offset:         144
        .size:           8
        .value_kind:     hidden_global_offset_x
      - .offset:         152
        .size:           8
        .value_kind:     hidden_global_offset_y
      - .offset:         160
        .size:           8
        .value_kind:     hidden_global_offset_z
      - .offset:         168
        .size:           2
        .value_kind:     hidden_grid_dims
    .group_segment_fixed_size: 12544
    .kernarg_segment_align: 8
    .kernarg_segment_size: 360
    .language:       OpenCL C
    .language_version:
      - 2
      - 0
    .max_flat_workgroup_size: 28
    .name:           _ZL31rocblas_trsm_small_right_deviceI19rocblas_complex_numIfES1_PKPKS1_PKPS1_Li28EEv13rocblas_fill_18rocblas_operation_17rocblas_diagonal_iiT0_T1_lilT2_lili
    .private_segment_fixed_size: 0
    .sgpr_count:     42
    .sgpr_spill_count: 0
    .symbol:         _ZL31rocblas_trsm_small_right_deviceI19rocblas_complex_numIfES1_PKPKS1_PKPS1_Li28EEv13rocblas_fill_18rocblas_operation_17rocblas_diagonal_iiT0_T1_lilT2_lili.kd
    .uniform_work_group_size: 1
    .uses_dynamic_stack: false
    .vgpr_count:     42
    .vgpr_spill_count: 0
    .wavefront_size: 32
    .workgroup_processor_mode: 1
  - .args:
      - .offset:         0
        .size:           4
        .value_kind:     by_value
      - .offset:         4
        .size:           4
        .value_kind:     by_value
      - .offset:         8
        .size:           4
        .value_kind:     by_value
      - .offset:         12
        .size:           4
        .value_kind:     by_value
      - .offset:         16
        .size:           4
        .value_kind:     by_value
      - .offset:         20
        .size:           8
        .value_kind:     by_value
      - .address_space:  global
        .offset:         32
        .size:           8
        .value_kind:     global_buffer
      - .offset:         40
        .size:           8
        .value_kind:     by_value
      - .offset:         48
        .size:           4
        .value_kind:     by_value
      - .offset:         56
        .size:           8
        .value_kind:     by_value
      - .address_space:  global
        .offset:         64
        .size:           8
        .value_kind:     global_buffer
      - .offset:         72
        .size:           8
        .value_kind:     by_value
      - .offset:         80
        .size:           4
        .value_kind:     by_value
      - .offset:         88
        .size:           8
        .value_kind:     by_value
      - .offset:         96
        .size:           4
        .value_kind:     by_value
      - .offset:         104
        .size:           4
        .value_kind:     hidden_block_count_x
      - .offset:         108
        .size:           4
        .value_kind:     hidden_block_count_y
      - .offset:         112
        .size:           4
        .value_kind:     hidden_block_count_z
      - .offset:         116
        .size:           2
        .value_kind:     hidden_group_size_x
      - .offset:         118
        .size:           2
        .value_kind:     hidden_group_size_y
      - .offset:         120
        .size:           2
        .value_kind:     hidden_group_size_z
      - .offset:         122
        .size:           2
        .value_kind:     hidden_remainder_x
      - .offset:         124
        .size:           2
        .value_kind:     hidden_remainder_y
      - .offset:         126
        .size:           2
        .value_kind:     hidden_remainder_z
      - .offset:         144
        .size:           8
        .value_kind:     hidden_global_offset_x
      - .offset:         152
        .size:           8
        .value_kind:     hidden_global_offset_y
      - .offset:         160
        .size:           8
        .value_kind:     hidden_global_offset_z
      - .offset:         168
        .size:           2
        .value_kind:     hidden_grid_dims
    .group_segment_fixed_size: 16384
    .kernarg_segment_align: 8
    .kernarg_segment_size: 360
    .language:       OpenCL C
    .language_version:
      - 2
      - 0
    .max_flat_workgroup_size: 32
    .name:           _ZL38rocblas_trsm_small_left_device_sharedBILi32ELi32ELb0E19rocblas_complex_numIfES1_PKPKS1_PKPS1_Ev13rocblas_fill_18rocblas_operation_17rocblas_diagonal_iiT3_T4_lilT5_lili
    .private_segment_fixed_size: 272
    .sgpr_count:     45
    .sgpr_spill_count: 0
    .symbol:         _ZL38rocblas_trsm_small_left_device_sharedBILi32ELi32ELb0E19rocblas_complex_numIfES1_PKPKS1_PKPS1_Ev13rocblas_fill_18rocblas_operation_17rocblas_diagonal_iiT3_T4_lilT5_lili.kd
    .uniform_work_group_size: 1
    .uses_dynamic_stack: false
    .vgpr_count:     21
    .vgpr_spill_count: 0
    .wavefront_size: 32
    .workgroup_processor_mode: 1
  - .args:
      - .offset:         0
        .size:           4
        .value_kind:     by_value
      - .offset:         4
        .size:           4
        .value_kind:     by_value
      - .offset:         8
        .size:           4
        .value_kind:     by_value
      - .offset:         12
        .size:           4
        .value_kind:     by_value
      - .offset:         16
        .size:           4
        .value_kind:     by_value
      - .offset:         20
        .size:           8
        .value_kind:     by_value
      - .address_space:  global
        .offset:         32
        .size:           8
        .value_kind:     global_buffer
      - .offset:         40
        .size:           8
        .value_kind:     by_value
      - .offset:         48
        .size:           4
        .value_kind:     by_value
      - .offset:         56
        .size:           8
        .value_kind:     by_value
      - .address_space:  global
        .offset:         64
        .size:           8
        .value_kind:     global_buffer
      - .offset:         72
        .size:           8
        .value_kind:     by_value
      - .offset:         80
        .size:           4
        .value_kind:     by_value
      - .offset:         88
        .size:           8
        .value_kind:     by_value
      - .offset:         96
        .size:           4
        .value_kind:     by_value
      - .offset:         104
        .size:           4
        .value_kind:     hidden_block_count_x
      - .offset:         108
        .size:           4
        .value_kind:     hidden_block_count_y
      - .offset:         112
        .size:           4
        .value_kind:     hidden_block_count_z
      - .offset:         116
        .size:           2
        .value_kind:     hidden_group_size_x
      - .offset:         118
        .size:           2
        .value_kind:     hidden_group_size_y
      - .offset:         120
        .size:           2
        .value_kind:     hidden_group_size_z
      - .offset:         122
        .size:           2
        .value_kind:     hidden_remainder_x
      - .offset:         124
        .size:           2
        .value_kind:     hidden_remainder_y
      - .offset:         126
        .size:           2
        .value_kind:     hidden_remainder_z
      - .offset:         144
        .size:           8
        .value_kind:     hidden_global_offset_x
      - .offset:         152
        .size:           8
        .value_kind:     hidden_global_offset_y
      - .offset:         160
        .size:           8
        .value_kind:     hidden_global_offset_z
      - .offset:         168
        .size:           2
        .value_kind:     hidden_grid_dims
    .group_segment_fixed_size: 8192
    .kernarg_segment_align: 8
    .kernarg_segment_size: 360
    .language:       OpenCL C
    .language_version:
      - 2
      - 0
    .max_flat_workgroup_size: 32
    .name:           _ZL30rocblas_trsm_small_left_deviceILi32ELi32ELb0E19rocblas_complex_numIfES1_PKPKS1_PKPS1_Ev13rocblas_fill_18rocblas_operation_17rocblas_diagonal_iiT3_T4_lilT5_lili
    .private_segment_fixed_size: 272
    .sgpr_count:     47
    .sgpr_spill_count: 0
    .symbol:         _ZL30rocblas_trsm_small_left_deviceILi32ELi32ELb0E19rocblas_complex_numIfES1_PKPKS1_PKPS1_Ev13rocblas_fill_18rocblas_operation_17rocblas_diagonal_iiT3_T4_lilT5_lili.kd
    .uniform_work_group_size: 1
    .uses_dynamic_stack: false
    .vgpr_count:     25
    .vgpr_spill_count: 0
    .wavefront_size: 32
    .workgroup_processor_mode: 1
  - .args:
      - .offset:         0
        .size:           4
        .value_kind:     by_value
      - .offset:         4
        .size:           4
        .value_kind:     by_value
      - .offset:         8
        .size:           4
        .value_kind:     by_value
      - .offset:         12
        .size:           4
        .value_kind:     by_value
      - .offset:         16
        .size:           4
        .value_kind:     by_value
      - .offset:         20
        .size:           8
        .value_kind:     by_value
      - .address_space:  global
        .offset:         32
        .size:           8
        .value_kind:     global_buffer
      - .offset:         40
        .size:           8
        .value_kind:     by_value
      - .offset:         48
        .size:           4
        .value_kind:     by_value
      - .offset:         56
        .size:           8
        .value_kind:     by_value
      - .address_space:  global
        .offset:         64
        .size:           8
        .value_kind:     global_buffer
      - .offset:         72
        .size:           8
        .value_kind:     by_value
      - .offset:         80
        .size:           4
        .value_kind:     by_value
      - .offset:         88
        .size:           8
        .value_kind:     by_value
      - .offset:         96
        .size:           4
        .value_kind:     by_value
      - .offset:         104
        .size:           4
        .value_kind:     hidden_block_count_x
      - .offset:         108
        .size:           4
        .value_kind:     hidden_block_count_y
      - .offset:         112
        .size:           4
        .value_kind:     hidden_block_count_z
      - .offset:         116
        .size:           2
        .value_kind:     hidden_group_size_x
      - .offset:         118
        .size:           2
        .value_kind:     hidden_group_size_y
      - .offset:         120
        .size:           2
        .value_kind:     hidden_group_size_z
      - .offset:         122
        .size:           2
        .value_kind:     hidden_remainder_x
      - .offset:         124
        .size:           2
        .value_kind:     hidden_remainder_y
      - .offset:         126
        .size:           2
        .value_kind:     hidden_remainder_z
      - .offset:         144
        .size:           8
        .value_kind:     hidden_global_offset_x
      - .offset:         152
        .size:           8
        .value_kind:     hidden_global_offset_y
      - .offset:         160
        .size:           8
        .value_kind:     hidden_global_offset_z
      - .offset:         168
        .size:           2
        .value_kind:     hidden_grid_dims
    .group_segment_fixed_size: 16384
    .kernarg_segment_align: 8
    .kernarg_segment_size: 360
    .language:       OpenCL C
    .language_version:
      - 2
      - 0
    .max_flat_workgroup_size: 32
    .name:           _ZL38rocblas_trsm_small_left_device_sharedBILi32ELi32ELb1E19rocblas_complex_numIfES1_PKPKS1_PKPS1_Ev13rocblas_fill_18rocblas_operation_17rocblas_diagonal_iiT3_T4_lilT5_lili
    .private_segment_fixed_size: 272
    .sgpr_count:     45
    .sgpr_spill_count: 0
    .symbol:         _ZL38rocblas_trsm_small_left_device_sharedBILi32ELi32ELb1E19rocblas_complex_numIfES1_PKPKS1_PKPS1_Ev13rocblas_fill_18rocblas_operation_17rocblas_diagonal_iiT3_T4_lilT5_lili.kd
    .uniform_work_group_size: 1
    .uses_dynamic_stack: false
    .vgpr_count:     21
    .vgpr_spill_count: 0
    .wavefront_size: 32
    .workgroup_processor_mode: 1
  - .args:
      - .offset:         0
        .size:           4
        .value_kind:     by_value
      - .offset:         4
        .size:           4
        .value_kind:     by_value
      - .offset:         8
        .size:           4
        .value_kind:     by_value
      - .offset:         12
        .size:           4
        .value_kind:     by_value
      - .offset:         16
        .size:           4
        .value_kind:     by_value
      - .offset:         20
        .size:           8
        .value_kind:     by_value
      - .address_space:  global
        .offset:         32
        .size:           8
        .value_kind:     global_buffer
      - .offset:         40
        .size:           8
        .value_kind:     by_value
      - .offset:         48
        .size:           4
        .value_kind:     by_value
      - .offset:         56
        .size:           8
        .value_kind:     by_value
      - .address_space:  global
        .offset:         64
        .size:           8
        .value_kind:     global_buffer
      - .offset:         72
        .size:           8
        .value_kind:     by_value
      - .offset:         80
        .size:           4
        .value_kind:     by_value
      - .offset:         88
        .size:           8
        .value_kind:     by_value
      - .offset:         96
        .size:           4
        .value_kind:     by_value
      - .offset:         104
        .size:           4
        .value_kind:     hidden_block_count_x
      - .offset:         108
        .size:           4
        .value_kind:     hidden_block_count_y
      - .offset:         112
        .size:           4
        .value_kind:     hidden_block_count_z
      - .offset:         116
        .size:           2
        .value_kind:     hidden_group_size_x
      - .offset:         118
        .size:           2
        .value_kind:     hidden_group_size_y
      - .offset:         120
        .size:           2
        .value_kind:     hidden_group_size_z
      - .offset:         122
        .size:           2
        .value_kind:     hidden_remainder_x
      - .offset:         124
        .size:           2
        .value_kind:     hidden_remainder_y
      - .offset:         126
        .size:           2
        .value_kind:     hidden_remainder_z
      - .offset:         144
        .size:           8
        .value_kind:     hidden_global_offset_x
      - .offset:         152
        .size:           8
        .value_kind:     hidden_global_offset_y
      - .offset:         160
        .size:           8
        .value_kind:     hidden_global_offset_z
      - .offset:         168
        .size:           2
        .value_kind:     hidden_grid_dims
    .group_segment_fixed_size: 8192
    .kernarg_segment_align: 8
    .kernarg_segment_size: 360
    .language:       OpenCL C
    .language_version:
      - 2
      - 0
    .max_flat_workgroup_size: 32
    .name:           _ZL30rocblas_trsm_small_left_deviceILi32ELi32ELb1E19rocblas_complex_numIfES1_PKPKS1_PKPS1_Ev13rocblas_fill_18rocblas_operation_17rocblas_diagonal_iiT3_T4_lilT5_lili
    .private_segment_fixed_size: 272
    .sgpr_count:     46
    .sgpr_spill_count: 0
    .symbol:         _ZL30rocblas_trsm_small_left_deviceILi32ELi32ELb1E19rocblas_complex_numIfES1_PKPKS1_PKPS1_Ev13rocblas_fill_18rocblas_operation_17rocblas_diagonal_iiT3_T4_lilT5_lili.kd
    .uniform_work_group_size: 1
    .uses_dynamic_stack: false
    .vgpr_count:     23
    .vgpr_spill_count: 0
    .wavefront_size: 32
    .workgroup_processor_mode: 1
  - .args:
      - .offset:         0
        .size:           4
        .value_kind:     by_value
      - .offset:         4
        .size:           4
        .value_kind:     by_value
      - .offset:         8
        .size:           4
        .value_kind:     by_value
      - .offset:         12
        .size:           4
        .value_kind:     by_value
      - .offset:         16
        .size:           4
        .value_kind:     by_value
      - .offset:         20
        .size:           8
        .value_kind:     by_value
      - .address_space:  global
        .offset:         32
        .size:           8
        .value_kind:     global_buffer
      - .offset:         40
        .size:           8
        .value_kind:     by_value
      - .offset:         48
        .size:           4
        .value_kind:     by_value
      - .offset:         56
        .size:           8
        .value_kind:     by_value
      - .address_space:  global
        .offset:         64
        .size:           8
        .value_kind:     global_buffer
      - .offset:         72
        .size:           8
        .value_kind:     by_value
      - .offset:         80
        .size:           4
        .value_kind:     by_value
      - .offset:         88
        .size:           8
        .value_kind:     by_value
      - .offset:         96
        .size:           4
        .value_kind:     by_value
      - .offset:         104
        .size:           4
        .value_kind:     hidden_block_count_x
      - .offset:         108
        .size:           4
        .value_kind:     hidden_block_count_y
      - .offset:         112
        .size:           4
        .value_kind:     hidden_block_count_z
      - .offset:         116
        .size:           2
        .value_kind:     hidden_group_size_x
      - .offset:         118
        .size:           2
        .value_kind:     hidden_group_size_y
      - .offset:         120
        .size:           2
        .value_kind:     hidden_group_size_z
      - .offset:         122
        .size:           2
        .value_kind:     hidden_remainder_x
      - .offset:         124
        .size:           2
        .value_kind:     hidden_remainder_y
      - .offset:         126
        .size:           2
        .value_kind:     hidden_remainder_z
      - .offset:         144
        .size:           8
        .value_kind:     hidden_global_offset_x
      - .offset:         152
        .size:           8
        .value_kind:     hidden_global_offset_y
      - .offset:         160
        .size:           8
        .value_kind:     hidden_global_offset_z
      - .offset:         168
        .size:           2
        .value_kind:     hidden_grid_dims
    .group_segment_fixed_size: 16384
    .kernarg_segment_align: 8
    .kernarg_segment_size: 360
    .language:       OpenCL C
    .language_version:
      - 2
      - 0
    .max_flat_workgroup_size: 32
    .name:           _ZL31rocblas_trsm_small_right_deviceI19rocblas_complex_numIfES1_PKPKS1_PKPS1_Li32EEv13rocblas_fill_18rocblas_operation_17rocblas_diagonal_iiT0_T1_lilT2_lili
    .private_segment_fixed_size: 0
    .sgpr_count:     43
    .sgpr_spill_count: 0
    .symbol:         _ZL31rocblas_trsm_small_right_deviceI19rocblas_complex_numIfES1_PKPKS1_PKPS1_Li32EEv13rocblas_fill_18rocblas_operation_17rocblas_diagonal_iiT0_T1_lilT2_lili.kd
    .uniform_work_group_size: 1
    .uses_dynamic_stack: false
    .vgpr_count:     42
    .vgpr_spill_count: 0
    .wavefront_size: 32
    .workgroup_processor_mode: 1
  - .args:
      - .offset:         0
        .size:           4
        .value_kind:     by_value
      - .offset:         4
        .size:           4
        .value_kind:     by_value
      - .offset:         8
        .size:           4
        .value_kind:     by_value
      - .offset:         12
        .size:           4
        .value_kind:     by_value
      - .offset:         16
        .size:           4
        .value_kind:     by_value
      - .offset:         20
        .size:           8
        .value_kind:     by_value
      - .address_space:  global
        .offset:         32
        .size:           8
        .value_kind:     global_buffer
      - .offset:         40
        .size:           8
        .value_kind:     by_value
      - .offset:         48
        .size:           4
        .value_kind:     by_value
      - .offset:         56
        .size:           8
        .value_kind:     by_value
      - .address_space:  global
        .offset:         64
        .size:           8
        .value_kind:     global_buffer
      - .offset:         72
        .size:           8
        .value_kind:     by_value
      - .offset:         80
        .size:           4
        .value_kind:     by_value
      - .offset:         88
        .size:           8
        .value_kind:     by_value
      - .offset:         96
        .size:           4
        .value_kind:     by_value
      - .offset:         104
        .size:           4
        .value_kind:     hidden_block_count_x
      - .offset:         108
        .size:           4
        .value_kind:     hidden_block_count_y
      - .offset:         112
        .size:           4
        .value_kind:     hidden_block_count_z
      - .offset:         116
        .size:           2
        .value_kind:     hidden_group_size_x
      - .offset:         118
        .size:           2
        .value_kind:     hidden_group_size_y
      - .offset:         120
        .size:           2
        .value_kind:     hidden_group_size_z
      - .offset:         122
        .size:           2
        .value_kind:     hidden_remainder_x
      - .offset:         124
        .size:           2
        .value_kind:     hidden_remainder_y
      - .offset:         126
        .size:           2
        .value_kind:     hidden_remainder_z
      - .offset:         144
        .size:           8
        .value_kind:     hidden_global_offset_x
      - .offset:         152
        .size:           8
        .value_kind:     hidden_global_offset_y
      - .offset:         160
        .size:           8
        .value_kind:     hidden_global_offset_z
      - .offset:         168
        .size:           2
        .value_kind:     hidden_grid_dims
    .group_segment_fixed_size: 65536
    .kernarg_segment_align: 8
    .kernarg_segment_size: 360
    .language:       OpenCL C
    .language_version:
      - 2
      - 0
    .max_flat_workgroup_size: 64
    .name:           _ZL38rocblas_trsm_small_left_device_sharedBILi64ELi32ELb0E19rocblas_complex_numIfES1_PKPKS1_PKPS1_Ev13rocblas_fill_18rocblas_operation_17rocblas_diagonal_iiT3_T4_lilT5_lili
    .private_segment_fixed_size: 272
    .sgpr_count:     45
    .sgpr_spill_count: 0
    .symbol:         _ZL38rocblas_trsm_small_left_device_sharedBILi64ELi32ELb0E19rocblas_complex_numIfES1_PKPKS1_PKPS1_Ev13rocblas_fill_18rocblas_operation_17rocblas_diagonal_iiT3_T4_lilT5_lili.kd
    .uniform_work_group_size: 1
    .uses_dynamic_stack: false
    .vgpr_count:     21
    .vgpr_spill_count: 0
    .wavefront_size: 32
    .workgroup_processor_mode: 1
  - .args:
      - .offset:         0
        .size:           4
        .value_kind:     by_value
      - .offset:         4
        .size:           4
        .value_kind:     by_value
      - .offset:         8
        .size:           4
        .value_kind:     by_value
      - .offset:         12
        .size:           4
        .value_kind:     by_value
      - .offset:         16
        .size:           4
        .value_kind:     by_value
      - .offset:         20
        .size:           8
        .value_kind:     by_value
      - .address_space:  global
        .offset:         32
        .size:           8
        .value_kind:     global_buffer
      - .offset:         40
        .size:           8
        .value_kind:     by_value
      - .offset:         48
        .size:           4
        .value_kind:     by_value
      - .offset:         56
        .size:           8
        .value_kind:     by_value
      - .address_space:  global
        .offset:         64
        .size:           8
        .value_kind:     global_buffer
      - .offset:         72
        .size:           8
        .value_kind:     by_value
      - .offset:         80
        .size:           4
        .value_kind:     by_value
      - .offset:         88
        .size:           8
        .value_kind:     by_value
      - .offset:         96
        .size:           4
        .value_kind:     by_value
      - .offset:         104
        .size:           4
        .value_kind:     hidden_block_count_x
      - .offset:         108
        .size:           4
        .value_kind:     hidden_block_count_y
      - .offset:         112
        .size:           4
        .value_kind:     hidden_block_count_z
      - .offset:         116
        .size:           2
        .value_kind:     hidden_group_size_x
      - .offset:         118
        .size:           2
        .value_kind:     hidden_group_size_y
      - .offset:         120
        .size:           2
        .value_kind:     hidden_group_size_z
      - .offset:         122
        .size:           2
        .value_kind:     hidden_remainder_x
      - .offset:         124
        .size:           2
        .value_kind:     hidden_remainder_y
      - .offset:         126
        .size:           2
        .value_kind:     hidden_remainder_z
      - .offset:         144
        .size:           8
        .value_kind:     hidden_global_offset_x
      - .offset:         152
        .size:           8
        .value_kind:     hidden_global_offset_y
      - .offset:         160
        .size:           8
        .value_kind:     hidden_global_offset_z
      - .offset:         168
        .size:           2
        .value_kind:     hidden_grid_dims
    .group_segment_fixed_size: 32768
    .kernarg_segment_align: 8
    .kernarg_segment_size: 360
    .language:       OpenCL C
    .language_version:
      - 2
      - 0
    .max_flat_workgroup_size: 64
    .name:           _ZL30rocblas_trsm_small_left_deviceILi64ELi32ELb0E19rocblas_complex_numIfES1_PKPKS1_PKPS1_Ev13rocblas_fill_18rocblas_operation_17rocblas_diagonal_iiT3_T4_lilT5_lili
    .private_segment_fixed_size: 272
    .sgpr_count:     47
    .sgpr_spill_count: 0
    .symbol:         _ZL30rocblas_trsm_small_left_deviceILi64ELi32ELb0E19rocblas_complex_numIfES1_PKPKS1_PKPS1_Ev13rocblas_fill_18rocblas_operation_17rocblas_diagonal_iiT3_T4_lilT5_lili.kd
    .uniform_work_group_size: 1
    .uses_dynamic_stack: false
    .vgpr_count:     25
    .vgpr_spill_count: 0
    .wavefront_size: 32
    .workgroup_processor_mode: 1
  - .args:
      - .offset:         0
        .size:           4
        .value_kind:     by_value
      - .offset:         4
        .size:           4
        .value_kind:     by_value
      - .offset:         8
        .size:           4
        .value_kind:     by_value
      - .offset:         12
        .size:           4
        .value_kind:     by_value
      - .offset:         16
        .size:           4
        .value_kind:     by_value
      - .offset:         20
        .size:           8
        .value_kind:     by_value
      - .address_space:  global
        .offset:         32
        .size:           8
        .value_kind:     global_buffer
      - .offset:         40
        .size:           8
        .value_kind:     by_value
      - .offset:         48
        .size:           4
        .value_kind:     by_value
      - .offset:         56
        .size:           8
        .value_kind:     by_value
      - .address_space:  global
        .offset:         64
        .size:           8
        .value_kind:     global_buffer
      - .offset:         72
        .size:           8
        .value_kind:     by_value
      - .offset:         80
        .size:           4
        .value_kind:     by_value
      - .offset:         88
        .size:           8
        .value_kind:     by_value
      - .offset:         96
        .size:           4
        .value_kind:     by_value
      - .offset:         104
        .size:           4
        .value_kind:     hidden_block_count_x
      - .offset:         108
        .size:           4
        .value_kind:     hidden_block_count_y
      - .offset:         112
        .size:           4
        .value_kind:     hidden_block_count_z
      - .offset:         116
        .size:           2
        .value_kind:     hidden_group_size_x
      - .offset:         118
        .size:           2
        .value_kind:     hidden_group_size_y
      - .offset:         120
        .size:           2
        .value_kind:     hidden_group_size_z
      - .offset:         122
        .size:           2
        .value_kind:     hidden_remainder_x
      - .offset:         124
        .size:           2
        .value_kind:     hidden_remainder_y
      - .offset:         126
        .size:           2
        .value_kind:     hidden_remainder_z
      - .offset:         144
        .size:           8
        .value_kind:     hidden_global_offset_x
      - .offset:         152
        .size:           8
        .value_kind:     hidden_global_offset_y
      - .offset:         160
        .size:           8
        .value_kind:     hidden_global_offset_z
      - .offset:         168
        .size:           2
        .value_kind:     hidden_grid_dims
    .group_segment_fixed_size: 65536
    .kernarg_segment_align: 8
    .kernarg_segment_size: 360
    .language:       OpenCL C
    .language_version:
      - 2
      - 0
    .max_flat_workgroup_size: 64
    .name:           _ZL38rocblas_trsm_small_left_device_sharedBILi64ELi32ELb1E19rocblas_complex_numIfES1_PKPKS1_PKPS1_Ev13rocblas_fill_18rocblas_operation_17rocblas_diagonal_iiT3_T4_lilT5_lili
    .private_segment_fixed_size: 272
    .sgpr_count:     45
    .sgpr_spill_count: 0
    .symbol:         _ZL38rocblas_trsm_small_left_device_sharedBILi64ELi32ELb1E19rocblas_complex_numIfES1_PKPKS1_PKPS1_Ev13rocblas_fill_18rocblas_operation_17rocblas_diagonal_iiT3_T4_lilT5_lili.kd
    .uniform_work_group_size: 1
    .uses_dynamic_stack: false
    .vgpr_count:     21
    .vgpr_spill_count: 0
    .wavefront_size: 32
    .workgroup_processor_mode: 1
  - .args:
      - .offset:         0
        .size:           4
        .value_kind:     by_value
      - .offset:         4
        .size:           4
        .value_kind:     by_value
      - .offset:         8
        .size:           4
        .value_kind:     by_value
      - .offset:         12
        .size:           4
        .value_kind:     by_value
      - .offset:         16
        .size:           4
        .value_kind:     by_value
      - .offset:         20
        .size:           8
        .value_kind:     by_value
      - .address_space:  global
        .offset:         32
        .size:           8
        .value_kind:     global_buffer
      - .offset:         40
        .size:           8
        .value_kind:     by_value
      - .offset:         48
        .size:           4
        .value_kind:     by_value
      - .offset:         56
        .size:           8
        .value_kind:     by_value
      - .address_space:  global
        .offset:         64
        .size:           8
        .value_kind:     global_buffer
      - .offset:         72
        .size:           8
        .value_kind:     by_value
      - .offset:         80
        .size:           4
        .value_kind:     by_value
      - .offset:         88
        .size:           8
        .value_kind:     by_value
      - .offset:         96
        .size:           4
        .value_kind:     by_value
      - .offset:         104
        .size:           4
        .value_kind:     hidden_block_count_x
      - .offset:         108
        .size:           4
        .value_kind:     hidden_block_count_y
      - .offset:         112
        .size:           4
        .value_kind:     hidden_block_count_z
      - .offset:         116
        .size:           2
        .value_kind:     hidden_group_size_x
      - .offset:         118
        .size:           2
        .value_kind:     hidden_group_size_y
      - .offset:         120
        .size:           2
        .value_kind:     hidden_group_size_z
      - .offset:         122
        .size:           2
        .value_kind:     hidden_remainder_x
      - .offset:         124
        .size:           2
        .value_kind:     hidden_remainder_y
      - .offset:         126
        .size:           2
        .value_kind:     hidden_remainder_z
      - .offset:         144
        .size:           8
        .value_kind:     hidden_global_offset_x
      - .offset:         152
        .size:           8
        .value_kind:     hidden_global_offset_y
      - .offset:         160
        .size:           8
        .value_kind:     hidden_global_offset_z
      - .offset:         168
        .size:           2
        .value_kind:     hidden_grid_dims
    .group_segment_fixed_size: 32768
    .kernarg_segment_align: 8
    .kernarg_segment_size: 360
    .language:       OpenCL C
    .language_version:
      - 2
      - 0
    .max_flat_workgroup_size: 64
    .name:           _ZL30rocblas_trsm_small_left_deviceILi64ELi32ELb1E19rocblas_complex_numIfES1_PKPKS1_PKPS1_Ev13rocblas_fill_18rocblas_operation_17rocblas_diagonal_iiT3_T4_lilT5_lili
    .private_segment_fixed_size: 272
    .sgpr_count:     46
    .sgpr_spill_count: 0
    .symbol:         _ZL30rocblas_trsm_small_left_deviceILi64ELi32ELb1E19rocblas_complex_numIfES1_PKPKS1_PKPS1_Ev13rocblas_fill_18rocblas_operation_17rocblas_diagonal_iiT3_T4_lilT5_lili.kd
    .uniform_work_group_size: 1
    .uses_dynamic_stack: false
    .vgpr_count:     23
    .vgpr_spill_count: 0
    .wavefront_size: 32
    .workgroup_processor_mode: 1
  - .args:
      - .offset:         0
        .size:           4
        .value_kind:     by_value
      - .offset:         4
        .size:           4
        .value_kind:     by_value
      - .offset:         8
        .size:           4
        .value_kind:     by_value
      - .offset:         12
        .size:           4
        .value_kind:     by_value
      - .offset:         16
        .size:           4
        .value_kind:     by_value
      - .offset:         20
        .size:           8
        .value_kind:     by_value
      - .address_space:  global
        .offset:         32
        .size:           8
        .value_kind:     global_buffer
      - .offset:         40
        .size:           8
        .value_kind:     by_value
      - .offset:         48
        .size:           4
        .value_kind:     by_value
      - .offset:         56
        .size:           8
        .value_kind:     by_value
      - .address_space:  global
        .offset:         64
        .size:           8
        .value_kind:     global_buffer
      - .offset:         72
        .size:           8
        .value_kind:     by_value
      - .offset:         80
        .size:           4
        .value_kind:     by_value
      - .offset:         88
        .size:           8
        .value_kind:     by_value
      - .offset:         96
        .size:           4
        .value_kind:     by_value
      - .offset:         104
        .size:           4
        .value_kind:     hidden_block_count_x
      - .offset:         108
        .size:           4
        .value_kind:     hidden_block_count_y
      - .offset:         112
        .size:           4
        .value_kind:     hidden_block_count_z
      - .offset:         116
        .size:           2
        .value_kind:     hidden_group_size_x
      - .offset:         118
        .size:           2
        .value_kind:     hidden_group_size_y
      - .offset:         120
        .size:           2
        .value_kind:     hidden_group_size_z
      - .offset:         122
        .size:           2
        .value_kind:     hidden_remainder_x
      - .offset:         124
        .size:           2
        .value_kind:     hidden_remainder_y
      - .offset:         126
        .size:           2
        .value_kind:     hidden_remainder_z
      - .offset:         144
        .size:           8
        .value_kind:     hidden_global_offset_x
      - .offset:         152
        .size:           8
        .value_kind:     hidden_global_offset_y
      - .offset:         160
        .size:           8
        .value_kind:     hidden_global_offset_z
      - .offset:         168
        .size:           2
        .value_kind:     hidden_grid_dims
    .group_segment_fixed_size: 65536
    .kernarg_segment_align: 8
    .kernarg_segment_size: 360
    .language:       OpenCL C
    .language_version:
      - 2
      - 0
    .max_flat_workgroup_size: 64
    .name:           _ZL31rocblas_trsm_small_right_deviceI19rocblas_complex_numIfES1_PKPKS1_PKPS1_Li64EEv13rocblas_fill_18rocblas_operation_17rocblas_diagonal_iiT0_T1_lilT2_lili
    .private_segment_fixed_size: 0
    .sgpr_count:     43
    .sgpr_spill_count: 0
    .symbol:         _ZL31rocblas_trsm_small_right_deviceI19rocblas_complex_numIfES1_PKPKS1_PKPS1_Li64EEv13rocblas_fill_18rocblas_operation_17rocblas_diagonal_iiT0_T1_lilT2_lili.kd
    .uniform_work_group_size: 1
    .uses_dynamic_stack: false
    .vgpr_count:     42
    .vgpr_spill_count: 0
    .wavefront_size: 32
    .workgroup_processor_mode: 1
  - .args:
      - .offset:         0
        .size:           4
        .value_kind:     by_value
      - .offset:         8
        .size:           8
        .value_kind:     by_value
      - .offset:         16
        .size:           8
        .value_kind:     by_value
      - .offset:         24
        .size:           8
        .value_kind:     by_value
      - .address_space:  global
        .offset:         32
        .size:           8
        .value_kind:     global_buffer
      - .offset:         40
        .size:           8
        .value_kind:     by_value
      - .offset:         48
        .size:           8
        .value_kind:     by_value
      - .offset:         56
        .size:           8
        .value_kind:     by_value
      - .address_space:  global
        .offset:         64
        .size:           8
        .value_kind:     global_buffer
      - .offset:         72
        .size:           8
        .value_kind:     by_value
      - .offset:         80
        .size:           8
        .value_kind:     by_value
      - .offset:         88
        .size:           8
        .value_kind:     by_value
      - .offset:         96
        .size:           4
        .value_kind:     by_value
      - .offset:         100
        .size:           1
        .value_kind:     by_value
      - .offset:         104
        .size:           4
        .value_kind:     hidden_block_count_x
      - .offset:         108
        .size:           4
        .value_kind:     hidden_block_count_y
      - .offset:         112
        .size:           4
        .value_kind:     hidden_block_count_z
      - .offset:         116
        .size:           2
        .value_kind:     hidden_group_size_x
      - .offset:         118
        .size:           2
        .value_kind:     hidden_group_size_y
      - .offset:         120
        .size:           2
        .value_kind:     hidden_group_size_z
      - .offset:         122
        .size:           2
        .value_kind:     hidden_remainder_x
      - .offset:         124
        .size:           2
        .value_kind:     hidden_remainder_y
      - .offset:         126
        .size:           2
        .value_kind:     hidden_remainder_z
      - .offset:         144
        .size:           8
        .value_kind:     hidden_global_offset_x
      - .offset:         152
        .size:           8
        .value_kind:     hidden_global_offset_y
      - .offset:         160
        .size:           8
        .value_kind:     hidden_global_offset_z
      - .offset:         168
        .size:           2
        .value_kind:     hidden_grid_dims
      - .offset:         224
        .size:           4
        .value_kind:     hidden_dynamic_lds_size
    .group_segment_fixed_size: 0
    .kernarg_segment_align: 8
    .kernarg_segment_size: 360
    .language:       OpenCL C
    .language_version:
      - 2
      - 0
    .max_flat_workgroup_size: 1024
    .name:           _ZL39rocblas_trsm_block_forward_substitutionI19rocblas_complex_numIfES1_PKPKS1_PKPS1_Lb0ELb0ELb0EEv18rocblas_operation_llT0_T1_lllT2_lllib
    .private_segment_fixed_size: 0
    .sgpr_count:     42
    .sgpr_spill_count: 0
    .symbol:         _ZL39rocblas_trsm_block_forward_substitutionI19rocblas_complex_numIfES1_PKPKS1_PKPS1_Lb0ELb0ELb0EEv18rocblas_operation_llT0_T1_lllT2_lllib.kd
    .uniform_work_group_size: 1
    .uses_dynamic_stack: false
    .vgpr_count:     27
    .vgpr_spill_count: 0
    .wavefront_size: 32
    .workgroup_processor_mode: 1
  - .args:
      - .offset:         0
        .size:           4
        .value_kind:     by_value
      - .offset:         8
        .size:           8
        .value_kind:     by_value
      - .offset:         16
        .size:           8
        .value_kind:     by_value
      - .offset:         24
        .size:           8
        .value_kind:     by_value
      - .address_space:  global
        .offset:         32
        .size:           8
        .value_kind:     global_buffer
      - .offset:         40
        .size:           8
        .value_kind:     by_value
      - .offset:         48
        .size:           8
        .value_kind:     by_value
      - .offset:         56
        .size:           8
        .value_kind:     by_value
      - .address_space:  global
        .offset:         64
        .size:           8
        .value_kind:     global_buffer
      - .offset:         72
        .size:           8
        .value_kind:     by_value
      - .offset:         80
        .size:           8
        .value_kind:     by_value
      - .offset:         88
        .size:           8
        .value_kind:     by_value
      - .offset:         96
        .size:           4
        .value_kind:     by_value
      - .offset:         100
        .size:           1
        .value_kind:     by_value
      - .offset:         104
        .size:           4
        .value_kind:     hidden_block_count_x
      - .offset:         108
        .size:           4
        .value_kind:     hidden_block_count_y
      - .offset:         112
        .size:           4
        .value_kind:     hidden_block_count_z
      - .offset:         116
        .size:           2
        .value_kind:     hidden_group_size_x
      - .offset:         118
        .size:           2
        .value_kind:     hidden_group_size_y
      - .offset:         120
        .size:           2
        .value_kind:     hidden_group_size_z
      - .offset:         122
        .size:           2
        .value_kind:     hidden_remainder_x
      - .offset:         124
        .size:           2
        .value_kind:     hidden_remainder_y
      - .offset:         126
        .size:           2
        .value_kind:     hidden_remainder_z
      - .offset:         144
        .size:           8
        .value_kind:     hidden_global_offset_x
      - .offset:         152
        .size:           8
        .value_kind:     hidden_global_offset_y
      - .offset:         160
        .size:           8
        .value_kind:     hidden_global_offset_z
      - .offset:         168
        .size:           2
        .value_kind:     hidden_grid_dims
      - .offset:         224
        .size:           4
        .value_kind:     hidden_dynamic_lds_size
    .group_segment_fixed_size: 0
    .kernarg_segment_align: 8
    .kernarg_segment_size: 360
    .language:       OpenCL C
    .language_version:
      - 2
      - 0
    .max_flat_workgroup_size: 1024
    .name:           _ZL40rocblas_trsm_block_backward_substitutionI19rocblas_complex_numIfES1_PKPKS1_PKPS1_Lb0ELb0ELb0EEv18rocblas_operation_llT0_T1_lllT2_lllib
    .private_segment_fixed_size: 0
    .sgpr_count:     50
    .sgpr_spill_count: 0
    .symbol:         _ZL40rocblas_trsm_block_backward_substitutionI19rocblas_complex_numIfES1_PKPKS1_PKPS1_Lb0ELb0ELb0EEv18rocblas_operation_llT0_T1_lllT2_lllib.kd
    .uniform_work_group_size: 1
    .uses_dynamic_stack: false
    .vgpr_count:     31
    .vgpr_spill_count: 0
    .wavefront_size: 32
    .workgroup_processor_mode: 1
  - .args:
      - .offset:         0
        .size:           4
        .value_kind:     by_value
      - .offset:         8
        .size:           8
        .value_kind:     by_value
      - .offset:         16
        .size:           8
        .value_kind:     by_value
      - .offset:         24
        .size:           8
        .value_kind:     by_value
      - .address_space:  global
        .offset:         32
        .size:           8
        .value_kind:     global_buffer
      - .offset:         40
        .size:           8
        .value_kind:     by_value
      - .offset:         48
        .size:           8
        .value_kind:     by_value
      - .offset:         56
        .size:           8
        .value_kind:     by_value
      - .address_space:  global
        .offset:         64
        .size:           8
        .value_kind:     global_buffer
      - .offset:         72
        .size:           8
        .value_kind:     by_value
      - .offset:         80
        .size:           8
        .value_kind:     by_value
      - .offset:         88
        .size:           8
        .value_kind:     by_value
      - .offset:         96
        .size:           4
        .value_kind:     by_value
      - .offset:         100
        .size:           1
        .value_kind:     by_value
      - .offset:         104
        .size:           4
        .value_kind:     hidden_block_count_x
      - .offset:         108
        .size:           4
        .value_kind:     hidden_block_count_y
      - .offset:         112
        .size:           4
        .value_kind:     hidden_block_count_z
      - .offset:         116
        .size:           2
        .value_kind:     hidden_group_size_x
      - .offset:         118
        .size:           2
        .value_kind:     hidden_group_size_y
      - .offset:         120
        .size:           2
        .value_kind:     hidden_group_size_z
      - .offset:         122
        .size:           2
        .value_kind:     hidden_remainder_x
      - .offset:         124
        .size:           2
        .value_kind:     hidden_remainder_y
      - .offset:         126
        .size:           2
        .value_kind:     hidden_remainder_z
      - .offset:         144
        .size:           8
        .value_kind:     hidden_global_offset_x
      - .offset:         152
        .size:           8
        .value_kind:     hidden_global_offset_y
      - .offset:         160
        .size:           8
        .value_kind:     hidden_global_offset_z
      - .offset:         168
        .size:           2
        .value_kind:     hidden_grid_dims
      - .offset:         224
        .size:           4
        .value_kind:     hidden_dynamic_lds_size
    .group_segment_fixed_size: 0
    .kernarg_segment_align: 8
    .kernarg_segment_size: 360
    .language:       OpenCL C
    .language_version:
      - 2
      - 0
    .max_flat_workgroup_size: 1024
    .name:           _ZL39rocblas_trsm_block_forward_substitutionI19rocblas_complex_numIfES1_PKPKS1_PKPS1_Lb0ELb0ELb1EEv18rocblas_operation_llT0_T1_lllT2_lllib
    .private_segment_fixed_size: 0
    .sgpr_count:     40
    .sgpr_spill_count: 0
    .symbol:         _ZL39rocblas_trsm_block_forward_substitutionI19rocblas_complex_numIfES1_PKPKS1_PKPS1_Lb0ELb0ELb1EEv18rocblas_operation_llT0_T1_lllT2_lllib.kd
    .uniform_work_group_size: 1
    .uses_dynamic_stack: false
    .vgpr_count:     20
    .vgpr_spill_count: 0
    .wavefront_size: 32
    .workgroup_processor_mode: 1
  - .args:
      - .offset:         0
        .size:           4
        .value_kind:     by_value
      - .offset:         8
        .size:           8
        .value_kind:     by_value
      - .offset:         16
        .size:           8
        .value_kind:     by_value
      - .offset:         24
        .size:           8
        .value_kind:     by_value
      - .address_space:  global
        .offset:         32
        .size:           8
        .value_kind:     global_buffer
      - .offset:         40
        .size:           8
        .value_kind:     by_value
      - .offset:         48
        .size:           8
        .value_kind:     by_value
      - .offset:         56
        .size:           8
        .value_kind:     by_value
      - .address_space:  global
        .offset:         64
        .size:           8
        .value_kind:     global_buffer
      - .offset:         72
        .size:           8
        .value_kind:     by_value
      - .offset:         80
        .size:           8
        .value_kind:     by_value
      - .offset:         88
        .size:           8
        .value_kind:     by_value
      - .offset:         96
        .size:           4
        .value_kind:     by_value
      - .offset:         100
        .size:           1
        .value_kind:     by_value
      - .offset:         104
        .size:           4
        .value_kind:     hidden_block_count_x
      - .offset:         108
        .size:           4
        .value_kind:     hidden_block_count_y
      - .offset:         112
        .size:           4
        .value_kind:     hidden_block_count_z
      - .offset:         116
        .size:           2
        .value_kind:     hidden_group_size_x
      - .offset:         118
        .size:           2
        .value_kind:     hidden_group_size_y
      - .offset:         120
        .size:           2
        .value_kind:     hidden_group_size_z
      - .offset:         122
        .size:           2
        .value_kind:     hidden_remainder_x
      - .offset:         124
        .size:           2
        .value_kind:     hidden_remainder_y
      - .offset:         126
        .size:           2
        .value_kind:     hidden_remainder_z
      - .offset:         144
        .size:           8
        .value_kind:     hidden_global_offset_x
      - .offset:         152
        .size:           8
        .value_kind:     hidden_global_offset_y
      - .offset:         160
        .size:           8
        .value_kind:     hidden_global_offset_z
      - .offset:         168
        .size:           2
        .value_kind:     hidden_grid_dims
      - .offset:         224
        .size:           4
        .value_kind:     hidden_dynamic_lds_size
    .group_segment_fixed_size: 0
    .kernarg_segment_align: 8
    .kernarg_segment_size: 360
    .language:       OpenCL C
    .language_version:
      - 2
      - 0
    .max_flat_workgroup_size: 1024
    .name:           _ZL40rocblas_trsm_block_backward_substitutionI19rocblas_complex_numIfES1_PKPKS1_PKPS1_Lb0ELb0ELb1EEv18rocblas_operation_llT0_T1_lllT2_lllib
    .private_segment_fixed_size: 0
    .sgpr_count:     42
    .sgpr_spill_count: 0
    .symbol:         _ZL40rocblas_trsm_block_backward_substitutionI19rocblas_complex_numIfES1_PKPKS1_PKPS1_Lb0ELb0ELb1EEv18rocblas_operation_llT0_T1_lllT2_lllib.kd
    .uniform_work_group_size: 1
    .uses_dynamic_stack: false
    .vgpr_count:     23
    .vgpr_spill_count: 0
    .wavefront_size: 32
    .workgroup_processor_mode: 1
  - .args:
      - .offset:         0
        .size:           4
        .value_kind:     by_value
      - .offset:         8
        .size:           8
        .value_kind:     by_value
      - .offset:         16
        .size:           8
        .value_kind:     by_value
      - .offset:         24
        .size:           8
        .value_kind:     by_value
      - .address_space:  global
        .offset:         32
        .size:           8
        .value_kind:     global_buffer
      - .offset:         40
        .size:           8
        .value_kind:     by_value
      - .offset:         48
        .size:           8
        .value_kind:     by_value
      - .offset:         56
        .size:           8
        .value_kind:     by_value
      - .address_space:  global
        .offset:         64
        .size:           8
        .value_kind:     global_buffer
      - .offset:         72
        .size:           8
        .value_kind:     by_value
      - .offset:         80
        .size:           8
        .value_kind:     by_value
      - .offset:         88
        .size:           8
        .value_kind:     by_value
      - .offset:         96
        .size:           4
        .value_kind:     by_value
      - .offset:         100
        .size:           1
        .value_kind:     by_value
      - .offset:         104
        .size:           4
        .value_kind:     hidden_block_count_x
      - .offset:         108
        .size:           4
        .value_kind:     hidden_block_count_y
      - .offset:         112
        .size:           4
        .value_kind:     hidden_block_count_z
      - .offset:         116
        .size:           2
        .value_kind:     hidden_group_size_x
      - .offset:         118
        .size:           2
        .value_kind:     hidden_group_size_y
      - .offset:         120
        .size:           2
        .value_kind:     hidden_group_size_z
      - .offset:         122
        .size:           2
        .value_kind:     hidden_remainder_x
      - .offset:         124
        .size:           2
        .value_kind:     hidden_remainder_y
      - .offset:         126
        .size:           2
        .value_kind:     hidden_remainder_z
      - .offset:         144
        .size:           8
        .value_kind:     hidden_global_offset_x
      - .offset:         152
        .size:           8
        .value_kind:     hidden_global_offset_y
      - .offset:         160
        .size:           8
        .value_kind:     hidden_global_offset_z
      - .offset:         168
        .size:           2
        .value_kind:     hidden_grid_dims
      - .offset:         224
        .size:           4
        .value_kind:     hidden_dynamic_lds_size
    .group_segment_fixed_size: 0
    .kernarg_segment_align: 8
    .kernarg_segment_size: 360
    .language:       OpenCL C
    .language_version:
      - 2
      - 0
    .max_flat_workgroup_size: 1024
    .name:           _ZL39rocblas_trsm_block_forward_substitutionI19rocblas_complex_numIfES1_PKPKS1_PKPS1_Lb0ELb1ELb0EEv18rocblas_operation_llT0_T1_lllT2_lllib
    .private_segment_fixed_size: 0
    .sgpr_count:     42
    .sgpr_spill_count: 0
    .symbol:         _ZL39rocblas_trsm_block_forward_substitutionI19rocblas_complex_numIfES1_PKPKS1_PKPS1_Lb0ELb1ELb0EEv18rocblas_operation_llT0_T1_lllT2_lllib.kd
    .uniform_work_group_size: 1
    .uses_dynamic_stack: false
    .vgpr_count:     29
    .vgpr_spill_count: 0
    .wavefront_size: 32
    .workgroup_processor_mode: 1
  - .args:
      - .offset:         0
        .size:           4
        .value_kind:     by_value
      - .offset:         8
        .size:           8
        .value_kind:     by_value
      - .offset:         16
        .size:           8
        .value_kind:     by_value
      - .offset:         24
        .size:           8
        .value_kind:     by_value
      - .address_space:  global
        .offset:         32
        .size:           8
        .value_kind:     global_buffer
      - .offset:         40
        .size:           8
        .value_kind:     by_value
      - .offset:         48
        .size:           8
        .value_kind:     by_value
      - .offset:         56
        .size:           8
        .value_kind:     by_value
      - .address_space:  global
        .offset:         64
        .size:           8
        .value_kind:     global_buffer
      - .offset:         72
        .size:           8
        .value_kind:     by_value
      - .offset:         80
        .size:           8
        .value_kind:     by_value
      - .offset:         88
        .size:           8
        .value_kind:     by_value
      - .offset:         96
        .size:           4
        .value_kind:     by_value
      - .offset:         100
        .size:           1
        .value_kind:     by_value
      - .offset:         104
        .size:           4
        .value_kind:     hidden_block_count_x
      - .offset:         108
        .size:           4
        .value_kind:     hidden_block_count_y
      - .offset:         112
        .size:           4
        .value_kind:     hidden_block_count_z
      - .offset:         116
        .size:           2
        .value_kind:     hidden_group_size_x
      - .offset:         118
        .size:           2
        .value_kind:     hidden_group_size_y
      - .offset:         120
        .size:           2
        .value_kind:     hidden_group_size_z
      - .offset:         122
        .size:           2
        .value_kind:     hidden_remainder_x
      - .offset:         124
        .size:           2
        .value_kind:     hidden_remainder_y
      - .offset:         126
        .size:           2
        .value_kind:     hidden_remainder_z
      - .offset:         144
        .size:           8
        .value_kind:     hidden_global_offset_x
      - .offset:         152
        .size:           8
        .value_kind:     hidden_global_offset_y
      - .offset:         160
        .size:           8
        .value_kind:     hidden_global_offset_z
      - .offset:         168
        .size:           2
        .value_kind:     hidden_grid_dims
      - .offset:         224
        .size:           4
        .value_kind:     hidden_dynamic_lds_size
    .group_segment_fixed_size: 0
    .kernarg_segment_align: 8
    .kernarg_segment_size: 360
    .language:       OpenCL C
    .language_version:
      - 2
      - 0
    .max_flat_workgroup_size: 1024
    .name:           _ZL40rocblas_trsm_block_backward_substitutionI19rocblas_complex_numIfES1_PKPKS1_PKPS1_Lb0ELb1ELb0EEv18rocblas_operation_llT0_T1_lllT2_lllib
    .private_segment_fixed_size: 0
    .sgpr_count:     50
    .sgpr_spill_count: 0
    .symbol:         _ZL40rocblas_trsm_block_backward_substitutionI19rocblas_complex_numIfES1_PKPKS1_PKPS1_Lb0ELb1ELb0EEv18rocblas_operation_llT0_T1_lllT2_lllib.kd
    .uniform_work_group_size: 1
    .uses_dynamic_stack: false
    .vgpr_count:     29
    .vgpr_spill_count: 0
    .wavefront_size: 32
    .workgroup_processor_mode: 1
  - .args:
      - .offset:         0
        .size:           4
        .value_kind:     by_value
      - .offset:         8
        .size:           8
        .value_kind:     by_value
      - .offset:         16
        .size:           8
        .value_kind:     by_value
      - .offset:         24
        .size:           8
        .value_kind:     by_value
      - .address_space:  global
        .offset:         32
        .size:           8
        .value_kind:     global_buffer
      - .offset:         40
        .size:           8
        .value_kind:     by_value
      - .offset:         48
        .size:           8
        .value_kind:     by_value
      - .offset:         56
        .size:           8
        .value_kind:     by_value
      - .address_space:  global
        .offset:         64
        .size:           8
        .value_kind:     global_buffer
      - .offset:         72
        .size:           8
        .value_kind:     by_value
      - .offset:         80
        .size:           8
        .value_kind:     by_value
      - .offset:         88
        .size:           8
        .value_kind:     by_value
      - .offset:         96
        .size:           4
        .value_kind:     by_value
      - .offset:         100
        .size:           1
        .value_kind:     by_value
      - .offset:         104
        .size:           4
        .value_kind:     hidden_block_count_x
      - .offset:         108
        .size:           4
        .value_kind:     hidden_block_count_y
      - .offset:         112
        .size:           4
        .value_kind:     hidden_block_count_z
      - .offset:         116
        .size:           2
        .value_kind:     hidden_group_size_x
      - .offset:         118
        .size:           2
        .value_kind:     hidden_group_size_y
      - .offset:         120
        .size:           2
        .value_kind:     hidden_group_size_z
      - .offset:         122
        .size:           2
        .value_kind:     hidden_remainder_x
      - .offset:         124
        .size:           2
        .value_kind:     hidden_remainder_y
      - .offset:         126
        .size:           2
        .value_kind:     hidden_remainder_z
      - .offset:         144
        .size:           8
        .value_kind:     hidden_global_offset_x
      - .offset:         152
        .size:           8
        .value_kind:     hidden_global_offset_y
      - .offset:         160
        .size:           8
        .value_kind:     hidden_global_offset_z
      - .offset:         168
        .size:           2
        .value_kind:     hidden_grid_dims
      - .offset:         224
        .size:           4
        .value_kind:     hidden_dynamic_lds_size
    .group_segment_fixed_size: 0
    .kernarg_segment_align: 8
    .kernarg_segment_size: 360
    .language:       OpenCL C
    .language_version:
      - 2
      - 0
    .max_flat_workgroup_size: 1024
    .name:           _ZL39rocblas_trsm_block_forward_substitutionI19rocblas_complex_numIfES1_PKPKS1_PKPS1_Lb0ELb1ELb1EEv18rocblas_operation_llT0_T1_lllT2_lllib
    .private_segment_fixed_size: 0
    .sgpr_count:     40
    .sgpr_spill_count: 0
    .symbol:         _ZL39rocblas_trsm_block_forward_substitutionI19rocblas_complex_numIfES1_PKPKS1_PKPS1_Lb0ELb1ELb1EEv18rocblas_operation_llT0_T1_lllT2_lllib.kd
    .uniform_work_group_size: 1
    .uses_dynamic_stack: false
    .vgpr_count:     22
    .vgpr_spill_count: 0
    .wavefront_size: 32
    .workgroup_processor_mode: 1
  - .args:
      - .offset:         0
        .size:           4
        .value_kind:     by_value
      - .offset:         8
        .size:           8
        .value_kind:     by_value
      - .offset:         16
        .size:           8
        .value_kind:     by_value
      - .offset:         24
        .size:           8
        .value_kind:     by_value
      - .address_space:  global
        .offset:         32
        .size:           8
        .value_kind:     global_buffer
      - .offset:         40
        .size:           8
        .value_kind:     by_value
      - .offset:         48
        .size:           8
        .value_kind:     by_value
      - .offset:         56
        .size:           8
        .value_kind:     by_value
      - .address_space:  global
        .offset:         64
        .size:           8
        .value_kind:     global_buffer
      - .offset:         72
        .size:           8
        .value_kind:     by_value
      - .offset:         80
        .size:           8
        .value_kind:     by_value
      - .offset:         88
        .size:           8
        .value_kind:     by_value
      - .offset:         96
        .size:           4
        .value_kind:     by_value
      - .offset:         100
        .size:           1
        .value_kind:     by_value
      - .offset:         104
        .size:           4
        .value_kind:     hidden_block_count_x
      - .offset:         108
        .size:           4
        .value_kind:     hidden_block_count_y
      - .offset:         112
        .size:           4
        .value_kind:     hidden_block_count_z
      - .offset:         116
        .size:           2
        .value_kind:     hidden_group_size_x
      - .offset:         118
        .size:           2
        .value_kind:     hidden_group_size_y
      - .offset:         120
        .size:           2
        .value_kind:     hidden_group_size_z
      - .offset:         122
        .size:           2
        .value_kind:     hidden_remainder_x
      - .offset:         124
        .size:           2
        .value_kind:     hidden_remainder_y
      - .offset:         126
        .size:           2
        .value_kind:     hidden_remainder_z
      - .offset:         144
        .size:           8
        .value_kind:     hidden_global_offset_x
      - .offset:         152
        .size:           8
        .value_kind:     hidden_global_offset_y
      - .offset:         160
        .size:           8
        .value_kind:     hidden_global_offset_z
      - .offset:         168
        .size:           2
        .value_kind:     hidden_grid_dims
      - .offset:         224
        .size:           4
        .value_kind:     hidden_dynamic_lds_size
    .group_segment_fixed_size: 0
    .kernarg_segment_align: 8
    .kernarg_segment_size: 360
    .language:       OpenCL C
    .language_version:
      - 2
      - 0
    .max_flat_workgroup_size: 1024
    .name:           _ZL40rocblas_trsm_block_backward_substitutionI19rocblas_complex_numIfES1_PKPKS1_PKPS1_Lb0ELb1ELb1EEv18rocblas_operation_llT0_T1_lllT2_lllib
    .private_segment_fixed_size: 0
    .sgpr_count:     42
    .sgpr_spill_count: 0
    .symbol:         _ZL40rocblas_trsm_block_backward_substitutionI19rocblas_complex_numIfES1_PKPKS1_PKPS1_Lb0ELb1ELb1EEv18rocblas_operation_llT0_T1_lllT2_lllib.kd
    .uniform_work_group_size: 1
    .uses_dynamic_stack: false
    .vgpr_count:     22
    .vgpr_spill_count: 0
    .wavefront_size: 32
    .workgroup_processor_mode: 1
  - .args:
      - .offset:         0
        .size:           4
        .value_kind:     by_value
      - .offset:         8
        .size:           8
        .value_kind:     by_value
      - .offset:         16
        .size:           8
        .value_kind:     by_value
      - .offset:         24
        .size:           8
        .value_kind:     by_value
      - .address_space:  global
        .offset:         32
        .size:           8
        .value_kind:     global_buffer
      - .offset:         40
        .size:           8
        .value_kind:     by_value
      - .offset:         48
        .size:           8
        .value_kind:     by_value
      - .offset:         56
        .size:           8
        .value_kind:     by_value
      - .address_space:  global
        .offset:         64
        .size:           8
        .value_kind:     global_buffer
      - .offset:         72
        .size:           8
        .value_kind:     by_value
      - .offset:         80
        .size:           8
        .value_kind:     by_value
      - .offset:         88
        .size:           8
        .value_kind:     by_value
      - .offset:         96
        .size:           4
        .value_kind:     by_value
      - .offset:         100
        .size:           1
        .value_kind:     by_value
      - .offset:         104
        .size:           4
        .value_kind:     hidden_block_count_x
      - .offset:         108
        .size:           4
        .value_kind:     hidden_block_count_y
      - .offset:         112
        .size:           4
        .value_kind:     hidden_block_count_z
      - .offset:         116
        .size:           2
        .value_kind:     hidden_group_size_x
      - .offset:         118
        .size:           2
        .value_kind:     hidden_group_size_y
      - .offset:         120
        .size:           2
        .value_kind:     hidden_group_size_z
      - .offset:         122
        .size:           2
        .value_kind:     hidden_remainder_x
      - .offset:         124
        .size:           2
        .value_kind:     hidden_remainder_y
      - .offset:         126
        .size:           2
        .value_kind:     hidden_remainder_z
      - .offset:         144
        .size:           8
        .value_kind:     hidden_global_offset_x
      - .offset:         152
        .size:           8
        .value_kind:     hidden_global_offset_y
      - .offset:         160
        .size:           8
        .value_kind:     hidden_global_offset_z
      - .offset:         168
        .size:           2
        .value_kind:     hidden_grid_dims
      - .offset:         224
        .size:           4
        .value_kind:     hidden_dynamic_lds_size
    .group_segment_fixed_size: 0
    .kernarg_segment_align: 8
    .kernarg_segment_size: 360
    .language:       OpenCL C
    .language_version:
      - 2
      - 0
    .max_flat_workgroup_size: 1024
    .name:           _ZL39rocblas_trsm_block_forward_substitutionI19rocblas_complex_numIfES1_PKPKS1_PKPS1_Lb1ELb1ELb0EEv18rocblas_operation_llT0_T1_lllT2_lllib
    .private_segment_fixed_size: 0
    .sgpr_count:     44
    .sgpr_spill_count: 0
    .symbol:         _ZL39rocblas_trsm_block_forward_substitutionI19rocblas_complex_numIfES1_PKPKS1_PKPS1_Lb1ELb1ELb0EEv18rocblas_operation_llT0_T1_lllT2_lllib.kd
    .uniform_work_group_size: 1
    .uses_dynamic_stack: false
    .vgpr_count:     28
    .vgpr_spill_count: 0
    .wavefront_size: 32
    .workgroup_processor_mode: 1
  - .args:
      - .offset:         0
        .size:           4
        .value_kind:     by_value
      - .offset:         8
        .size:           8
        .value_kind:     by_value
      - .offset:         16
        .size:           8
        .value_kind:     by_value
      - .offset:         24
        .size:           8
        .value_kind:     by_value
      - .address_space:  global
        .offset:         32
        .size:           8
        .value_kind:     global_buffer
      - .offset:         40
        .size:           8
        .value_kind:     by_value
      - .offset:         48
        .size:           8
        .value_kind:     by_value
      - .offset:         56
        .size:           8
        .value_kind:     by_value
      - .address_space:  global
        .offset:         64
        .size:           8
        .value_kind:     global_buffer
      - .offset:         72
        .size:           8
        .value_kind:     by_value
      - .offset:         80
        .size:           8
        .value_kind:     by_value
      - .offset:         88
        .size:           8
        .value_kind:     by_value
      - .offset:         96
        .size:           4
        .value_kind:     by_value
      - .offset:         100
        .size:           1
        .value_kind:     by_value
      - .offset:         104
        .size:           4
        .value_kind:     hidden_block_count_x
      - .offset:         108
        .size:           4
        .value_kind:     hidden_block_count_y
      - .offset:         112
        .size:           4
        .value_kind:     hidden_block_count_z
      - .offset:         116
        .size:           2
        .value_kind:     hidden_group_size_x
      - .offset:         118
        .size:           2
        .value_kind:     hidden_group_size_y
      - .offset:         120
        .size:           2
        .value_kind:     hidden_group_size_z
      - .offset:         122
        .size:           2
        .value_kind:     hidden_remainder_x
      - .offset:         124
        .size:           2
        .value_kind:     hidden_remainder_y
      - .offset:         126
        .size:           2
        .value_kind:     hidden_remainder_z
      - .offset:         144
        .size:           8
        .value_kind:     hidden_global_offset_x
      - .offset:         152
        .size:           8
        .value_kind:     hidden_global_offset_y
      - .offset:         160
        .size:           8
        .value_kind:     hidden_global_offset_z
      - .offset:         168
        .size:           2
        .value_kind:     hidden_grid_dims
      - .offset:         224
        .size:           4
        .value_kind:     hidden_dynamic_lds_size
    .group_segment_fixed_size: 0
    .kernarg_segment_align: 8
    .kernarg_segment_size: 360
    .language:       OpenCL C
    .language_version:
      - 2
      - 0
    .max_flat_workgroup_size: 1024
    .name:           _ZL40rocblas_trsm_block_backward_substitutionI19rocblas_complex_numIfES1_PKPKS1_PKPS1_Lb1ELb1ELb0EEv18rocblas_operation_llT0_T1_lllT2_lllib
    .private_segment_fixed_size: 0
    .sgpr_count:     48
    .sgpr_spill_count: 0
    .symbol:         _ZL40rocblas_trsm_block_backward_substitutionI19rocblas_complex_numIfES1_PKPKS1_PKPS1_Lb1ELb1ELb0EEv18rocblas_operation_llT0_T1_lllT2_lllib.kd
    .uniform_work_group_size: 1
    .uses_dynamic_stack: false
    .vgpr_count:     29
    .vgpr_spill_count: 0
    .wavefront_size: 32
    .workgroup_processor_mode: 1
  - .args:
      - .offset:         0
        .size:           4
        .value_kind:     by_value
      - .offset:         8
        .size:           8
        .value_kind:     by_value
      - .offset:         16
        .size:           8
        .value_kind:     by_value
      - .offset:         24
        .size:           8
        .value_kind:     by_value
      - .address_space:  global
        .offset:         32
        .size:           8
        .value_kind:     global_buffer
      - .offset:         40
        .size:           8
        .value_kind:     by_value
      - .offset:         48
        .size:           8
        .value_kind:     by_value
      - .offset:         56
        .size:           8
        .value_kind:     by_value
      - .address_space:  global
        .offset:         64
        .size:           8
        .value_kind:     global_buffer
      - .offset:         72
        .size:           8
        .value_kind:     by_value
      - .offset:         80
        .size:           8
        .value_kind:     by_value
      - .offset:         88
        .size:           8
        .value_kind:     by_value
      - .offset:         96
        .size:           4
        .value_kind:     by_value
      - .offset:         100
        .size:           1
        .value_kind:     by_value
      - .offset:         104
        .size:           4
        .value_kind:     hidden_block_count_x
      - .offset:         108
        .size:           4
        .value_kind:     hidden_block_count_y
      - .offset:         112
        .size:           4
        .value_kind:     hidden_block_count_z
      - .offset:         116
        .size:           2
        .value_kind:     hidden_group_size_x
      - .offset:         118
        .size:           2
        .value_kind:     hidden_group_size_y
      - .offset:         120
        .size:           2
        .value_kind:     hidden_group_size_z
      - .offset:         122
        .size:           2
        .value_kind:     hidden_remainder_x
      - .offset:         124
        .size:           2
        .value_kind:     hidden_remainder_y
      - .offset:         126
        .size:           2
        .value_kind:     hidden_remainder_z
      - .offset:         144
        .size:           8
        .value_kind:     hidden_global_offset_x
      - .offset:         152
        .size:           8
        .value_kind:     hidden_global_offset_y
      - .offset:         160
        .size:           8
        .value_kind:     hidden_global_offset_z
      - .offset:         168
        .size:           2
        .value_kind:     hidden_grid_dims
      - .offset:         224
        .size:           4
        .value_kind:     hidden_dynamic_lds_size
    .group_segment_fixed_size: 0
    .kernarg_segment_align: 8
    .kernarg_segment_size: 360
    .language:       OpenCL C
    .language_version:
      - 2
      - 0
    .max_flat_workgroup_size: 1024
    .name:           _ZL39rocblas_trsm_block_forward_substitutionI19rocblas_complex_numIfES1_PKPKS1_PKPS1_Lb1ELb1ELb1EEv18rocblas_operation_llT0_T1_lllT2_lllib
    .private_segment_fixed_size: 0
    .sgpr_count:     42
    .sgpr_spill_count: 0
    .symbol:         _ZL39rocblas_trsm_block_forward_substitutionI19rocblas_complex_numIfES1_PKPKS1_PKPS1_Lb1ELb1ELb1EEv18rocblas_operation_llT0_T1_lllT2_lllib.kd
    .uniform_work_group_size: 1
    .uses_dynamic_stack: false
    .vgpr_count:     21
    .vgpr_spill_count: 0
    .wavefront_size: 32
    .workgroup_processor_mode: 1
  - .args:
      - .offset:         0
        .size:           4
        .value_kind:     by_value
      - .offset:         8
        .size:           8
        .value_kind:     by_value
      - .offset:         16
        .size:           8
        .value_kind:     by_value
      - .offset:         24
        .size:           8
        .value_kind:     by_value
      - .address_space:  global
        .offset:         32
        .size:           8
        .value_kind:     global_buffer
      - .offset:         40
        .size:           8
        .value_kind:     by_value
      - .offset:         48
        .size:           8
        .value_kind:     by_value
      - .offset:         56
        .size:           8
        .value_kind:     by_value
      - .address_space:  global
        .offset:         64
        .size:           8
        .value_kind:     global_buffer
      - .offset:         72
        .size:           8
        .value_kind:     by_value
      - .offset:         80
        .size:           8
        .value_kind:     by_value
      - .offset:         88
        .size:           8
        .value_kind:     by_value
      - .offset:         96
        .size:           4
        .value_kind:     by_value
      - .offset:         100
        .size:           1
        .value_kind:     by_value
      - .offset:         104
        .size:           4
        .value_kind:     hidden_block_count_x
      - .offset:         108
        .size:           4
        .value_kind:     hidden_block_count_y
      - .offset:         112
        .size:           4
        .value_kind:     hidden_block_count_z
      - .offset:         116
        .size:           2
        .value_kind:     hidden_group_size_x
      - .offset:         118
        .size:           2
        .value_kind:     hidden_group_size_y
      - .offset:         120
        .size:           2
        .value_kind:     hidden_group_size_z
      - .offset:         122
        .size:           2
        .value_kind:     hidden_remainder_x
      - .offset:         124
        .size:           2
        .value_kind:     hidden_remainder_y
      - .offset:         126
        .size:           2
        .value_kind:     hidden_remainder_z
      - .offset:         144
        .size:           8
        .value_kind:     hidden_global_offset_x
      - .offset:         152
        .size:           8
        .value_kind:     hidden_global_offset_y
      - .offset:         160
        .size:           8
        .value_kind:     hidden_global_offset_z
      - .offset:         168
        .size:           2
        .value_kind:     hidden_grid_dims
      - .offset:         224
        .size:           4
        .value_kind:     hidden_dynamic_lds_size
    .group_segment_fixed_size: 0
    .kernarg_segment_align: 8
    .kernarg_segment_size: 360
    .language:       OpenCL C
    .language_version:
      - 2
      - 0
    .max_flat_workgroup_size: 1024
    .name:           _ZL40rocblas_trsm_block_backward_substitutionI19rocblas_complex_numIfES1_PKPKS1_PKPS1_Lb1ELb1ELb1EEv18rocblas_operation_llT0_T1_lllT2_lllib
    .private_segment_fixed_size: 0
    .sgpr_count:     42
    .sgpr_spill_count: 0
    .symbol:         _ZL40rocblas_trsm_block_backward_substitutionI19rocblas_complex_numIfES1_PKPKS1_PKPS1_Lb1ELb1ELb1EEv18rocblas_operation_llT0_T1_lllT2_lllib.kd
    .uniform_work_group_size: 1
    .uses_dynamic_stack: false
    .vgpr_count:     20
    .vgpr_spill_count: 0
    .wavefront_size: 32
    .workgroup_processor_mode: 1
  - .args:
      - .offset:         0
        .size:           4
        .value_kind:     by_value
      - .offset:         8
        .size:           8
        .value_kind:     by_value
      - .offset:         16
        .size:           8
        .value_kind:     by_value
      - .offset:         24
        .size:           8
        .value_kind:     by_value
      - .address_space:  global
        .offset:         32
        .size:           8
        .value_kind:     global_buffer
      - .offset:         40
        .size:           8
        .value_kind:     by_value
      - .offset:         48
        .size:           8
        .value_kind:     by_value
      - .offset:         56
        .size:           8
        .value_kind:     by_value
      - .address_space:  global
        .offset:         64
        .size:           8
        .value_kind:     global_buffer
      - .offset:         72
        .size:           8
        .value_kind:     by_value
      - .offset:         80
        .size:           8
        .value_kind:     by_value
      - .offset:         88
        .size:           8
        .value_kind:     by_value
      - .offset:         96
        .size:           4
        .value_kind:     by_value
      - .offset:         100
        .size:           1
        .value_kind:     by_value
      - .offset:         104
        .size:           4
        .value_kind:     hidden_block_count_x
      - .offset:         108
        .size:           4
        .value_kind:     hidden_block_count_y
      - .offset:         112
        .size:           4
        .value_kind:     hidden_block_count_z
      - .offset:         116
        .size:           2
        .value_kind:     hidden_group_size_x
      - .offset:         118
        .size:           2
        .value_kind:     hidden_group_size_y
      - .offset:         120
        .size:           2
        .value_kind:     hidden_group_size_z
      - .offset:         122
        .size:           2
        .value_kind:     hidden_remainder_x
      - .offset:         124
        .size:           2
        .value_kind:     hidden_remainder_y
      - .offset:         126
        .size:           2
        .value_kind:     hidden_remainder_z
      - .offset:         144
        .size:           8
        .value_kind:     hidden_global_offset_x
      - .offset:         152
        .size:           8
        .value_kind:     hidden_global_offset_y
      - .offset:         160
        .size:           8
        .value_kind:     hidden_global_offset_z
      - .offset:         168
        .size:           2
        .value_kind:     hidden_grid_dims
      - .offset:         224
        .size:           4
        .value_kind:     hidden_dynamic_lds_size
    .group_segment_fixed_size: 0
    .kernarg_segment_align: 8
    .kernarg_segment_size: 360
    .language:       OpenCL C
    .language_version:
      - 2
      - 0
    .max_flat_workgroup_size: 1024
    .name:           _ZL39rocblas_trsm_block_forward_substitutionI19rocblas_complex_numIfES1_PKPKS1_PKPS1_Lb1ELb0ELb0EEv18rocblas_operation_llT0_T1_lllT2_lllib
    .private_segment_fixed_size: 0
    .sgpr_count:     44
    .sgpr_spill_count: 0
    .symbol:         _ZL39rocblas_trsm_block_forward_substitutionI19rocblas_complex_numIfES1_PKPKS1_PKPS1_Lb1ELb0ELb0EEv18rocblas_operation_llT0_T1_lllT2_lllib.kd
    .uniform_work_group_size: 1
    .uses_dynamic_stack: false
    .vgpr_count:     27
    .vgpr_spill_count: 0
    .wavefront_size: 32
    .workgroup_processor_mode: 1
  - .args:
      - .offset:         0
        .size:           4
        .value_kind:     by_value
      - .offset:         8
        .size:           8
        .value_kind:     by_value
      - .offset:         16
        .size:           8
        .value_kind:     by_value
      - .offset:         24
        .size:           8
        .value_kind:     by_value
      - .address_space:  global
        .offset:         32
        .size:           8
        .value_kind:     global_buffer
      - .offset:         40
        .size:           8
        .value_kind:     by_value
      - .offset:         48
        .size:           8
        .value_kind:     by_value
      - .offset:         56
        .size:           8
        .value_kind:     by_value
      - .address_space:  global
        .offset:         64
        .size:           8
        .value_kind:     global_buffer
      - .offset:         72
        .size:           8
        .value_kind:     by_value
      - .offset:         80
        .size:           8
        .value_kind:     by_value
      - .offset:         88
        .size:           8
        .value_kind:     by_value
      - .offset:         96
        .size:           4
        .value_kind:     by_value
      - .offset:         100
        .size:           1
        .value_kind:     by_value
      - .offset:         104
        .size:           4
        .value_kind:     hidden_block_count_x
      - .offset:         108
        .size:           4
        .value_kind:     hidden_block_count_y
      - .offset:         112
        .size:           4
        .value_kind:     hidden_block_count_z
      - .offset:         116
        .size:           2
        .value_kind:     hidden_group_size_x
      - .offset:         118
        .size:           2
        .value_kind:     hidden_group_size_y
      - .offset:         120
        .size:           2
        .value_kind:     hidden_group_size_z
      - .offset:         122
        .size:           2
        .value_kind:     hidden_remainder_x
      - .offset:         124
        .size:           2
        .value_kind:     hidden_remainder_y
      - .offset:         126
        .size:           2
        .value_kind:     hidden_remainder_z
      - .offset:         144
        .size:           8
        .value_kind:     hidden_global_offset_x
      - .offset:         152
        .size:           8
        .value_kind:     hidden_global_offset_y
      - .offset:         160
        .size:           8
        .value_kind:     hidden_global_offset_z
      - .offset:         168
        .size:           2
        .value_kind:     hidden_grid_dims
      - .offset:         224
        .size:           4
        .value_kind:     hidden_dynamic_lds_size
    .group_segment_fixed_size: 0
    .kernarg_segment_align: 8
    .kernarg_segment_size: 360
    .language:       OpenCL C
    .language_version:
      - 2
      - 0
    .max_flat_workgroup_size: 1024
    .name:           _ZL40rocblas_trsm_block_backward_substitutionI19rocblas_complex_numIfES1_PKPKS1_PKPS1_Lb1ELb0ELb0EEv18rocblas_operation_llT0_T1_lllT2_lllib
    .private_segment_fixed_size: 0
    .sgpr_count:     48
    .sgpr_spill_count: 0
    .symbol:         _ZL40rocblas_trsm_block_backward_substitutionI19rocblas_complex_numIfES1_PKPKS1_PKPS1_Lb1ELb0ELb0EEv18rocblas_operation_llT0_T1_lllT2_lllib.kd
    .uniform_work_group_size: 1
    .uses_dynamic_stack: false
    .vgpr_count:     31
    .vgpr_spill_count: 0
    .wavefront_size: 32
    .workgroup_processor_mode: 1
  - .args:
      - .offset:         0
        .size:           4
        .value_kind:     by_value
      - .offset:         8
        .size:           8
        .value_kind:     by_value
      - .offset:         16
        .size:           8
        .value_kind:     by_value
      - .offset:         24
        .size:           8
        .value_kind:     by_value
      - .address_space:  global
        .offset:         32
        .size:           8
        .value_kind:     global_buffer
      - .offset:         40
        .size:           8
        .value_kind:     by_value
      - .offset:         48
        .size:           8
        .value_kind:     by_value
      - .offset:         56
        .size:           8
        .value_kind:     by_value
      - .address_space:  global
        .offset:         64
        .size:           8
        .value_kind:     global_buffer
      - .offset:         72
        .size:           8
        .value_kind:     by_value
      - .offset:         80
        .size:           8
        .value_kind:     by_value
      - .offset:         88
        .size:           8
        .value_kind:     by_value
      - .offset:         96
        .size:           4
        .value_kind:     by_value
      - .offset:         100
        .size:           1
        .value_kind:     by_value
      - .offset:         104
        .size:           4
        .value_kind:     hidden_block_count_x
      - .offset:         108
        .size:           4
        .value_kind:     hidden_block_count_y
      - .offset:         112
        .size:           4
        .value_kind:     hidden_block_count_z
      - .offset:         116
        .size:           2
        .value_kind:     hidden_group_size_x
      - .offset:         118
        .size:           2
        .value_kind:     hidden_group_size_y
      - .offset:         120
        .size:           2
        .value_kind:     hidden_group_size_z
      - .offset:         122
        .size:           2
        .value_kind:     hidden_remainder_x
      - .offset:         124
        .size:           2
        .value_kind:     hidden_remainder_y
      - .offset:         126
        .size:           2
        .value_kind:     hidden_remainder_z
      - .offset:         144
        .size:           8
        .value_kind:     hidden_global_offset_x
      - .offset:         152
        .size:           8
        .value_kind:     hidden_global_offset_y
      - .offset:         160
        .size:           8
        .value_kind:     hidden_global_offset_z
      - .offset:         168
        .size:           2
        .value_kind:     hidden_grid_dims
      - .offset:         224
        .size:           4
        .value_kind:     hidden_dynamic_lds_size
    .group_segment_fixed_size: 0
    .kernarg_segment_align: 8
    .kernarg_segment_size: 360
    .language:       OpenCL C
    .language_version:
      - 2
      - 0
    .max_flat_workgroup_size: 1024
    .name:           _ZL39rocblas_trsm_block_forward_substitutionI19rocblas_complex_numIfES1_PKPKS1_PKPS1_Lb1ELb0ELb1EEv18rocblas_operation_llT0_T1_lllT2_lllib
    .private_segment_fixed_size: 0
    .sgpr_count:     42
    .sgpr_spill_count: 0
    .symbol:         _ZL39rocblas_trsm_block_forward_substitutionI19rocblas_complex_numIfES1_PKPKS1_PKPS1_Lb1ELb0ELb1EEv18rocblas_operation_llT0_T1_lllT2_lllib.kd
    .uniform_work_group_size: 1
    .uses_dynamic_stack: false
    .vgpr_count:     20
    .vgpr_spill_count: 0
    .wavefront_size: 32
    .workgroup_processor_mode: 1
  - .args:
      - .offset:         0
        .size:           4
        .value_kind:     by_value
      - .offset:         8
        .size:           8
        .value_kind:     by_value
      - .offset:         16
        .size:           8
        .value_kind:     by_value
      - .offset:         24
        .size:           8
        .value_kind:     by_value
      - .address_space:  global
        .offset:         32
        .size:           8
        .value_kind:     global_buffer
      - .offset:         40
        .size:           8
        .value_kind:     by_value
      - .offset:         48
        .size:           8
        .value_kind:     by_value
      - .offset:         56
        .size:           8
        .value_kind:     by_value
      - .address_space:  global
        .offset:         64
        .size:           8
        .value_kind:     global_buffer
      - .offset:         72
        .size:           8
        .value_kind:     by_value
      - .offset:         80
        .size:           8
        .value_kind:     by_value
      - .offset:         88
        .size:           8
        .value_kind:     by_value
      - .offset:         96
        .size:           4
        .value_kind:     by_value
      - .offset:         100
        .size:           1
        .value_kind:     by_value
      - .offset:         104
        .size:           4
        .value_kind:     hidden_block_count_x
      - .offset:         108
        .size:           4
        .value_kind:     hidden_block_count_y
      - .offset:         112
        .size:           4
        .value_kind:     hidden_block_count_z
      - .offset:         116
        .size:           2
        .value_kind:     hidden_group_size_x
      - .offset:         118
        .size:           2
        .value_kind:     hidden_group_size_y
      - .offset:         120
        .size:           2
        .value_kind:     hidden_group_size_z
      - .offset:         122
        .size:           2
        .value_kind:     hidden_remainder_x
      - .offset:         124
        .size:           2
        .value_kind:     hidden_remainder_y
      - .offset:         126
        .size:           2
        .value_kind:     hidden_remainder_z
      - .offset:         144
        .size:           8
        .value_kind:     hidden_global_offset_x
      - .offset:         152
        .size:           8
        .value_kind:     hidden_global_offset_y
      - .offset:         160
        .size:           8
        .value_kind:     hidden_global_offset_z
      - .offset:         168
        .size:           2
        .value_kind:     hidden_grid_dims
      - .offset:         224
        .size:           4
        .value_kind:     hidden_dynamic_lds_size
    .group_segment_fixed_size: 0
    .kernarg_segment_align: 8
    .kernarg_segment_size: 360
    .language:       OpenCL C
    .language_version:
      - 2
      - 0
    .max_flat_workgroup_size: 1024
    .name:           _ZL40rocblas_trsm_block_backward_substitutionI19rocblas_complex_numIfES1_PKPKS1_PKPS1_Lb1ELb0ELb1EEv18rocblas_operation_llT0_T1_lllT2_lllib
    .private_segment_fixed_size: 0
    .sgpr_count:     42
    .sgpr_spill_count: 0
    .symbol:         _ZL40rocblas_trsm_block_backward_substitutionI19rocblas_complex_numIfES1_PKPKS1_PKPS1_Lb1ELb0ELb1EEv18rocblas_operation_llT0_T1_lllT2_lllib.kd
    .uniform_work_group_size: 1
    .uses_dynamic_stack: false
    .vgpr_count:     22
    .vgpr_spill_count: 0
    .wavefront_size: 32
    .workgroup_processor_mode: 1
  - .args:
      - .address_space:  global
        .offset:         0
        .size:           8
        .value_kind:     global_buffer
      - .offset:         8
        .size:           8
        .value_kind:     by_value
      - .address_space:  global
        .offset:         16
        .size:           8
        .value_kind:     global_buffer
    .group_segment_fixed_size: 0
    .kernarg_segment_align: 8
    .kernarg_segment_size: 24
    .language:       OpenCL C
    .language_version:
      - 2
      - 0
    .max_flat_workgroup_size: 128
    .name:           _ZL26setup_batched_array_kernelILi128E19rocblas_complex_numIfEEvPT0_lPS3_
    .private_segment_fixed_size: 0
    .sgpr_count:     8
    .sgpr_spill_count: 0
    .symbol:         _ZL26setup_batched_array_kernelILi128E19rocblas_complex_numIfEEvPT0_lPS3_.kd
    .uniform_work_group_size: 1
    .uses_dynamic_stack: false
    .vgpr_count:     3
    .vgpr_spill_count: 0
    .wavefront_size: 32
    .workgroup_processor_mode: 1
  - .args:
      - .offset:         0
        .size:           4
        .value_kind:     by_value
      - .offset:         4
        .size:           4
        .value_kind:     by_value
      - .address_space:  global
        .offset:         8
        .size:           8
        .value_kind:     global_buffer
      - .offset:         16
        .size:           8
        .value_kind:     by_value
      - .offset:         24
        .size:           4
        .value_kind:     by_value
      - .offset:         32
        .size:           8
        .value_kind:     by_value
      - .address_space:  global
        .offset:         40
        .size:           8
        .value_kind:     global_buffer
      - .offset:         48
        .size:           8
        .value_kind:     by_value
      - .offset:         56
        .size:           8
        .value_kind:     by_value
      - .offset:         64
        .size:           4
        .value_kind:     by_value
    .group_segment_fixed_size: 8192
    .kernarg_segment_align: 8
    .kernarg_segment_size: 68
    .language:       OpenCL C
    .language_version:
      - 2
      - 0
    .max_flat_workgroup_size: 256
    .name:           _ZL25rocblas_trtri_trsm_kernelILi128ELi16ELi8E19rocblas_complex_numIfEPKPKS1_PKPS1_Ev13rocblas_fill_17rocblas_diagonal_T3_lilT4_lli
    .private_segment_fixed_size: 0
    .sgpr_count:     100
    .sgpr_spill_count: 0
    .symbol:         _ZL25rocblas_trtri_trsm_kernelILi128ELi16ELi8E19rocblas_complex_numIfEPKPKS1_PKPS1_Ev13rocblas_fill_17rocblas_diagonal_T3_lilT4_lli.kd
    .uniform_work_group_size: 1
    .uses_dynamic_stack: false
    .vgpr_count:     60
    .vgpr_spill_count: 0
    .wavefront_size: 32
    .workgroup_processor_mode: 1
  - .args:
      - .address_space:  global
        .offset:         0
        .size:           8
        .value_kind:     global_buffer
      - .offset:         8
        .size:           4
        .value_kind:     by_value
      - .offset:         12
        .size:           4
        .value_kind:     by_value
      - .offset:         16
        .size:           8
        .value_kind:     by_value
      - .offset:         24
        .size:           4
        .value_kind:     by_value
      - .offset:         32
        .size:           8
        .value_kind:     by_value
      - .address_space:  global
        .offset:         40
        .size:           8
        .value_kind:     global_buffer
      - .offset:         48
        .size:           8
        .value_kind:     by_value
      - .offset:         56
        .size:           8
        .value_kind:     by_value
      - .offset:         64
        .size:           4
        .value_kind:     by_value
      - .offset:         68
        .size:           4
        .value_kind:     by_value
      - .offset:         72
        .size:           4
        .value_kind:     hidden_block_count_x
      - .offset:         76
        .size:           4
        .value_kind:     hidden_block_count_y
      - .offset:         80
        .size:           4
        .value_kind:     hidden_block_count_z
      - .offset:         84
        .size:           2
        .value_kind:     hidden_group_size_x
      - .offset:         86
        .size:           2
        .value_kind:     hidden_group_size_y
      - .offset:         88
        .size:           2
        .value_kind:     hidden_group_size_z
      - .offset:         90
        .size:           2
        .value_kind:     hidden_remainder_x
      - .offset:         92
        .size:           2
        .value_kind:     hidden_remainder_y
      - .offset:         94
        .size:           2
        .value_kind:     hidden_remainder_z
      - .offset:         112
        .size:           8
        .value_kind:     hidden_global_offset_x
      - .offset:         120
        .size:           8
        .value_kind:     hidden_global_offset_y
      - .offset:         128
        .size:           8
        .value_kind:     hidden_global_offset_z
      - .offset:         136
        .size:           2
        .value_kind:     hidden_grid_dims
    .group_segment_fixed_size: 0
    .kernarg_segment_align: 8
    .kernarg_segment_size: 328
    .language:       OpenCL C
    .language_version:
      - 2
      - 0
    .max_flat_workgroup_size: 128
    .name:           _ZL18rocblas_trtri_fillILi128E19rocblas_complex_numIfEPKPS1_EvP15_rocblas_handle13rocblas_fill_ililT1_llii
    .private_segment_fixed_size: 0
    .sgpr_count:     49
    .sgpr_spill_count: 0
    .symbol:         _ZL18rocblas_trtri_fillILi128E19rocblas_complex_numIfEPKPS1_EvP15_rocblas_handle13rocblas_fill_ililT1_llii.kd
    .uniform_work_group_size: 1
    .uses_dynamic_stack: false
    .vgpr_count:     26
    .vgpr_spill_count: 0
    .wavefront_size: 32
    .workgroup_processor_mode: 1
  - .args:
      - .offset:         0
        .size:           4
        .value_kind:     by_value
      - .offset:         4
        .size:           4
        .value_kind:     by_value
      - .offset:         8
        .size:           4
        .value_kind:     by_value
      - .address_space:  global
        .offset:         16
        .size:           8
        .value_kind:     global_buffer
      - .offset:         24
        .size:           4
        .value_kind:     by_value
      - .offset:         32
        .size:           8
        .value_kind:     by_value
      - .address_space:  global
        .offset:         40
        .size:           8
        .value_kind:     global_buffer
      - .offset:         48
        .size:           4
        .value_kind:     by_value
      - .offset:         56
        .size:           8
        .value_kind:     by_value
      - .offset:         64
        .size:           8
        .value_kind:     by_value
      - .offset:         72
        .size:           8
        .value_kind:     by_value
      - .offset:         80
        .size:           4
        .value_kind:     by_value
      - .offset:         88
        .size:           4
        .value_kind:     hidden_block_count_x
      - .offset:         92
        .size:           4
        .value_kind:     hidden_block_count_y
      - .offset:         96
        .size:           4
        .value_kind:     hidden_block_count_z
      - .offset:         100
        .size:           2
        .value_kind:     hidden_group_size_x
      - .offset:         102
        .size:           2
        .value_kind:     hidden_group_size_y
      - .offset:         104
        .size:           2
        .value_kind:     hidden_group_size_z
      - .offset:         106
        .size:           2
        .value_kind:     hidden_remainder_x
      - .offset:         108
        .size:           2
        .value_kind:     hidden_remainder_y
      - .offset:         110
        .size:           2
        .value_kind:     hidden_remainder_z
      - .offset:         128
        .size:           8
        .value_kind:     hidden_global_offset_x
      - .offset:         136
        .size:           8
        .value_kind:     hidden_global_offset_y
      - .offset:         144
        .size:           8
        .value_kind:     hidden_global_offset_z
      - .offset:         152
        .size:           2
        .value_kind:     hidden_grid_dims
    .group_segment_fixed_size: 0
    .kernarg_segment_align: 8
    .kernarg_segment_size: 344
    .language:       OpenCL C
    .language_version:
      - 2
      - 0
    .max_flat_workgroup_size: 1024
    .name:           _ZL24rocblas_copy_matrix_trsmILi128ELi8E19rocblas_complex_numIfEPKPKS1_PKPS1_EviiiT2_ilT3_illli
    .private_segment_fixed_size: 0
    .sgpr_count:     26
    .sgpr_spill_count: 0
    .symbol:         _ZL24rocblas_copy_matrix_trsmILi128ELi8E19rocblas_complex_numIfEPKPKS1_PKPS1_EviiiT2_ilT3_illli.kd
    .uniform_work_group_size: 1
    .uses_dynamic_stack: false
    .vgpr_count:     15
    .vgpr_spill_count: 0
    .wavefront_size: 32
    .workgroup_processor_mode: 1
  - .args:
      - .offset:         0
        .size:           8
        .value_kind:     by_value
      - .offset:         8
        .size:           8
        .value_kind:     by_value
      - .offset:         16
        .size:           4
        .value_kind:     by_value
      - .address_space:  global
        .offset:         24
        .size:           8
        .value_kind:     global_buffer
      - .offset:         32
        .size:           8
        .value_kind:     by_value
      - .offset:         40
        .size:           8
        .value_kind:     by_value
      - .offset:         48
        .size:           16
        .value_kind:     by_value
      - .offset:         64
        .size:           8
        .value_kind:     by_value
      - .offset:         72
        .size:           4
        .value_kind:     by_value
    .group_segment_fixed_size: 0
    .kernarg_segment_align: 8
    .kernarg_segment_size: 76
    .language:       OpenCL C
    .language_version:
      - 2
      - 0
    .max_flat_workgroup_size: 1024
    .name:           _ZL23rocblas_set_matrix_trsmILi128ELi8E19rocblas_complex_numIdEPKPS1_EvlliT2_llT1_li
    .private_segment_fixed_size: 0
    .sgpr_count:     18
    .sgpr_spill_count: 0
    .symbol:         _ZL23rocblas_set_matrix_trsmILi128ELi8E19rocblas_complex_numIdEPKPS1_EvlliT2_llT1_li.kd
    .uniform_work_group_size: 1
    .uses_dynamic_stack: false
    .vgpr_count:     10
    .vgpr_spill_count: 0
    .wavefront_size: 32
    .workgroup_processor_mode: 1
  - .args:
      - .offset:         0
        .size:           4
        .value_kind:     by_value
      - .offset:         4
        .size:           4
        .value_kind:     by_value
      - .offset:         8
        .size:           4
        .value_kind:     by_value
      - .offset:         12
        .size:           4
        .value_kind:     by_value
      - .offset:         16
        .size:           4
        .value_kind:     by_value
      - .offset:         24
        .size:           16
        .value_kind:     by_value
      - .address_space:  global
        .offset:         40
        .size:           8
        .value_kind:     global_buffer
      - .offset:         48
        .size:           8
        .value_kind:     by_value
      - .offset:         56
        .size:           4
        .value_kind:     by_value
      - .offset:         64
        .size:           8
        .value_kind:     by_value
      - .address_space:  global
        .offset:         72
        .size:           8
        .value_kind:     global_buffer
      - .offset:         80
        .size:           8
        .value_kind:     by_value
      - .offset:         88
        .size:           4
        .value_kind:     by_value
      - .offset:         96
        .size:           8
        .value_kind:     by_value
      - .offset:         104
        .size:           4
        .value_kind:     by_value
      - .offset:         112
        .size:           4
        .value_kind:     hidden_block_count_x
      - .offset:         116
        .size:           4
        .value_kind:     hidden_block_count_y
      - .offset:         120
        .size:           4
        .value_kind:     hidden_block_count_z
      - .offset:         124
        .size:           2
        .value_kind:     hidden_group_size_x
      - .offset:         126
        .size:           2
        .value_kind:     hidden_group_size_y
      - .offset:         128
        .size:           2
        .value_kind:     hidden_group_size_z
      - .offset:         130
        .size:           2
        .value_kind:     hidden_remainder_x
      - .offset:         132
        .size:           2
        .value_kind:     hidden_remainder_y
      - .offset:         134
        .size:           2
        .value_kind:     hidden_remainder_z
      - .offset:         152
        .size:           8
        .value_kind:     hidden_global_offset_x
      - .offset:         160
        .size:           8
        .value_kind:     hidden_global_offset_y
      - .offset:         168
        .size:           8
        .value_kind:     hidden_global_offset_z
      - .offset:         176
        .size:           2
        .value_kind:     hidden_grid_dims
    .group_segment_fixed_size: 768
    .kernarg_segment_align: 8
    .kernarg_segment_size: 368
    .language:       OpenCL C
    .language_version:
      - 2
      - 0
    .max_flat_workgroup_size: 4
    .name:           _ZL38rocblas_trsm_small_left_device_sharedBILi4ELi4ELb0E19rocblas_complex_numIdES1_PKPKS1_PKPS1_Ev13rocblas_fill_18rocblas_operation_17rocblas_diagonal_iiT3_T4_lilT5_lili
    .private_segment_fixed_size: 0
    .sgpr_count:     44
    .sgpr_spill_count: 0
    .symbol:         _ZL38rocblas_trsm_small_left_device_sharedBILi4ELi4ELb0E19rocblas_complex_numIdES1_PKPKS1_PKPS1_Ev13rocblas_fill_18rocblas_operation_17rocblas_diagonal_iiT3_T4_lilT5_lili.kd
    .uniform_work_group_size: 1
    .uses_dynamic_stack: false
    .vgpr_count:     31
    .vgpr_spill_count: 0
    .wavefront_size: 32
    .workgroup_processor_mode: 1
  - .args:
      - .offset:         0
        .size:           4
        .value_kind:     by_value
      - .offset:         4
        .size:           4
        .value_kind:     by_value
      - .offset:         8
        .size:           4
        .value_kind:     by_value
      - .offset:         12
        .size:           4
        .value_kind:     by_value
      - .offset:         16
        .size:           4
        .value_kind:     by_value
      - .offset:         24
        .size:           16
        .value_kind:     by_value
      - .address_space:  global
        .offset:         40
        .size:           8
        .value_kind:     global_buffer
      - .offset:         48
        .size:           8
        .value_kind:     by_value
      - .offset:         56
        .size:           4
        .value_kind:     by_value
      - .offset:         64
        .size:           8
        .value_kind:     by_value
      - .address_space:  global
        .offset:         72
        .size:           8
        .value_kind:     global_buffer
      - .offset:         80
        .size:           8
        .value_kind:     by_value
      - .offset:         88
        .size:           4
        .value_kind:     by_value
      - .offset:         96
        .size:           8
        .value_kind:     by_value
      - .offset:         104
        .size:           4
        .value_kind:     by_value
      - .offset:         112
        .size:           4
        .value_kind:     hidden_block_count_x
      - .offset:         116
        .size:           4
        .value_kind:     hidden_block_count_y
      - .offset:         120
        .size:           4
        .value_kind:     hidden_block_count_z
      - .offset:         124
        .size:           2
        .value_kind:     hidden_group_size_x
      - .offset:         126
        .size:           2
        .value_kind:     hidden_group_size_y
      - .offset:         128
        .size:           2
        .value_kind:     hidden_group_size_z
      - .offset:         130
        .size:           2
        .value_kind:     hidden_remainder_x
      - .offset:         132
        .size:           2
        .value_kind:     hidden_remainder_y
      - .offset:         134
        .size:           2
        .value_kind:     hidden_remainder_z
      - .offset:         152
        .size:           8
        .value_kind:     hidden_global_offset_x
      - .offset:         160
        .size:           8
        .value_kind:     hidden_global_offset_y
      - .offset:         168
        .size:           8
        .value_kind:     hidden_global_offset_z
      - .offset:         176
        .size:           2
        .value_kind:     hidden_grid_dims
    .group_segment_fixed_size: 512
    .kernarg_segment_align: 8
    .kernarg_segment_size: 368
    .language:       OpenCL C
    .language_version:
      - 2
      - 0
    .max_flat_workgroup_size: 4
    .name:           _ZL30rocblas_trsm_small_left_deviceILi4ELi4ELb0E19rocblas_complex_numIdES1_PKPKS1_PKPS1_Ev13rocblas_fill_18rocblas_operation_17rocblas_diagonal_iiT3_T4_lilT5_lili
    .private_segment_fixed_size: 0
    .sgpr_count:     44
    .sgpr_spill_count: 0
    .symbol:         _ZL30rocblas_trsm_small_left_deviceILi4ELi4ELb0E19rocblas_complex_numIdES1_PKPKS1_PKPS1_Ev13rocblas_fill_18rocblas_operation_17rocblas_diagonal_iiT3_T4_lilT5_lili.kd
    .uniform_work_group_size: 1
    .uses_dynamic_stack: false
    .vgpr_count:     34
    .vgpr_spill_count: 0
    .wavefront_size: 32
    .workgroup_processor_mode: 1
  - .args:
      - .offset:         0
        .size:           4
        .value_kind:     by_value
      - .offset:         4
        .size:           4
        .value_kind:     by_value
      - .offset:         8
        .size:           4
        .value_kind:     by_value
      - .offset:         12
        .size:           4
        .value_kind:     by_value
      - .offset:         16
        .size:           4
        .value_kind:     by_value
      - .offset:         24
        .size:           16
        .value_kind:     by_value
      - .address_space:  global
        .offset:         40
        .size:           8
        .value_kind:     global_buffer
      - .offset:         48
        .size:           8
        .value_kind:     by_value
      - .offset:         56
        .size:           4
        .value_kind:     by_value
      - .offset:         64
        .size:           8
        .value_kind:     by_value
      - .address_space:  global
        .offset:         72
        .size:           8
        .value_kind:     global_buffer
      - .offset:         80
        .size:           8
        .value_kind:     by_value
      - .offset:         88
        .size:           4
        .value_kind:     by_value
      - .offset:         96
        .size:           8
        .value_kind:     by_value
      - .offset:         104
        .size:           4
        .value_kind:     by_value
      - .offset:         112
        .size:           4
        .value_kind:     hidden_block_count_x
      - .offset:         116
        .size:           4
        .value_kind:     hidden_block_count_y
      - .offset:         120
        .size:           4
        .value_kind:     hidden_block_count_z
      - .offset:         124
        .size:           2
        .value_kind:     hidden_group_size_x
      - .offset:         126
        .size:           2
        .value_kind:     hidden_group_size_y
      - .offset:         128
        .size:           2
        .value_kind:     hidden_group_size_z
      - .offset:         130
        .size:           2
        .value_kind:     hidden_remainder_x
      - .offset:         132
        .size:           2
        .value_kind:     hidden_remainder_y
      - .offset:         134
        .size:           2
        .value_kind:     hidden_remainder_z
      - .offset:         152
        .size:           8
        .value_kind:     hidden_global_offset_x
      - .offset:         160
        .size:           8
        .value_kind:     hidden_global_offset_y
      - .offset:         168
        .size:           8
        .value_kind:     hidden_global_offset_z
      - .offset:         176
        .size:           2
        .value_kind:     hidden_grid_dims
    .group_segment_fixed_size: 768
    .kernarg_segment_align: 8
    .kernarg_segment_size: 368
    .language:       OpenCL C
    .language_version:
      - 2
      - 0
    .max_flat_workgroup_size: 4
    .name:           _ZL38rocblas_trsm_small_left_device_sharedBILi4ELi4ELb1E19rocblas_complex_numIdES1_PKPKS1_PKPS1_Ev13rocblas_fill_18rocblas_operation_17rocblas_diagonal_iiT3_T4_lilT5_lili
    .private_segment_fixed_size: 0
    .sgpr_count:     44
    .sgpr_spill_count: 0
    .symbol:         _ZL38rocblas_trsm_small_left_device_sharedBILi4ELi4ELb1E19rocblas_complex_numIdES1_PKPKS1_PKPS1_Ev13rocblas_fill_18rocblas_operation_17rocblas_diagonal_iiT3_T4_lilT5_lili.kd
    .uniform_work_group_size: 1
    .uses_dynamic_stack: false
    .vgpr_count:     31
    .vgpr_spill_count: 0
    .wavefront_size: 32
    .workgroup_processor_mode: 1
  - .args:
      - .offset:         0
        .size:           4
        .value_kind:     by_value
      - .offset:         4
        .size:           4
        .value_kind:     by_value
      - .offset:         8
        .size:           4
        .value_kind:     by_value
      - .offset:         12
        .size:           4
        .value_kind:     by_value
      - .offset:         16
        .size:           4
        .value_kind:     by_value
      - .offset:         24
        .size:           16
        .value_kind:     by_value
      - .address_space:  global
        .offset:         40
        .size:           8
        .value_kind:     global_buffer
      - .offset:         48
        .size:           8
        .value_kind:     by_value
      - .offset:         56
        .size:           4
        .value_kind:     by_value
      - .offset:         64
        .size:           8
        .value_kind:     by_value
      - .address_space:  global
        .offset:         72
        .size:           8
        .value_kind:     global_buffer
      - .offset:         80
        .size:           8
        .value_kind:     by_value
      - .offset:         88
        .size:           4
        .value_kind:     by_value
      - .offset:         96
        .size:           8
        .value_kind:     by_value
      - .offset:         104
        .size:           4
        .value_kind:     by_value
      - .offset:         112
        .size:           4
        .value_kind:     hidden_block_count_x
      - .offset:         116
        .size:           4
        .value_kind:     hidden_block_count_y
      - .offset:         120
        .size:           4
        .value_kind:     hidden_block_count_z
      - .offset:         124
        .size:           2
        .value_kind:     hidden_group_size_x
      - .offset:         126
        .size:           2
        .value_kind:     hidden_group_size_y
      - .offset:         128
        .size:           2
        .value_kind:     hidden_group_size_z
      - .offset:         130
        .size:           2
        .value_kind:     hidden_remainder_x
      - .offset:         132
        .size:           2
        .value_kind:     hidden_remainder_y
      - .offset:         134
        .size:           2
        .value_kind:     hidden_remainder_z
      - .offset:         152
        .size:           8
        .value_kind:     hidden_global_offset_x
      - .offset:         160
        .size:           8
        .value_kind:     hidden_global_offset_y
      - .offset:         168
        .size:           8
        .value_kind:     hidden_global_offset_z
      - .offset:         176
        .size:           2
        .value_kind:     hidden_grid_dims
    .group_segment_fixed_size: 512
    .kernarg_segment_align: 8
    .kernarg_segment_size: 368
    .language:       OpenCL C
    .language_version:
      - 2
      - 0
    .max_flat_workgroup_size: 4
    .name:           _ZL30rocblas_trsm_small_left_deviceILi4ELi4ELb1E19rocblas_complex_numIdES1_PKPKS1_PKPS1_Ev13rocblas_fill_18rocblas_operation_17rocblas_diagonal_iiT3_T4_lilT5_lili
    .private_segment_fixed_size: 0
    .sgpr_count:     44
    .sgpr_spill_count: 0
    .symbol:         _ZL30rocblas_trsm_small_left_deviceILi4ELi4ELb1E19rocblas_complex_numIdES1_PKPKS1_PKPS1_Ev13rocblas_fill_18rocblas_operation_17rocblas_diagonal_iiT3_T4_lilT5_lili.kd
    .uniform_work_group_size: 1
    .uses_dynamic_stack: false
    .vgpr_count:     32
    .vgpr_spill_count: 0
    .wavefront_size: 32
    .workgroup_processor_mode: 1
  - .args:
      - .offset:         0
        .size:           4
        .value_kind:     by_value
      - .offset:         4
        .size:           4
        .value_kind:     by_value
      - .offset:         8
        .size:           4
        .value_kind:     by_value
      - .offset:         12
        .size:           4
        .value_kind:     by_value
      - .offset:         16
        .size:           4
        .value_kind:     by_value
      - .offset:         24
        .size:           16
        .value_kind:     by_value
      - .address_space:  global
        .offset:         40
        .size:           8
        .value_kind:     global_buffer
      - .offset:         48
        .size:           8
        .value_kind:     by_value
      - .offset:         56
        .size:           4
        .value_kind:     by_value
      - .offset:         64
        .size:           8
        .value_kind:     by_value
      - .address_space:  global
        .offset:         72
        .size:           8
        .value_kind:     global_buffer
      - .offset:         80
        .size:           8
        .value_kind:     by_value
      - .offset:         88
        .size:           4
        .value_kind:     by_value
      - .offset:         96
        .size:           8
        .value_kind:     by_value
      - .offset:         104
        .size:           4
        .value_kind:     by_value
      - .offset:         112
        .size:           4
        .value_kind:     hidden_block_count_x
      - .offset:         116
        .size:           4
        .value_kind:     hidden_block_count_y
      - .offset:         120
        .size:           4
        .value_kind:     hidden_block_count_z
      - .offset:         124
        .size:           2
        .value_kind:     hidden_group_size_x
      - .offset:         126
        .size:           2
        .value_kind:     hidden_group_size_y
      - .offset:         128
        .size:           2
        .value_kind:     hidden_group_size_z
      - .offset:         130
        .size:           2
        .value_kind:     hidden_remainder_x
      - .offset:         132
        .size:           2
        .value_kind:     hidden_remainder_y
      - .offset:         134
        .size:           2
        .value_kind:     hidden_remainder_z
      - .offset:         152
        .size:           8
        .value_kind:     hidden_global_offset_x
      - .offset:         160
        .size:           8
        .value_kind:     hidden_global_offset_y
      - .offset:         168
        .size:           8
        .value_kind:     hidden_global_offset_z
      - .offset:         176
        .size:           2
        .value_kind:     hidden_grid_dims
    .group_segment_fixed_size: 512
    .kernarg_segment_align: 8
    .kernarg_segment_size: 368
    .language:       OpenCL C
    .language_version:
      - 2
      - 0
    .max_flat_workgroup_size: 4
    .name:           _ZL31rocblas_trsm_small_right_deviceI19rocblas_complex_numIdES1_PKPKS1_PKPS1_Li4EEv13rocblas_fill_18rocblas_operation_17rocblas_diagonal_iiT0_T1_lilT2_lili
    .private_segment_fixed_size: 0
    .sgpr_count:     62
    .sgpr_spill_count: 0
    .symbol:         _ZL31rocblas_trsm_small_right_deviceI19rocblas_complex_numIdES1_PKPKS1_PKPS1_Li4EEv13rocblas_fill_18rocblas_operation_17rocblas_diagonal_iiT0_T1_lilT2_lili.kd
    .uniform_work_group_size: 1
    .uses_dynamic_stack: false
    .vgpr_count:     50
    .vgpr_spill_count: 0
    .wavefront_size: 32
    .workgroup_processor_mode: 1
  - .args:
      - .offset:         0
        .size:           4
        .value_kind:     by_value
      - .offset:         4
        .size:           4
        .value_kind:     by_value
      - .offset:         8
        .size:           4
        .value_kind:     by_value
      - .offset:         12
        .size:           4
        .value_kind:     by_value
      - .offset:         16
        .size:           4
        .value_kind:     by_value
      - .offset:         24
        .size:           16
        .value_kind:     by_value
      - .address_space:  global
        .offset:         40
        .size:           8
        .value_kind:     global_buffer
      - .offset:         48
        .size:           8
        .value_kind:     by_value
      - .offset:         56
        .size:           4
        .value_kind:     by_value
      - .offset:         64
        .size:           8
        .value_kind:     by_value
      - .address_space:  global
        .offset:         72
        .size:           8
        .value_kind:     global_buffer
      - .offset:         80
        .size:           8
        .value_kind:     by_value
      - .offset:         88
        .size:           4
        .value_kind:     by_value
      - .offset:         96
        .size:           8
        .value_kind:     by_value
      - .offset:         104
        .size:           4
        .value_kind:     by_value
      - .offset:         112
        .size:           4
        .value_kind:     hidden_block_count_x
      - .offset:         116
        .size:           4
        .value_kind:     hidden_block_count_y
      - .offset:         120
        .size:           4
        .value_kind:     hidden_block_count_z
      - .offset:         124
        .size:           2
        .value_kind:     hidden_group_size_x
      - .offset:         126
        .size:           2
        .value_kind:     hidden_group_size_y
      - .offset:         128
        .size:           2
        .value_kind:     hidden_group_size_z
      - .offset:         130
        .size:           2
        .value_kind:     hidden_remainder_x
      - .offset:         132
        .size:           2
        .value_kind:     hidden_remainder_y
      - .offset:         134
        .size:           2
        .value_kind:     hidden_remainder_z
      - .offset:         152
        .size:           8
        .value_kind:     hidden_global_offset_x
      - .offset:         160
        .size:           8
        .value_kind:     hidden_global_offset_y
      - .offset:         168
        .size:           8
        .value_kind:     hidden_global_offset_z
      - .offset:         176
        .size:           2
        .value_kind:     hidden_grid_dims
    .group_segment_fixed_size: 2048
    .kernarg_segment_align: 8
    .kernarg_segment_size: 368
    .language:       OpenCL C
    .language_version:
      - 2
      - 0
    .max_flat_workgroup_size: 8
    .name:           _ZL38rocblas_trsm_small_left_device_sharedBILi8ELi8ELb0E19rocblas_complex_numIdES1_PKPKS1_PKPS1_Ev13rocblas_fill_18rocblas_operation_17rocblas_diagonal_iiT3_T4_lilT5_lili
    .private_segment_fixed_size: 144
    .sgpr_count:     47
    .sgpr_spill_count: 0
    .symbol:         _ZL38rocblas_trsm_small_left_device_sharedBILi8ELi8ELb0E19rocblas_complex_numIdES1_PKPKS1_PKPS1_Ev13rocblas_fill_18rocblas_operation_17rocblas_diagonal_iiT3_T4_lilT5_lili.kd
    .uniform_work_group_size: 1
    .uses_dynamic_stack: false
    .vgpr_count:     28
    .vgpr_spill_count: 0
    .wavefront_size: 32
    .workgroup_processor_mode: 1
  - .args:
      - .offset:         0
        .size:           4
        .value_kind:     by_value
      - .offset:         4
        .size:           4
        .value_kind:     by_value
      - .offset:         8
        .size:           4
        .value_kind:     by_value
      - .offset:         12
        .size:           4
        .value_kind:     by_value
      - .offset:         16
        .size:           4
        .value_kind:     by_value
      - .offset:         24
        .size:           16
        .value_kind:     by_value
      - .address_space:  global
        .offset:         40
        .size:           8
        .value_kind:     global_buffer
      - .offset:         48
        .size:           8
        .value_kind:     by_value
      - .offset:         56
        .size:           4
        .value_kind:     by_value
      - .offset:         64
        .size:           8
        .value_kind:     by_value
      - .address_space:  global
        .offset:         72
        .size:           8
        .value_kind:     global_buffer
      - .offset:         80
        .size:           8
        .value_kind:     by_value
      - .offset:         88
        .size:           4
        .value_kind:     by_value
      - .offset:         96
        .size:           8
        .value_kind:     by_value
      - .offset:         104
        .size:           4
        .value_kind:     by_value
      - .offset:         112
        .size:           4
        .value_kind:     hidden_block_count_x
      - .offset:         116
        .size:           4
        .value_kind:     hidden_block_count_y
      - .offset:         120
        .size:           4
        .value_kind:     hidden_block_count_z
      - .offset:         124
        .size:           2
        .value_kind:     hidden_group_size_x
      - .offset:         126
        .size:           2
        .value_kind:     hidden_group_size_y
      - .offset:         128
        .size:           2
        .value_kind:     hidden_group_size_z
      - .offset:         130
        .size:           2
        .value_kind:     hidden_remainder_x
      - .offset:         132
        .size:           2
        .value_kind:     hidden_remainder_y
      - .offset:         134
        .size:           2
        .value_kind:     hidden_remainder_z
      - .offset:         152
        .size:           8
        .value_kind:     hidden_global_offset_x
      - .offset:         160
        .size:           8
        .value_kind:     hidden_global_offset_y
      - .offset:         168
        .size:           8
        .value_kind:     hidden_global_offset_z
      - .offset:         176
        .size:           2
        .value_kind:     hidden_grid_dims
    .group_segment_fixed_size: 2048
    .kernarg_segment_align: 8
    .kernarg_segment_size: 368
    .language:       OpenCL C
    .language_version:
      - 2
      - 0
    .max_flat_workgroup_size: 8
    .name:           _ZL30rocblas_trsm_small_left_deviceILi8ELi8ELb0E19rocblas_complex_numIdES1_PKPKS1_PKPS1_Ev13rocblas_fill_18rocblas_operation_17rocblas_diagonal_iiT3_T4_lilT5_lili
    .private_segment_fixed_size: 0
    .sgpr_count:     44
    .sgpr_spill_count: 0
    .symbol:         _ZL30rocblas_trsm_small_left_deviceILi8ELi8ELb0E19rocblas_complex_numIdES1_PKPKS1_PKPS1_Ev13rocblas_fill_18rocblas_operation_17rocblas_diagonal_iiT3_T4_lilT5_lili.kd
    .uniform_work_group_size: 1
    .uses_dynamic_stack: false
    .vgpr_count:     34
    .vgpr_spill_count: 0
    .wavefront_size: 32
    .workgroup_processor_mode: 1
  - .args:
      - .offset:         0
        .size:           4
        .value_kind:     by_value
      - .offset:         4
        .size:           4
        .value_kind:     by_value
      - .offset:         8
        .size:           4
        .value_kind:     by_value
      - .offset:         12
        .size:           4
        .value_kind:     by_value
      - .offset:         16
        .size:           4
        .value_kind:     by_value
      - .offset:         24
        .size:           16
        .value_kind:     by_value
      - .address_space:  global
        .offset:         40
        .size:           8
        .value_kind:     global_buffer
      - .offset:         48
        .size:           8
        .value_kind:     by_value
      - .offset:         56
        .size:           4
        .value_kind:     by_value
      - .offset:         64
        .size:           8
        .value_kind:     by_value
      - .address_space:  global
        .offset:         72
        .size:           8
        .value_kind:     global_buffer
      - .offset:         80
        .size:           8
        .value_kind:     by_value
      - .offset:         88
        .size:           4
        .value_kind:     by_value
      - .offset:         96
        .size:           8
        .value_kind:     by_value
      - .offset:         104
        .size:           4
        .value_kind:     by_value
      - .offset:         112
        .size:           4
        .value_kind:     hidden_block_count_x
      - .offset:         116
        .size:           4
        .value_kind:     hidden_block_count_y
      - .offset:         120
        .size:           4
        .value_kind:     hidden_block_count_z
      - .offset:         124
        .size:           2
        .value_kind:     hidden_group_size_x
      - .offset:         126
        .size:           2
        .value_kind:     hidden_group_size_y
      - .offset:         128
        .size:           2
        .value_kind:     hidden_group_size_z
      - .offset:         130
        .size:           2
        .value_kind:     hidden_remainder_x
      - .offset:         132
        .size:           2
        .value_kind:     hidden_remainder_y
      - .offset:         134
        .size:           2
        .value_kind:     hidden_remainder_z
      - .offset:         152
        .size:           8
        .value_kind:     hidden_global_offset_x
      - .offset:         160
        .size:           8
        .value_kind:     hidden_global_offset_y
      - .offset:         168
        .size:           8
        .value_kind:     hidden_global_offset_z
      - .offset:         176
        .size:           2
        .value_kind:     hidden_grid_dims
    .group_segment_fixed_size: 2048
    .kernarg_segment_align: 8
    .kernarg_segment_size: 368
    .language:       OpenCL C
    .language_version:
      - 2
      - 0
    .max_flat_workgroup_size: 8
    .name:           _ZL38rocblas_trsm_small_left_device_sharedBILi8ELi8ELb1E19rocblas_complex_numIdES1_PKPKS1_PKPS1_Ev13rocblas_fill_18rocblas_operation_17rocblas_diagonal_iiT3_T4_lilT5_lili
    .private_segment_fixed_size: 144
    .sgpr_count:     47
    .sgpr_spill_count: 0
    .symbol:         _ZL38rocblas_trsm_small_left_device_sharedBILi8ELi8ELb1E19rocblas_complex_numIdES1_PKPKS1_PKPS1_Ev13rocblas_fill_18rocblas_operation_17rocblas_diagonal_iiT3_T4_lilT5_lili.kd
    .uniform_work_group_size: 1
    .uses_dynamic_stack: false
    .vgpr_count:     28
    .vgpr_spill_count: 0
    .wavefront_size: 32
    .workgroup_processor_mode: 1
  - .args:
      - .offset:         0
        .size:           4
        .value_kind:     by_value
      - .offset:         4
        .size:           4
        .value_kind:     by_value
      - .offset:         8
        .size:           4
        .value_kind:     by_value
      - .offset:         12
        .size:           4
        .value_kind:     by_value
      - .offset:         16
        .size:           4
        .value_kind:     by_value
      - .offset:         24
        .size:           16
        .value_kind:     by_value
      - .address_space:  global
        .offset:         40
        .size:           8
        .value_kind:     global_buffer
      - .offset:         48
        .size:           8
        .value_kind:     by_value
      - .offset:         56
        .size:           4
        .value_kind:     by_value
      - .offset:         64
        .size:           8
        .value_kind:     by_value
      - .address_space:  global
        .offset:         72
        .size:           8
        .value_kind:     global_buffer
      - .offset:         80
        .size:           8
        .value_kind:     by_value
      - .offset:         88
        .size:           4
        .value_kind:     by_value
      - .offset:         96
        .size:           8
        .value_kind:     by_value
      - .offset:         104
        .size:           4
        .value_kind:     by_value
      - .offset:         112
        .size:           4
        .value_kind:     hidden_block_count_x
      - .offset:         116
        .size:           4
        .value_kind:     hidden_block_count_y
      - .offset:         120
        .size:           4
        .value_kind:     hidden_block_count_z
      - .offset:         124
        .size:           2
        .value_kind:     hidden_group_size_x
      - .offset:         126
        .size:           2
        .value_kind:     hidden_group_size_y
      - .offset:         128
        .size:           2
        .value_kind:     hidden_group_size_z
      - .offset:         130
        .size:           2
        .value_kind:     hidden_remainder_x
      - .offset:         132
        .size:           2
        .value_kind:     hidden_remainder_y
      - .offset:         134
        .size:           2
        .value_kind:     hidden_remainder_z
      - .offset:         152
        .size:           8
        .value_kind:     hidden_global_offset_x
      - .offset:         160
        .size:           8
        .value_kind:     hidden_global_offset_y
      - .offset:         168
        .size:           8
        .value_kind:     hidden_global_offset_z
      - .offset:         176
        .size:           2
        .value_kind:     hidden_grid_dims
    .group_segment_fixed_size: 2048
    .kernarg_segment_align: 8
    .kernarg_segment_size: 368
    .language:       OpenCL C
    .language_version:
      - 2
      - 0
    .max_flat_workgroup_size: 8
    .name:           _ZL30rocblas_trsm_small_left_deviceILi8ELi8ELb1E19rocblas_complex_numIdES1_PKPKS1_PKPS1_Ev13rocblas_fill_18rocblas_operation_17rocblas_diagonal_iiT3_T4_lilT5_lili
    .private_segment_fixed_size: 0
    .sgpr_count:     44
    .sgpr_spill_count: 0
    .symbol:         _ZL30rocblas_trsm_small_left_deviceILi8ELi8ELb1E19rocblas_complex_numIdES1_PKPKS1_PKPS1_Ev13rocblas_fill_18rocblas_operation_17rocblas_diagonal_iiT3_T4_lilT5_lili.kd
    .uniform_work_group_size: 1
    .uses_dynamic_stack: false
    .vgpr_count:     32
    .vgpr_spill_count: 0
    .wavefront_size: 32
    .workgroup_processor_mode: 1
  - .args:
      - .offset:         0
        .size:           4
        .value_kind:     by_value
      - .offset:         4
        .size:           4
        .value_kind:     by_value
      - .offset:         8
        .size:           4
        .value_kind:     by_value
      - .offset:         12
        .size:           4
        .value_kind:     by_value
      - .offset:         16
        .size:           4
        .value_kind:     by_value
      - .offset:         24
        .size:           16
        .value_kind:     by_value
      - .address_space:  global
        .offset:         40
        .size:           8
        .value_kind:     global_buffer
      - .offset:         48
        .size:           8
        .value_kind:     by_value
      - .offset:         56
        .size:           4
        .value_kind:     by_value
      - .offset:         64
        .size:           8
        .value_kind:     by_value
      - .address_space:  global
        .offset:         72
        .size:           8
        .value_kind:     global_buffer
      - .offset:         80
        .size:           8
        .value_kind:     by_value
      - .offset:         88
        .size:           4
        .value_kind:     by_value
      - .offset:         96
        .size:           8
        .value_kind:     by_value
      - .offset:         104
        .size:           4
        .value_kind:     by_value
      - .offset:         112
        .size:           4
        .value_kind:     hidden_block_count_x
      - .offset:         116
        .size:           4
        .value_kind:     hidden_block_count_y
      - .offset:         120
        .size:           4
        .value_kind:     hidden_block_count_z
      - .offset:         124
        .size:           2
        .value_kind:     hidden_group_size_x
      - .offset:         126
        .size:           2
        .value_kind:     hidden_group_size_y
      - .offset:         128
        .size:           2
        .value_kind:     hidden_group_size_z
      - .offset:         130
        .size:           2
        .value_kind:     hidden_remainder_x
      - .offset:         132
        .size:           2
        .value_kind:     hidden_remainder_y
      - .offset:         134
        .size:           2
        .value_kind:     hidden_remainder_z
      - .offset:         152
        .size:           8
        .value_kind:     hidden_global_offset_x
      - .offset:         160
        .size:           8
        .value_kind:     hidden_global_offset_y
      - .offset:         168
        .size:           8
        .value_kind:     hidden_global_offset_z
      - .offset:         176
        .size:           2
        .value_kind:     hidden_grid_dims
    .group_segment_fixed_size: 2048
    .kernarg_segment_align: 8
    .kernarg_segment_size: 368
    .language:       OpenCL C
    .language_version:
      - 2
      - 0
    .max_flat_workgroup_size: 8
    .name:           _ZL31rocblas_trsm_small_right_deviceI19rocblas_complex_numIdES1_PKPKS1_PKPS1_Li8EEv13rocblas_fill_18rocblas_operation_17rocblas_diagonal_iiT0_T1_lilT2_lili
    .private_segment_fixed_size: 0
    .sgpr_count:     46
    .sgpr_spill_count: 0
    .symbol:         _ZL31rocblas_trsm_small_right_deviceI19rocblas_complex_numIdES1_PKPKS1_PKPS1_Li8EEv13rocblas_fill_18rocblas_operation_17rocblas_diagonal_iiT0_T1_lilT2_lili.kd
    .uniform_work_group_size: 1
    .uses_dynamic_stack: false
    .vgpr_count:     64
    .vgpr_spill_count: 0
    .wavefront_size: 32
    .workgroup_processor_mode: 1
  - .args:
      - .offset:         0
        .size:           4
        .value_kind:     by_value
      - .offset:         4
        .size:           4
        .value_kind:     by_value
      - .offset:         8
        .size:           4
        .value_kind:     by_value
      - .offset:         12
        .size:           4
        .value_kind:     by_value
      - .offset:         16
        .size:           4
        .value_kind:     by_value
      - .offset:         24
        .size:           16
        .value_kind:     by_value
      - .address_space:  global
        .offset:         40
        .size:           8
        .value_kind:     global_buffer
      - .offset:         48
        .size:           8
        .value_kind:     by_value
      - .offset:         56
        .size:           4
        .value_kind:     by_value
      - .offset:         64
        .size:           8
        .value_kind:     by_value
      - .address_space:  global
        .offset:         72
        .size:           8
        .value_kind:     global_buffer
      - .offset:         80
        .size:           8
        .value_kind:     by_value
      - .offset:         88
        .size:           4
        .value_kind:     by_value
      - .offset:         96
        .size:           8
        .value_kind:     by_value
      - .offset:         104
        .size:           4
        .value_kind:     by_value
      - .offset:         112
        .size:           4
        .value_kind:     hidden_block_count_x
      - .offset:         116
        .size:           4
        .value_kind:     hidden_block_count_y
      - .offset:         120
        .size:           4
        .value_kind:     hidden_block_count_z
      - .offset:         124
        .size:           2
        .value_kind:     hidden_group_size_x
      - .offset:         126
        .size:           2
        .value_kind:     hidden_group_size_y
      - .offset:         128
        .size:           2
        .value_kind:     hidden_group_size_z
      - .offset:         130
        .size:           2
        .value_kind:     hidden_remainder_x
      - .offset:         132
        .size:           2
        .value_kind:     hidden_remainder_y
      - .offset:         134
        .size:           2
        .value_kind:     hidden_remainder_z
      - .offset:         152
        .size:           8
        .value_kind:     hidden_global_offset_x
      - .offset:         160
        .size:           8
        .value_kind:     hidden_global_offset_y
      - .offset:         168
        .size:           8
        .value_kind:     hidden_global_offset_z
      - .offset:         176
        .size:           2
        .value_kind:     hidden_grid_dims
    .group_segment_fixed_size: 4608
    .kernarg_segment_align: 8
    .kernarg_segment_size: 368
    .language:       OpenCL C
    .language_version:
      - 2
      - 0
    .max_flat_workgroup_size: 12
    .name:           _ZL38rocblas_trsm_small_left_device_sharedBILi12ELi12ELb0E19rocblas_complex_numIdES1_PKPKS1_PKPS1_Ev13rocblas_fill_18rocblas_operation_17rocblas_diagonal_iiT3_T4_lilT5_lili
    .private_segment_fixed_size: 208
    .sgpr_count:     47
    .sgpr_spill_count: 0
    .symbol:         _ZL38rocblas_trsm_small_left_device_sharedBILi12ELi12ELb0E19rocblas_complex_numIdES1_PKPKS1_PKPS1_Ev13rocblas_fill_18rocblas_operation_17rocblas_diagonal_iiT3_T4_lilT5_lili.kd
    .uniform_work_group_size: 1
    .uses_dynamic_stack: false
    .vgpr_count:     28
    .vgpr_spill_count: 0
    .wavefront_size: 32
    .workgroup_processor_mode: 1
  - .args:
      - .offset:         0
        .size:           4
        .value_kind:     by_value
      - .offset:         4
        .size:           4
        .value_kind:     by_value
      - .offset:         8
        .size:           4
        .value_kind:     by_value
      - .offset:         12
        .size:           4
        .value_kind:     by_value
      - .offset:         16
        .size:           4
        .value_kind:     by_value
      - .offset:         24
        .size:           16
        .value_kind:     by_value
      - .address_space:  global
        .offset:         40
        .size:           8
        .value_kind:     global_buffer
      - .offset:         48
        .size:           8
        .value_kind:     by_value
      - .offset:         56
        .size:           4
        .value_kind:     by_value
      - .offset:         64
        .size:           8
        .value_kind:     by_value
      - .address_space:  global
        .offset:         72
        .size:           8
        .value_kind:     global_buffer
      - .offset:         80
        .size:           8
        .value_kind:     by_value
      - .offset:         88
        .size:           4
        .value_kind:     by_value
      - .offset:         96
        .size:           8
        .value_kind:     by_value
      - .offset:         104
        .size:           4
        .value_kind:     by_value
      - .offset:         112
        .size:           4
        .value_kind:     hidden_block_count_x
      - .offset:         116
        .size:           4
        .value_kind:     hidden_block_count_y
      - .offset:         120
        .size:           4
        .value_kind:     hidden_block_count_z
      - .offset:         124
        .size:           2
        .value_kind:     hidden_group_size_x
      - .offset:         126
        .size:           2
        .value_kind:     hidden_group_size_y
      - .offset:         128
        .size:           2
        .value_kind:     hidden_group_size_z
      - .offset:         130
        .size:           2
        .value_kind:     hidden_remainder_x
      - .offset:         132
        .size:           2
        .value_kind:     hidden_remainder_y
      - .offset:         134
        .size:           2
        .value_kind:     hidden_remainder_z
      - .offset:         152
        .size:           8
        .value_kind:     hidden_global_offset_x
      - .offset:         160
        .size:           8
        .value_kind:     hidden_global_offset_y
      - .offset:         168
        .size:           8
        .value_kind:     hidden_global_offset_z
      - .offset:         176
        .size:           2
        .value_kind:     hidden_grid_dims
    .group_segment_fixed_size: 2304
    .kernarg_segment_align: 8
    .kernarg_segment_size: 368
    .language:       OpenCL C
    .language_version:
      - 2
      - 0
    .max_flat_workgroup_size: 12
    .name:           _ZL30rocblas_trsm_small_left_deviceILi12ELi12ELb0E19rocblas_complex_numIdES1_PKPKS1_PKPS1_Ev13rocblas_fill_18rocblas_operation_17rocblas_diagonal_iiT3_T4_lilT5_lili
    .private_segment_fixed_size: 208
    .sgpr_count:     49
    .sgpr_spill_count: 0
    .symbol:         _ZL30rocblas_trsm_small_left_deviceILi12ELi12ELb0E19rocblas_complex_numIdES1_PKPKS1_PKPS1_Ev13rocblas_fill_18rocblas_operation_17rocblas_diagonal_iiT3_T4_lilT5_lili.kd
    .uniform_work_group_size: 1
    .uses_dynamic_stack: false
    .vgpr_count:     31
    .vgpr_spill_count: 0
    .wavefront_size: 32
    .workgroup_processor_mode: 1
  - .args:
      - .offset:         0
        .size:           4
        .value_kind:     by_value
      - .offset:         4
        .size:           4
        .value_kind:     by_value
      - .offset:         8
        .size:           4
        .value_kind:     by_value
      - .offset:         12
        .size:           4
        .value_kind:     by_value
      - .offset:         16
        .size:           4
        .value_kind:     by_value
      - .offset:         24
        .size:           16
        .value_kind:     by_value
      - .address_space:  global
        .offset:         40
        .size:           8
        .value_kind:     global_buffer
      - .offset:         48
        .size:           8
        .value_kind:     by_value
      - .offset:         56
        .size:           4
        .value_kind:     by_value
      - .offset:         64
        .size:           8
        .value_kind:     by_value
      - .address_space:  global
        .offset:         72
        .size:           8
        .value_kind:     global_buffer
      - .offset:         80
        .size:           8
        .value_kind:     by_value
      - .offset:         88
        .size:           4
        .value_kind:     by_value
      - .offset:         96
        .size:           8
        .value_kind:     by_value
      - .offset:         104
        .size:           4
        .value_kind:     by_value
      - .offset:         112
        .size:           4
        .value_kind:     hidden_block_count_x
      - .offset:         116
        .size:           4
        .value_kind:     hidden_block_count_y
      - .offset:         120
        .size:           4
        .value_kind:     hidden_block_count_z
      - .offset:         124
        .size:           2
        .value_kind:     hidden_group_size_x
      - .offset:         126
        .size:           2
        .value_kind:     hidden_group_size_y
      - .offset:         128
        .size:           2
        .value_kind:     hidden_group_size_z
      - .offset:         130
        .size:           2
        .value_kind:     hidden_remainder_x
      - .offset:         132
        .size:           2
        .value_kind:     hidden_remainder_y
      - .offset:         134
        .size:           2
        .value_kind:     hidden_remainder_z
      - .offset:         152
        .size:           8
        .value_kind:     hidden_global_offset_x
      - .offset:         160
        .size:           8
        .value_kind:     hidden_global_offset_y
      - .offset:         168
        .size:           8
        .value_kind:     hidden_global_offset_z
      - .offset:         176
        .size:           2
        .value_kind:     hidden_grid_dims
    .group_segment_fixed_size: 4608
    .kernarg_segment_align: 8
    .kernarg_segment_size: 368
    .language:       OpenCL C
    .language_version:
      - 2
      - 0
    .max_flat_workgroup_size: 12
    .name:           _ZL38rocblas_trsm_small_left_device_sharedBILi12ELi12ELb1E19rocblas_complex_numIdES1_PKPKS1_PKPS1_Ev13rocblas_fill_18rocblas_operation_17rocblas_diagonal_iiT3_T4_lilT5_lili
    .private_segment_fixed_size: 208
    .sgpr_count:     47
    .sgpr_spill_count: 0
    .symbol:         _ZL38rocblas_trsm_small_left_device_sharedBILi12ELi12ELb1E19rocblas_complex_numIdES1_PKPKS1_PKPS1_Ev13rocblas_fill_18rocblas_operation_17rocblas_diagonal_iiT3_T4_lilT5_lili.kd
    .uniform_work_group_size: 1
    .uses_dynamic_stack: false
    .vgpr_count:     28
    .vgpr_spill_count: 0
    .wavefront_size: 32
    .workgroup_processor_mode: 1
  - .args:
      - .offset:         0
        .size:           4
        .value_kind:     by_value
      - .offset:         4
        .size:           4
        .value_kind:     by_value
      - .offset:         8
        .size:           4
        .value_kind:     by_value
      - .offset:         12
        .size:           4
        .value_kind:     by_value
      - .offset:         16
        .size:           4
        .value_kind:     by_value
      - .offset:         24
        .size:           16
        .value_kind:     by_value
      - .address_space:  global
        .offset:         40
        .size:           8
        .value_kind:     global_buffer
      - .offset:         48
        .size:           8
        .value_kind:     by_value
      - .offset:         56
        .size:           4
        .value_kind:     by_value
      - .offset:         64
        .size:           8
        .value_kind:     by_value
      - .address_space:  global
        .offset:         72
        .size:           8
        .value_kind:     global_buffer
      - .offset:         80
        .size:           8
        .value_kind:     by_value
      - .offset:         88
        .size:           4
        .value_kind:     by_value
      - .offset:         96
        .size:           8
        .value_kind:     by_value
      - .offset:         104
        .size:           4
        .value_kind:     by_value
      - .offset:         112
        .size:           4
        .value_kind:     hidden_block_count_x
      - .offset:         116
        .size:           4
        .value_kind:     hidden_block_count_y
      - .offset:         120
        .size:           4
        .value_kind:     hidden_block_count_z
      - .offset:         124
        .size:           2
        .value_kind:     hidden_group_size_x
      - .offset:         126
        .size:           2
        .value_kind:     hidden_group_size_y
      - .offset:         128
        .size:           2
        .value_kind:     hidden_group_size_z
      - .offset:         130
        .size:           2
        .value_kind:     hidden_remainder_x
      - .offset:         132
        .size:           2
        .value_kind:     hidden_remainder_y
      - .offset:         134
        .size:           2
        .value_kind:     hidden_remainder_z
      - .offset:         152
        .size:           8
        .value_kind:     hidden_global_offset_x
      - .offset:         160
        .size:           8
        .value_kind:     hidden_global_offset_y
      - .offset:         168
        .size:           8
        .value_kind:     hidden_global_offset_z
      - .offset:         176
        .size:           2
        .value_kind:     hidden_grid_dims
    .group_segment_fixed_size: 2304
    .kernarg_segment_align: 8
    .kernarg_segment_size: 368
    .language:       OpenCL C
    .language_version:
      - 2
      - 0
    .max_flat_workgroup_size: 12
    .name:           _ZL30rocblas_trsm_small_left_deviceILi12ELi12ELb1E19rocblas_complex_numIdES1_PKPKS1_PKPS1_Ev13rocblas_fill_18rocblas_operation_17rocblas_diagonal_iiT3_T4_lilT5_lili
    .private_segment_fixed_size: 208
    .sgpr_count:     48
    .sgpr_spill_count: 0
    .symbol:         _ZL30rocblas_trsm_small_left_deviceILi12ELi12ELb1E19rocblas_complex_numIdES1_PKPKS1_PKPS1_Ev13rocblas_fill_18rocblas_operation_17rocblas_diagonal_iiT3_T4_lilT5_lili.kd
    .uniform_work_group_size: 1
    .uses_dynamic_stack: false
    .vgpr_count:     29
    .vgpr_spill_count: 0
    .wavefront_size: 32
    .workgroup_processor_mode: 1
  - .args:
      - .offset:         0
        .size:           4
        .value_kind:     by_value
      - .offset:         4
        .size:           4
        .value_kind:     by_value
      - .offset:         8
        .size:           4
        .value_kind:     by_value
      - .offset:         12
        .size:           4
        .value_kind:     by_value
      - .offset:         16
        .size:           4
        .value_kind:     by_value
      - .offset:         24
        .size:           16
        .value_kind:     by_value
      - .address_space:  global
        .offset:         40
        .size:           8
        .value_kind:     global_buffer
      - .offset:         48
        .size:           8
        .value_kind:     by_value
      - .offset:         56
        .size:           4
        .value_kind:     by_value
      - .offset:         64
        .size:           8
        .value_kind:     by_value
      - .address_space:  global
        .offset:         72
        .size:           8
        .value_kind:     global_buffer
      - .offset:         80
        .size:           8
        .value_kind:     by_value
      - .offset:         88
        .size:           4
        .value_kind:     by_value
      - .offset:         96
        .size:           8
        .value_kind:     by_value
      - .offset:         104
        .size:           4
        .value_kind:     by_value
      - .offset:         112
        .size:           4
        .value_kind:     hidden_block_count_x
      - .offset:         116
        .size:           4
        .value_kind:     hidden_block_count_y
      - .offset:         120
        .size:           4
        .value_kind:     hidden_block_count_z
      - .offset:         124
        .size:           2
        .value_kind:     hidden_group_size_x
      - .offset:         126
        .size:           2
        .value_kind:     hidden_group_size_y
      - .offset:         128
        .size:           2
        .value_kind:     hidden_group_size_z
      - .offset:         130
        .size:           2
        .value_kind:     hidden_remainder_x
      - .offset:         132
        .size:           2
        .value_kind:     hidden_remainder_y
      - .offset:         134
        .size:           2
        .value_kind:     hidden_remainder_z
      - .offset:         152
        .size:           8
        .value_kind:     hidden_global_offset_x
      - .offset:         160
        .size:           8
        .value_kind:     hidden_global_offset_y
      - .offset:         168
        .size:           8
        .value_kind:     hidden_global_offset_z
      - .offset:         176
        .size:           2
        .value_kind:     hidden_grid_dims
    .group_segment_fixed_size: 4608
    .kernarg_segment_align: 8
    .kernarg_segment_size: 368
    .language:       OpenCL C
    .language_version:
      - 2
      - 0
    .max_flat_workgroup_size: 12
    .name:           _ZL31rocblas_trsm_small_right_deviceI19rocblas_complex_numIdES1_PKPKS1_PKPS1_Li12EEv13rocblas_fill_18rocblas_operation_17rocblas_diagonal_iiT0_T1_lilT2_lili
    .private_segment_fixed_size: 0
    .sgpr_count:     44
    .sgpr_spill_count: 0
    .symbol:         _ZL31rocblas_trsm_small_right_deviceI19rocblas_complex_numIdES1_PKPKS1_PKPS1_Li12EEv13rocblas_fill_18rocblas_operation_17rocblas_diagonal_iiT0_T1_lilT2_lili.kd
    .uniform_work_group_size: 1
    .uses_dynamic_stack: false
    .vgpr_count:     64
    .vgpr_spill_count: 0
    .wavefront_size: 32
    .workgroup_processor_mode: 1
  - .args:
      - .offset:         0
        .size:           4
        .value_kind:     by_value
      - .offset:         4
        .size:           4
        .value_kind:     by_value
      - .offset:         8
        .size:           4
        .value_kind:     by_value
      - .offset:         12
        .size:           4
        .value_kind:     by_value
      - .offset:         16
        .size:           4
        .value_kind:     by_value
      - .offset:         24
        .size:           16
        .value_kind:     by_value
      - .address_space:  global
        .offset:         40
        .size:           8
        .value_kind:     global_buffer
      - .offset:         48
        .size:           8
        .value_kind:     by_value
      - .offset:         56
        .size:           4
        .value_kind:     by_value
      - .offset:         64
        .size:           8
        .value_kind:     by_value
      - .address_space:  global
        .offset:         72
        .size:           8
        .value_kind:     global_buffer
      - .offset:         80
        .size:           8
        .value_kind:     by_value
      - .offset:         88
        .size:           4
        .value_kind:     by_value
      - .offset:         96
        .size:           8
        .value_kind:     by_value
      - .offset:         104
        .size:           4
        .value_kind:     by_value
      - .offset:         112
        .size:           4
        .value_kind:     hidden_block_count_x
      - .offset:         116
        .size:           4
        .value_kind:     hidden_block_count_y
      - .offset:         120
        .size:           4
        .value_kind:     hidden_block_count_z
      - .offset:         124
        .size:           2
        .value_kind:     hidden_group_size_x
      - .offset:         126
        .size:           2
        .value_kind:     hidden_group_size_y
      - .offset:         128
        .size:           2
        .value_kind:     hidden_group_size_z
      - .offset:         130
        .size:           2
        .value_kind:     hidden_remainder_x
      - .offset:         132
        .size:           2
        .value_kind:     hidden_remainder_y
      - .offset:         134
        .size:           2
        .value_kind:     hidden_remainder_z
      - .offset:         152
        .size:           8
        .value_kind:     hidden_global_offset_x
      - .offset:         160
        .size:           8
        .value_kind:     hidden_global_offset_y
      - .offset:         168
        .size:           8
        .value_kind:     hidden_global_offset_z
      - .offset:         176
        .size:           2
        .value_kind:     hidden_grid_dims
    .group_segment_fixed_size: 8192
    .kernarg_segment_align: 8
    .kernarg_segment_size: 368
    .language:       OpenCL C
    .language_version:
      - 2
      - 0
    .max_flat_workgroup_size: 16
    .name:           _ZL38rocblas_trsm_small_left_device_sharedBILi16ELi16ELb0E19rocblas_complex_numIdES1_PKPKS1_PKPS1_Ev13rocblas_fill_18rocblas_operation_17rocblas_diagonal_iiT3_T4_lilT5_lili
    .private_segment_fixed_size: 272
    .sgpr_count:     47
    .sgpr_spill_count: 0
    .symbol:         _ZL38rocblas_trsm_small_left_device_sharedBILi16ELi16ELb0E19rocblas_complex_numIdES1_PKPKS1_PKPS1_Ev13rocblas_fill_18rocblas_operation_17rocblas_diagonal_iiT3_T4_lilT5_lili.kd
    .uniform_work_group_size: 1
    .uses_dynamic_stack: false
    .vgpr_count:     28
    .vgpr_spill_count: 0
    .wavefront_size: 32
    .workgroup_processor_mode: 1
  - .args:
      - .offset:         0
        .size:           4
        .value_kind:     by_value
      - .offset:         4
        .size:           4
        .value_kind:     by_value
      - .offset:         8
        .size:           4
        .value_kind:     by_value
      - .offset:         12
        .size:           4
        .value_kind:     by_value
      - .offset:         16
        .size:           4
        .value_kind:     by_value
      - .offset:         24
        .size:           16
        .value_kind:     by_value
      - .address_space:  global
        .offset:         40
        .size:           8
        .value_kind:     global_buffer
      - .offset:         48
        .size:           8
        .value_kind:     by_value
      - .offset:         56
        .size:           4
        .value_kind:     by_value
      - .offset:         64
        .size:           8
        .value_kind:     by_value
      - .address_space:  global
        .offset:         72
        .size:           8
        .value_kind:     global_buffer
      - .offset:         80
        .size:           8
        .value_kind:     by_value
      - .offset:         88
        .size:           4
        .value_kind:     by_value
      - .offset:         96
        .size:           8
        .value_kind:     by_value
      - .offset:         104
        .size:           4
        .value_kind:     by_value
      - .offset:         112
        .size:           4
        .value_kind:     hidden_block_count_x
      - .offset:         116
        .size:           4
        .value_kind:     hidden_block_count_y
      - .offset:         120
        .size:           4
        .value_kind:     hidden_block_count_z
      - .offset:         124
        .size:           2
        .value_kind:     hidden_group_size_x
      - .offset:         126
        .size:           2
        .value_kind:     hidden_group_size_y
      - .offset:         128
        .size:           2
        .value_kind:     hidden_group_size_z
      - .offset:         130
        .size:           2
        .value_kind:     hidden_remainder_x
      - .offset:         132
        .size:           2
        .value_kind:     hidden_remainder_y
      - .offset:         134
        .size:           2
        .value_kind:     hidden_remainder_z
      - .offset:         152
        .size:           8
        .value_kind:     hidden_global_offset_x
      - .offset:         160
        .size:           8
        .value_kind:     hidden_global_offset_y
      - .offset:         168
        .size:           8
        .value_kind:     hidden_global_offset_z
      - .offset:         176
        .size:           2
        .value_kind:     hidden_grid_dims
    .group_segment_fixed_size: 4096
    .kernarg_segment_align: 8
    .kernarg_segment_size: 368
    .language:       OpenCL C
    .language_version:
      - 2
      - 0
    .max_flat_workgroup_size: 16
    .name:           _ZL30rocblas_trsm_small_left_deviceILi16ELi16ELb0E19rocblas_complex_numIdES1_PKPKS1_PKPS1_Ev13rocblas_fill_18rocblas_operation_17rocblas_diagonal_iiT3_T4_lilT5_lili
    .private_segment_fixed_size: 272
    .sgpr_count:     49
    .sgpr_spill_count: 0
    .symbol:         _ZL30rocblas_trsm_small_left_deviceILi16ELi16ELb0E19rocblas_complex_numIdES1_PKPKS1_PKPS1_Ev13rocblas_fill_18rocblas_operation_17rocblas_diagonal_iiT3_T4_lilT5_lili.kd
    .uniform_work_group_size: 1
    .uses_dynamic_stack: false
    .vgpr_count:     31
    .vgpr_spill_count: 0
    .wavefront_size: 32
    .workgroup_processor_mode: 1
  - .args:
      - .offset:         0
        .size:           4
        .value_kind:     by_value
      - .offset:         4
        .size:           4
        .value_kind:     by_value
      - .offset:         8
        .size:           4
        .value_kind:     by_value
      - .offset:         12
        .size:           4
        .value_kind:     by_value
      - .offset:         16
        .size:           4
        .value_kind:     by_value
      - .offset:         24
        .size:           16
        .value_kind:     by_value
      - .address_space:  global
        .offset:         40
        .size:           8
        .value_kind:     global_buffer
      - .offset:         48
        .size:           8
        .value_kind:     by_value
      - .offset:         56
        .size:           4
        .value_kind:     by_value
      - .offset:         64
        .size:           8
        .value_kind:     by_value
      - .address_space:  global
        .offset:         72
        .size:           8
        .value_kind:     global_buffer
      - .offset:         80
        .size:           8
        .value_kind:     by_value
      - .offset:         88
        .size:           4
        .value_kind:     by_value
      - .offset:         96
        .size:           8
        .value_kind:     by_value
      - .offset:         104
        .size:           4
        .value_kind:     by_value
      - .offset:         112
        .size:           4
        .value_kind:     hidden_block_count_x
      - .offset:         116
        .size:           4
        .value_kind:     hidden_block_count_y
      - .offset:         120
        .size:           4
        .value_kind:     hidden_block_count_z
      - .offset:         124
        .size:           2
        .value_kind:     hidden_group_size_x
      - .offset:         126
        .size:           2
        .value_kind:     hidden_group_size_y
      - .offset:         128
        .size:           2
        .value_kind:     hidden_group_size_z
      - .offset:         130
        .size:           2
        .value_kind:     hidden_remainder_x
      - .offset:         132
        .size:           2
        .value_kind:     hidden_remainder_y
      - .offset:         134
        .size:           2
        .value_kind:     hidden_remainder_z
      - .offset:         152
        .size:           8
        .value_kind:     hidden_global_offset_x
      - .offset:         160
        .size:           8
        .value_kind:     hidden_global_offset_y
      - .offset:         168
        .size:           8
        .value_kind:     hidden_global_offset_z
      - .offset:         176
        .size:           2
        .value_kind:     hidden_grid_dims
    .group_segment_fixed_size: 8192
    .kernarg_segment_align: 8
    .kernarg_segment_size: 368
    .language:       OpenCL C
    .language_version:
      - 2
      - 0
    .max_flat_workgroup_size: 16
    .name:           _ZL38rocblas_trsm_small_left_device_sharedBILi16ELi16ELb1E19rocblas_complex_numIdES1_PKPKS1_PKPS1_Ev13rocblas_fill_18rocblas_operation_17rocblas_diagonal_iiT3_T4_lilT5_lili
    .private_segment_fixed_size: 272
    .sgpr_count:     47
    .sgpr_spill_count: 0
    .symbol:         _ZL38rocblas_trsm_small_left_device_sharedBILi16ELi16ELb1E19rocblas_complex_numIdES1_PKPKS1_PKPS1_Ev13rocblas_fill_18rocblas_operation_17rocblas_diagonal_iiT3_T4_lilT5_lili.kd
    .uniform_work_group_size: 1
    .uses_dynamic_stack: false
    .vgpr_count:     28
    .vgpr_spill_count: 0
    .wavefront_size: 32
    .workgroup_processor_mode: 1
  - .args:
      - .offset:         0
        .size:           4
        .value_kind:     by_value
      - .offset:         4
        .size:           4
        .value_kind:     by_value
      - .offset:         8
        .size:           4
        .value_kind:     by_value
      - .offset:         12
        .size:           4
        .value_kind:     by_value
      - .offset:         16
        .size:           4
        .value_kind:     by_value
      - .offset:         24
        .size:           16
        .value_kind:     by_value
      - .address_space:  global
        .offset:         40
        .size:           8
        .value_kind:     global_buffer
      - .offset:         48
        .size:           8
        .value_kind:     by_value
      - .offset:         56
        .size:           4
        .value_kind:     by_value
      - .offset:         64
        .size:           8
        .value_kind:     by_value
      - .address_space:  global
        .offset:         72
        .size:           8
        .value_kind:     global_buffer
      - .offset:         80
        .size:           8
        .value_kind:     by_value
      - .offset:         88
        .size:           4
        .value_kind:     by_value
      - .offset:         96
        .size:           8
        .value_kind:     by_value
      - .offset:         104
        .size:           4
        .value_kind:     by_value
      - .offset:         112
        .size:           4
        .value_kind:     hidden_block_count_x
      - .offset:         116
        .size:           4
        .value_kind:     hidden_block_count_y
      - .offset:         120
        .size:           4
        .value_kind:     hidden_block_count_z
      - .offset:         124
        .size:           2
        .value_kind:     hidden_group_size_x
      - .offset:         126
        .size:           2
        .value_kind:     hidden_group_size_y
      - .offset:         128
        .size:           2
        .value_kind:     hidden_group_size_z
      - .offset:         130
        .size:           2
        .value_kind:     hidden_remainder_x
      - .offset:         132
        .size:           2
        .value_kind:     hidden_remainder_y
      - .offset:         134
        .size:           2
        .value_kind:     hidden_remainder_z
      - .offset:         152
        .size:           8
        .value_kind:     hidden_global_offset_x
      - .offset:         160
        .size:           8
        .value_kind:     hidden_global_offset_y
      - .offset:         168
        .size:           8
        .value_kind:     hidden_global_offset_z
      - .offset:         176
        .size:           2
        .value_kind:     hidden_grid_dims
    .group_segment_fixed_size: 4096
    .kernarg_segment_align: 8
    .kernarg_segment_size: 368
    .language:       OpenCL C
    .language_version:
      - 2
      - 0
    .max_flat_workgroup_size: 16
    .name:           _ZL30rocblas_trsm_small_left_deviceILi16ELi16ELb1E19rocblas_complex_numIdES1_PKPKS1_PKPS1_Ev13rocblas_fill_18rocblas_operation_17rocblas_diagonal_iiT3_T4_lilT5_lili
    .private_segment_fixed_size: 272
    .sgpr_count:     48
    .sgpr_spill_count: 0
    .symbol:         _ZL30rocblas_trsm_small_left_deviceILi16ELi16ELb1E19rocblas_complex_numIdES1_PKPKS1_PKPS1_Ev13rocblas_fill_18rocblas_operation_17rocblas_diagonal_iiT3_T4_lilT5_lili.kd
    .uniform_work_group_size: 1
    .uses_dynamic_stack: false
    .vgpr_count:     29
    .vgpr_spill_count: 0
    .wavefront_size: 32
    .workgroup_processor_mode: 1
  - .args:
      - .offset:         0
        .size:           4
        .value_kind:     by_value
      - .offset:         4
        .size:           4
        .value_kind:     by_value
      - .offset:         8
        .size:           4
        .value_kind:     by_value
      - .offset:         12
        .size:           4
        .value_kind:     by_value
      - .offset:         16
        .size:           4
        .value_kind:     by_value
      - .offset:         24
        .size:           16
        .value_kind:     by_value
      - .address_space:  global
        .offset:         40
        .size:           8
        .value_kind:     global_buffer
      - .offset:         48
        .size:           8
        .value_kind:     by_value
      - .offset:         56
        .size:           4
        .value_kind:     by_value
      - .offset:         64
        .size:           8
        .value_kind:     by_value
      - .address_space:  global
        .offset:         72
        .size:           8
        .value_kind:     global_buffer
      - .offset:         80
        .size:           8
        .value_kind:     by_value
      - .offset:         88
        .size:           4
        .value_kind:     by_value
      - .offset:         96
        .size:           8
        .value_kind:     by_value
      - .offset:         104
        .size:           4
        .value_kind:     by_value
      - .offset:         112
        .size:           4
        .value_kind:     hidden_block_count_x
      - .offset:         116
        .size:           4
        .value_kind:     hidden_block_count_y
      - .offset:         120
        .size:           4
        .value_kind:     hidden_block_count_z
      - .offset:         124
        .size:           2
        .value_kind:     hidden_group_size_x
      - .offset:         126
        .size:           2
        .value_kind:     hidden_group_size_y
      - .offset:         128
        .size:           2
        .value_kind:     hidden_group_size_z
      - .offset:         130
        .size:           2
        .value_kind:     hidden_remainder_x
      - .offset:         132
        .size:           2
        .value_kind:     hidden_remainder_y
      - .offset:         134
        .size:           2
        .value_kind:     hidden_remainder_z
      - .offset:         152
        .size:           8
        .value_kind:     hidden_global_offset_x
      - .offset:         160
        .size:           8
        .value_kind:     hidden_global_offset_y
      - .offset:         168
        .size:           8
        .value_kind:     hidden_global_offset_z
      - .offset:         176
        .size:           2
        .value_kind:     hidden_grid_dims
    .group_segment_fixed_size: 8192
    .kernarg_segment_align: 8
    .kernarg_segment_size: 368
    .language:       OpenCL C
    .language_version:
      - 2
      - 0
    .max_flat_workgroup_size: 16
    .name:           _ZL31rocblas_trsm_small_right_deviceI19rocblas_complex_numIdES1_PKPKS1_PKPS1_Li16EEv13rocblas_fill_18rocblas_operation_17rocblas_diagonal_iiT0_T1_lilT2_lili
    .private_segment_fixed_size: 0
    .sgpr_count:     46
    .sgpr_spill_count: 0
    .symbol:         _ZL31rocblas_trsm_small_right_deviceI19rocblas_complex_numIdES1_PKPKS1_PKPS1_Li16EEv13rocblas_fill_18rocblas_operation_17rocblas_diagonal_iiT0_T1_lilT2_lili.kd
    .uniform_work_group_size: 1
    .uses_dynamic_stack: false
    .vgpr_count:     64
    .vgpr_spill_count: 0
    .wavefront_size: 32
    .workgroup_processor_mode: 1
  - .args:
      - .offset:         0
        .size:           4
        .value_kind:     by_value
      - .offset:         4
        .size:           4
        .value_kind:     by_value
      - .offset:         8
        .size:           4
        .value_kind:     by_value
      - .offset:         12
        .size:           4
        .value_kind:     by_value
      - .offset:         16
        .size:           4
        .value_kind:     by_value
      - .offset:         24
        .size:           16
        .value_kind:     by_value
      - .address_space:  global
        .offset:         40
        .size:           8
        .value_kind:     global_buffer
      - .offset:         48
        .size:           8
        .value_kind:     by_value
      - .offset:         56
        .size:           4
        .value_kind:     by_value
      - .offset:         64
        .size:           8
        .value_kind:     by_value
      - .address_space:  global
        .offset:         72
        .size:           8
        .value_kind:     global_buffer
      - .offset:         80
        .size:           8
        .value_kind:     by_value
      - .offset:         88
        .size:           4
        .value_kind:     by_value
      - .offset:         96
        .size:           8
        .value_kind:     by_value
      - .offset:         104
        .size:           4
        .value_kind:     by_value
      - .offset:         112
        .size:           4
        .value_kind:     hidden_block_count_x
      - .offset:         116
        .size:           4
        .value_kind:     hidden_block_count_y
      - .offset:         120
        .size:           4
        .value_kind:     hidden_block_count_z
      - .offset:         124
        .size:           2
        .value_kind:     hidden_group_size_x
      - .offset:         126
        .size:           2
        .value_kind:     hidden_group_size_y
      - .offset:         128
        .size:           2
        .value_kind:     hidden_group_size_z
      - .offset:         130
        .size:           2
        .value_kind:     hidden_remainder_x
      - .offset:         132
        .size:           2
        .value_kind:     hidden_remainder_y
      - .offset:         134
        .size:           2
        .value_kind:     hidden_remainder_z
      - .offset:         152
        .size:           8
        .value_kind:     hidden_global_offset_x
      - .offset:         160
        .size:           8
        .value_kind:     hidden_global_offset_y
      - .offset:         168
        .size:           8
        .value_kind:     hidden_global_offset_z
      - .offset:         176
        .size:           2
        .value_kind:     hidden_grid_dims
    .group_segment_fixed_size: 12800
    .kernarg_segment_align: 8
    .kernarg_segment_size: 368
    .language:       OpenCL C
    .language_version:
      - 2
      - 0
    .max_flat_workgroup_size: 20
    .name:           _ZL38rocblas_trsm_small_left_device_sharedBILi20ELi20ELb0E19rocblas_complex_numIdES1_PKPKS1_PKPS1_Ev13rocblas_fill_18rocblas_operation_17rocblas_diagonal_iiT3_T4_lilT5_lili
    .private_segment_fixed_size: 336
    .sgpr_count:     47
    .sgpr_spill_count: 0
    .symbol:         _ZL38rocblas_trsm_small_left_device_sharedBILi20ELi20ELb0E19rocblas_complex_numIdES1_PKPKS1_PKPS1_Ev13rocblas_fill_18rocblas_operation_17rocblas_diagonal_iiT3_T4_lilT5_lili.kd
    .uniform_work_group_size: 1
    .uses_dynamic_stack: false
    .vgpr_count:     28
    .vgpr_spill_count: 0
    .wavefront_size: 32
    .workgroup_processor_mode: 1
  - .args:
      - .offset:         0
        .size:           4
        .value_kind:     by_value
      - .offset:         4
        .size:           4
        .value_kind:     by_value
      - .offset:         8
        .size:           4
        .value_kind:     by_value
      - .offset:         12
        .size:           4
        .value_kind:     by_value
      - .offset:         16
        .size:           4
        .value_kind:     by_value
      - .offset:         24
        .size:           16
        .value_kind:     by_value
      - .address_space:  global
        .offset:         40
        .size:           8
        .value_kind:     global_buffer
      - .offset:         48
        .size:           8
        .value_kind:     by_value
      - .offset:         56
        .size:           4
        .value_kind:     by_value
      - .offset:         64
        .size:           8
        .value_kind:     by_value
      - .address_space:  global
        .offset:         72
        .size:           8
        .value_kind:     global_buffer
      - .offset:         80
        .size:           8
        .value_kind:     by_value
      - .offset:         88
        .size:           4
        .value_kind:     by_value
      - .offset:         96
        .size:           8
        .value_kind:     by_value
      - .offset:         104
        .size:           4
        .value_kind:     by_value
      - .offset:         112
        .size:           4
        .value_kind:     hidden_block_count_x
      - .offset:         116
        .size:           4
        .value_kind:     hidden_block_count_y
      - .offset:         120
        .size:           4
        .value_kind:     hidden_block_count_z
      - .offset:         124
        .size:           2
        .value_kind:     hidden_group_size_x
      - .offset:         126
        .size:           2
        .value_kind:     hidden_group_size_y
      - .offset:         128
        .size:           2
        .value_kind:     hidden_group_size_z
      - .offset:         130
        .size:           2
        .value_kind:     hidden_remainder_x
      - .offset:         132
        .size:           2
        .value_kind:     hidden_remainder_y
      - .offset:         134
        .size:           2
        .value_kind:     hidden_remainder_z
      - .offset:         152
        .size:           8
        .value_kind:     hidden_global_offset_x
      - .offset:         160
        .size:           8
        .value_kind:     hidden_global_offset_y
      - .offset:         168
        .size:           8
        .value_kind:     hidden_global_offset_z
      - .offset:         176
        .size:           2
        .value_kind:     hidden_grid_dims
    .group_segment_fixed_size: 6400
    .kernarg_segment_align: 8
    .kernarg_segment_size: 368
    .language:       OpenCL C
    .language_version:
      - 2
      - 0
    .max_flat_workgroup_size: 20
    .name:           _ZL30rocblas_trsm_small_left_deviceILi20ELi20ELb0E19rocblas_complex_numIdES1_PKPKS1_PKPS1_Ev13rocblas_fill_18rocblas_operation_17rocblas_diagonal_iiT3_T4_lilT5_lili
    .private_segment_fixed_size: 336
    .sgpr_count:     49
    .sgpr_spill_count: 0
    .symbol:         _ZL30rocblas_trsm_small_left_deviceILi20ELi20ELb0E19rocblas_complex_numIdES1_PKPKS1_PKPS1_Ev13rocblas_fill_18rocblas_operation_17rocblas_diagonal_iiT3_T4_lilT5_lili.kd
    .uniform_work_group_size: 1
    .uses_dynamic_stack: false
    .vgpr_count:     31
    .vgpr_spill_count: 0
    .wavefront_size: 32
    .workgroup_processor_mode: 1
  - .args:
      - .offset:         0
        .size:           4
        .value_kind:     by_value
      - .offset:         4
        .size:           4
        .value_kind:     by_value
      - .offset:         8
        .size:           4
        .value_kind:     by_value
      - .offset:         12
        .size:           4
        .value_kind:     by_value
      - .offset:         16
        .size:           4
        .value_kind:     by_value
      - .offset:         24
        .size:           16
        .value_kind:     by_value
      - .address_space:  global
        .offset:         40
        .size:           8
        .value_kind:     global_buffer
      - .offset:         48
        .size:           8
        .value_kind:     by_value
      - .offset:         56
        .size:           4
        .value_kind:     by_value
      - .offset:         64
        .size:           8
        .value_kind:     by_value
      - .address_space:  global
        .offset:         72
        .size:           8
        .value_kind:     global_buffer
      - .offset:         80
        .size:           8
        .value_kind:     by_value
      - .offset:         88
        .size:           4
        .value_kind:     by_value
      - .offset:         96
        .size:           8
        .value_kind:     by_value
      - .offset:         104
        .size:           4
        .value_kind:     by_value
      - .offset:         112
        .size:           4
        .value_kind:     hidden_block_count_x
      - .offset:         116
        .size:           4
        .value_kind:     hidden_block_count_y
      - .offset:         120
        .size:           4
        .value_kind:     hidden_block_count_z
      - .offset:         124
        .size:           2
        .value_kind:     hidden_group_size_x
      - .offset:         126
        .size:           2
        .value_kind:     hidden_group_size_y
      - .offset:         128
        .size:           2
        .value_kind:     hidden_group_size_z
      - .offset:         130
        .size:           2
        .value_kind:     hidden_remainder_x
      - .offset:         132
        .size:           2
        .value_kind:     hidden_remainder_y
      - .offset:         134
        .size:           2
        .value_kind:     hidden_remainder_z
      - .offset:         152
        .size:           8
        .value_kind:     hidden_global_offset_x
      - .offset:         160
        .size:           8
        .value_kind:     hidden_global_offset_y
      - .offset:         168
        .size:           8
        .value_kind:     hidden_global_offset_z
      - .offset:         176
        .size:           2
        .value_kind:     hidden_grid_dims
    .group_segment_fixed_size: 12800
    .kernarg_segment_align: 8
    .kernarg_segment_size: 368
    .language:       OpenCL C
    .language_version:
      - 2
      - 0
    .max_flat_workgroup_size: 20
    .name:           _ZL38rocblas_trsm_small_left_device_sharedBILi20ELi20ELb1E19rocblas_complex_numIdES1_PKPKS1_PKPS1_Ev13rocblas_fill_18rocblas_operation_17rocblas_diagonal_iiT3_T4_lilT5_lili
    .private_segment_fixed_size: 336
    .sgpr_count:     47
    .sgpr_spill_count: 0
    .symbol:         _ZL38rocblas_trsm_small_left_device_sharedBILi20ELi20ELb1E19rocblas_complex_numIdES1_PKPKS1_PKPS1_Ev13rocblas_fill_18rocblas_operation_17rocblas_diagonal_iiT3_T4_lilT5_lili.kd
    .uniform_work_group_size: 1
    .uses_dynamic_stack: false
    .vgpr_count:     28
    .vgpr_spill_count: 0
    .wavefront_size: 32
    .workgroup_processor_mode: 1
  - .args:
      - .offset:         0
        .size:           4
        .value_kind:     by_value
      - .offset:         4
        .size:           4
        .value_kind:     by_value
      - .offset:         8
        .size:           4
        .value_kind:     by_value
      - .offset:         12
        .size:           4
        .value_kind:     by_value
      - .offset:         16
        .size:           4
        .value_kind:     by_value
      - .offset:         24
        .size:           16
        .value_kind:     by_value
      - .address_space:  global
        .offset:         40
        .size:           8
        .value_kind:     global_buffer
      - .offset:         48
        .size:           8
        .value_kind:     by_value
      - .offset:         56
        .size:           4
        .value_kind:     by_value
      - .offset:         64
        .size:           8
        .value_kind:     by_value
      - .address_space:  global
        .offset:         72
        .size:           8
        .value_kind:     global_buffer
      - .offset:         80
        .size:           8
        .value_kind:     by_value
      - .offset:         88
        .size:           4
        .value_kind:     by_value
      - .offset:         96
        .size:           8
        .value_kind:     by_value
      - .offset:         104
        .size:           4
        .value_kind:     by_value
      - .offset:         112
        .size:           4
        .value_kind:     hidden_block_count_x
      - .offset:         116
        .size:           4
        .value_kind:     hidden_block_count_y
      - .offset:         120
        .size:           4
        .value_kind:     hidden_block_count_z
      - .offset:         124
        .size:           2
        .value_kind:     hidden_group_size_x
      - .offset:         126
        .size:           2
        .value_kind:     hidden_group_size_y
      - .offset:         128
        .size:           2
        .value_kind:     hidden_group_size_z
      - .offset:         130
        .size:           2
        .value_kind:     hidden_remainder_x
      - .offset:         132
        .size:           2
        .value_kind:     hidden_remainder_y
      - .offset:         134
        .size:           2
        .value_kind:     hidden_remainder_z
      - .offset:         152
        .size:           8
        .value_kind:     hidden_global_offset_x
      - .offset:         160
        .size:           8
        .value_kind:     hidden_global_offset_y
      - .offset:         168
        .size:           8
        .value_kind:     hidden_global_offset_z
      - .offset:         176
        .size:           2
        .value_kind:     hidden_grid_dims
    .group_segment_fixed_size: 6400
    .kernarg_segment_align: 8
    .kernarg_segment_size: 368
    .language:       OpenCL C
    .language_version:
      - 2
      - 0
    .max_flat_workgroup_size: 20
    .name:           _ZL30rocblas_trsm_small_left_deviceILi20ELi20ELb1E19rocblas_complex_numIdES1_PKPKS1_PKPS1_Ev13rocblas_fill_18rocblas_operation_17rocblas_diagonal_iiT3_T4_lilT5_lili
    .private_segment_fixed_size: 336
    .sgpr_count:     48
    .sgpr_spill_count: 0
    .symbol:         _ZL30rocblas_trsm_small_left_deviceILi20ELi20ELb1E19rocblas_complex_numIdES1_PKPKS1_PKPS1_Ev13rocblas_fill_18rocblas_operation_17rocblas_diagonal_iiT3_T4_lilT5_lili.kd
    .uniform_work_group_size: 1
    .uses_dynamic_stack: false
    .vgpr_count:     29
    .vgpr_spill_count: 0
    .wavefront_size: 32
    .workgroup_processor_mode: 1
  - .args:
      - .offset:         0
        .size:           4
        .value_kind:     by_value
      - .offset:         4
        .size:           4
        .value_kind:     by_value
      - .offset:         8
        .size:           4
        .value_kind:     by_value
      - .offset:         12
        .size:           4
        .value_kind:     by_value
      - .offset:         16
        .size:           4
        .value_kind:     by_value
      - .offset:         24
        .size:           16
        .value_kind:     by_value
      - .address_space:  global
        .offset:         40
        .size:           8
        .value_kind:     global_buffer
      - .offset:         48
        .size:           8
        .value_kind:     by_value
      - .offset:         56
        .size:           4
        .value_kind:     by_value
      - .offset:         64
        .size:           8
        .value_kind:     by_value
      - .address_space:  global
        .offset:         72
        .size:           8
        .value_kind:     global_buffer
      - .offset:         80
        .size:           8
        .value_kind:     by_value
      - .offset:         88
        .size:           4
        .value_kind:     by_value
      - .offset:         96
        .size:           8
        .value_kind:     by_value
      - .offset:         104
        .size:           4
        .value_kind:     by_value
      - .offset:         112
        .size:           4
        .value_kind:     hidden_block_count_x
      - .offset:         116
        .size:           4
        .value_kind:     hidden_block_count_y
      - .offset:         120
        .size:           4
        .value_kind:     hidden_block_count_z
      - .offset:         124
        .size:           2
        .value_kind:     hidden_group_size_x
      - .offset:         126
        .size:           2
        .value_kind:     hidden_group_size_y
      - .offset:         128
        .size:           2
        .value_kind:     hidden_group_size_z
      - .offset:         130
        .size:           2
        .value_kind:     hidden_remainder_x
      - .offset:         132
        .size:           2
        .value_kind:     hidden_remainder_y
      - .offset:         134
        .size:           2
        .value_kind:     hidden_remainder_z
      - .offset:         152
        .size:           8
        .value_kind:     hidden_global_offset_x
      - .offset:         160
        .size:           8
        .value_kind:     hidden_global_offset_y
      - .offset:         168
        .size:           8
        .value_kind:     hidden_global_offset_z
      - .offset:         176
        .size:           2
        .value_kind:     hidden_grid_dims
    .group_segment_fixed_size: 12800
    .kernarg_segment_align: 8
    .kernarg_segment_size: 368
    .language:       OpenCL C
    .language_version:
      - 2
      - 0
    .max_flat_workgroup_size: 20
    .name:           _ZL31rocblas_trsm_small_right_deviceI19rocblas_complex_numIdES1_PKPKS1_PKPS1_Li20EEv13rocblas_fill_18rocblas_operation_17rocblas_diagonal_iiT0_T1_lilT2_lili
    .private_segment_fixed_size: 0
    .sgpr_count:     44
    .sgpr_spill_count: 0
    .symbol:         _ZL31rocblas_trsm_small_right_deviceI19rocblas_complex_numIdES1_PKPKS1_PKPS1_Li20EEv13rocblas_fill_18rocblas_operation_17rocblas_diagonal_iiT0_T1_lilT2_lili.kd
    .uniform_work_group_size: 1
    .uses_dynamic_stack: false
    .vgpr_count:     64
    .vgpr_spill_count: 0
    .wavefront_size: 32
    .workgroup_processor_mode: 1
  - .args:
      - .offset:         0
        .size:           4
        .value_kind:     by_value
      - .offset:         4
        .size:           4
        .value_kind:     by_value
      - .offset:         8
        .size:           4
        .value_kind:     by_value
      - .offset:         12
        .size:           4
        .value_kind:     by_value
      - .offset:         16
        .size:           4
        .value_kind:     by_value
      - .offset:         24
        .size:           16
        .value_kind:     by_value
      - .address_space:  global
        .offset:         40
        .size:           8
        .value_kind:     global_buffer
      - .offset:         48
        .size:           8
        .value_kind:     by_value
      - .offset:         56
        .size:           4
        .value_kind:     by_value
      - .offset:         64
        .size:           8
        .value_kind:     by_value
      - .address_space:  global
        .offset:         72
        .size:           8
        .value_kind:     global_buffer
      - .offset:         80
        .size:           8
        .value_kind:     by_value
      - .offset:         88
        .size:           4
        .value_kind:     by_value
      - .offset:         96
        .size:           8
        .value_kind:     by_value
      - .offset:         104
        .size:           4
        .value_kind:     by_value
      - .offset:         112
        .size:           4
        .value_kind:     hidden_block_count_x
      - .offset:         116
        .size:           4
        .value_kind:     hidden_block_count_y
      - .offset:         120
        .size:           4
        .value_kind:     hidden_block_count_z
      - .offset:         124
        .size:           2
        .value_kind:     hidden_group_size_x
      - .offset:         126
        .size:           2
        .value_kind:     hidden_group_size_y
      - .offset:         128
        .size:           2
        .value_kind:     hidden_group_size_z
      - .offset:         130
        .size:           2
        .value_kind:     hidden_remainder_x
      - .offset:         132
        .size:           2
        .value_kind:     hidden_remainder_y
      - .offset:         134
        .size:           2
        .value_kind:     hidden_remainder_z
      - .offset:         152
        .size:           8
        .value_kind:     hidden_global_offset_x
      - .offset:         160
        .size:           8
        .value_kind:     hidden_global_offset_y
      - .offset:         168
        .size:           8
        .value_kind:     hidden_global_offset_z
      - .offset:         176
        .size:           2
        .value_kind:     hidden_grid_dims
    .group_segment_fixed_size: 18432
    .kernarg_segment_align: 8
    .kernarg_segment_size: 368
    .language:       OpenCL C
    .language_version:
      - 2
      - 0
    .max_flat_workgroup_size: 24
    .name:           _ZL38rocblas_trsm_small_left_device_sharedBILi24ELi24ELb0E19rocblas_complex_numIdES1_PKPKS1_PKPS1_Ev13rocblas_fill_18rocblas_operation_17rocblas_diagonal_iiT3_T4_lilT5_lili
    .private_segment_fixed_size: 400
    .sgpr_count:     47
    .sgpr_spill_count: 0
    .symbol:         _ZL38rocblas_trsm_small_left_device_sharedBILi24ELi24ELb0E19rocblas_complex_numIdES1_PKPKS1_PKPS1_Ev13rocblas_fill_18rocblas_operation_17rocblas_diagonal_iiT3_T4_lilT5_lili.kd
    .uniform_work_group_size: 1
    .uses_dynamic_stack: false
    .vgpr_count:     28
    .vgpr_spill_count: 0
    .wavefront_size: 32
    .workgroup_processor_mode: 1
  - .args:
      - .offset:         0
        .size:           4
        .value_kind:     by_value
      - .offset:         4
        .size:           4
        .value_kind:     by_value
      - .offset:         8
        .size:           4
        .value_kind:     by_value
      - .offset:         12
        .size:           4
        .value_kind:     by_value
      - .offset:         16
        .size:           4
        .value_kind:     by_value
      - .offset:         24
        .size:           16
        .value_kind:     by_value
      - .address_space:  global
        .offset:         40
        .size:           8
        .value_kind:     global_buffer
      - .offset:         48
        .size:           8
        .value_kind:     by_value
      - .offset:         56
        .size:           4
        .value_kind:     by_value
      - .offset:         64
        .size:           8
        .value_kind:     by_value
      - .address_space:  global
        .offset:         72
        .size:           8
        .value_kind:     global_buffer
      - .offset:         80
        .size:           8
        .value_kind:     by_value
      - .offset:         88
        .size:           4
        .value_kind:     by_value
      - .offset:         96
        .size:           8
        .value_kind:     by_value
      - .offset:         104
        .size:           4
        .value_kind:     by_value
      - .offset:         112
        .size:           4
        .value_kind:     hidden_block_count_x
      - .offset:         116
        .size:           4
        .value_kind:     hidden_block_count_y
      - .offset:         120
        .size:           4
        .value_kind:     hidden_block_count_z
      - .offset:         124
        .size:           2
        .value_kind:     hidden_group_size_x
      - .offset:         126
        .size:           2
        .value_kind:     hidden_group_size_y
      - .offset:         128
        .size:           2
        .value_kind:     hidden_group_size_z
      - .offset:         130
        .size:           2
        .value_kind:     hidden_remainder_x
      - .offset:         132
        .size:           2
        .value_kind:     hidden_remainder_y
      - .offset:         134
        .size:           2
        .value_kind:     hidden_remainder_z
      - .offset:         152
        .size:           8
        .value_kind:     hidden_global_offset_x
      - .offset:         160
        .size:           8
        .value_kind:     hidden_global_offset_y
      - .offset:         168
        .size:           8
        .value_kind:     hidden_global_offset_z
      - .offset:         176
        .size:           2
        .value_kind:     hidden_grid_dims
    .group_segment_fixed_size: 9216
    .kernarg_segment_align: 8
    .kernarg_segment_size: 368
    .language:       OpenCL C
    .language_version:
      - 2
      - 0
    .max_flat_workgroup_size: 24
    .name:           _ZL30rocblas_trsm_small_left_deviceILi24ELi24ELb0E19rocblas_complex_numIdES1_PKPKS1_PKPS1_Ev13rocblas_fill_18rocblas_operation_17rocblas_diagonal_iiT3_T4_lilT5_lili
    .private_segment_fixed_size: 400
    .sgpr_count:     49
    .sgpr_spill_count: 0
    .symbol:         _ZL30rocblas_trsm_small_left_deviceILi24ELi24ELb0E19rocblas_complex_numIdES1_PKPKS1_PKPS1_Ev13rocblas_fill_18rocblas_operation_17rocblas_diagonal_iiT3_T4_lilT5_lili.kd
    .uniform_work_group_size: 1
    .uses_dynamic_stack: false
    .vgpr_count:     31
    .vgpr_spill_count: 0
    .wavefront_size: 32
    .workgroup_processor_mode: 1
  - .args:
      - .offset:         0
        .size:           4
        .value_kind:     by_value
      - .offset:         4
        .size:           4
        .value_kind:     by_value
      - .offset:         8
        .size:           4
        .value_kind:     by_value
      - .offset:         12
        .size:           4
        .value_kind:     by_value
      - .offset:         16
        .size:           4
        .value_kind:     by_value
      - .offset:         24
        .size:           16
        .value_kind:     by_value
      - .address_space:  global
        .offset:         40
        .size:           8
        .value_kind:     global_buffer
      - .offset:         48
        .size:           8
        .value_kind:     by_value
      - .offset:         56
        .size:           4
        .value_kind:     by_value
      - .offset:         64
        .size:           8
        .value_kind:     by_value
      - .address_space:  global
        .offset:         72
        .size:           8
        .value_kind:     global_buffer
      - .offset:         80
        .size:           8
        .value_kind:     by_value
      - .offset:         88
        .size:           4
        .value_kind:     by_value
      - .offset:         96
        .size:           8
        .value_kind:     by_value
      - .offset:         104
        .size:           4
        .value_kind:     by_value
      - .offset:         112
        .size:           4
        .value_kind:     hidden_block_count_x
      - .offset:         116
        .size:           4
        .value_kind:     hidden_block_count_y
      - .offset:         120
        .size:           4
        .value_kind:     hidden_block_count_z
      - .offset:         124
        .size:           2
        .value_kind:     hidden_group_size_x
      - .offset:         126
        .size:           2
        .value_kind:     hidden_group_size_y
      - .offset:         128
        .size:           2
        .value_kind:     hidden_group_size_z
      - .offset:         130
        .size:           2
        .value_kind:     hidden_remainder_x
      - .offset:         132
        .size:           2
        .value_kind:     hidden_remainder_y
      - .offset:         134
        .size:           2
        .value_kind:     hidden_remainder_z
      - .offset:         152
        .size:           8
        .value_kind:     hidden_global_offset_x
      - .offset:         160
        .size:           8
        .value_kind:     hidden_global_offset_y
      - .offset:         168
        .size:           8
        .value_kind:     hidden_global_offset_z
      - .offset:         176
        .size:           2
        .value_kind:     hidden_grid_dims
    .group_segment_fixed_size: 18432
    .kernarg_segment_align: 8
    .kernarg_segment_size: 368
    .language:       OpenCL C
    .language_version:
      - 2
      - 0
    .max_flat_workgroup_size: 24
    .name:           _ZL38rocblas_trsm_small_left_device_sharedBILi24ELi24ELb1E19rocblas_complex_numIdES1_PKPKS1_PKPS1_Ev13rocblas_fill_18rocblas_operation_17rocblas_diagonal_iiT3_T4_lilT5_lili
    .private_segment_fixed_size: 400
    .sgpr_count:     47
    .sgpr_spill_count: 0
    .symbol:         _ZL38rocblas_trsm_small_left_device_sharedBILi24ELi24ELb1E19rocblas_complex_numIdES1_PKPKS1_PKPS1_Ev13rocblas_fill_18rocblas_operation_17rocblas_diagonal_iiT3_T4_lilT5_lili.kd
    .uniform_work_group_size: 1
    .uses_dynamic_stack: false
    .vgpr_count:     28
    .vgpr_spill_count: 0
    .wavefront_size: 32
    .workgroup_processor_mode: 1
  - .args:
      - .offset:         0
        .size:           4
        .value_kind:     by_value
      - .offset:         4
        .size:           4
        .value_kind:     by_value
      - .offset:         8
        .size:           4
        .value_kind:     by_value
      - .offset:         12
        .size:           4
        .value_kind:     by_value
      - .offset:         16
        .size:           4
        .value_kind:     by_value
      - .offset:         24
        .size:           16
        .value_kind:     by_value
      - .address_space:  global
        .offset:         40
        .size:           8
        .value_kind:     global_buffer
      - .offset:         48
        .size:           8
        .value_kind:     by_value
      - .offset:         56
        .size:           4
        .value_kind:     by_value
      - .offset:         64
        .size:           8
        .value_kind:     by_value
      - .address_space:  global
        .offset:         72
        .size:           8
        .value_kind:     global_buffer
      - .offset:         80
        .size:           8
        .value_kind:     by_value
      - .offset:         88
        .size:           4
        .value_kind:     by_value
      - .offset:         96
        .size:           8
        .value_kind:     by_value
      - .offset:         104
        .size:           4
        .value_kind:     by_value
      - .offset:         112
        .size:           4
        .value_kind:     hidden_block_count_x
      - .offset:         116
        .size:           4
        .value_kind:     hidden_block_count_y
      - .offset:         120
        .size:           4
        .value_kind:     hidden_block_count_z
      - .offset:         124
        .size:           2
        .value_kind:     hidden_group_size_x
      - .offset:         126
        .size:           2
        .value_kind:     hidden_group_size_y
      - .offset:         128
        .size:           2
        .value_kind:     hidden_group_size_z
      - .offset:         130
        .size:           2
        .value_kind:     hidden_remainder_x
      - .offset:         132
        .size:           2
        .value_kind:     hidden_remainder_y
      - .offset:         134
        .size:           2
        .value_kind:     hidden_remainder_z
      - .offset:         152
        .size:           8
        .value_kind:     hidden_global_offset_x
      - .offset:         160
        .size:           8
        .value_kind:     hidden_global_offset_y
      - .offset:         168
        .size:           8
        .value_kind:     hidden_global_offset_z
      - .offset:         176
        .size:           2
        .value_kind:     hidden_grid_dims
    .group_segment_fixed_size: 9216
    .kernarg_segment_align: 8
    .kernarg_segment_size: 368
    .language:       OpenCL C
    .language_version:
      - 2
      - 0
    .max_flat_workgroup_size: 24
    .name:           _ZL30rocblas_trsm_small_left_deviceILi24ELi24ELb1E19rocblas_complex_numIdES1_PKPKS1_PKPS1_Ev13rocblas_fill_18rocblas_operation_17rocblas_diagonal_iiT3_T4_lilT5_lili
    .private_segment_fixed_size: 400
    .sgpr_count:     48
    .sgpr_spill_count: 0
    .symbol:         _ZL30rocblas_trsm_small_left_deviceILi24ELi24ELb1E19rocblas_complex_numIdES1_PKPKS1_PKPS1_Ev13rocblas_fill_18rocblas_operation_17rocblas_diagonal_iiT3_T4_lilT5_lili.kd
    .uniform_work_group_size: 1
    .uses_dynamic_stack: false
    .vgpr_count:     29
    .vgpr_spill_count: 0
    .wavefront_size: 32
    .workgroup_processor_mode: 1
  - .args:
      - .offset:         0
        .size:           4
        .value_kind:     by_value
      - .offset:         4
        .size:           4
        .value_kind:     by_value
      - .offset:         8
        .size:           4
        .value_kind:     by_value
      - .offset:         12
        .size:           4
        .value_kind:     by_value
      - .offset:         16
        .size:           4
        .value_kind:     by_value
      - .offset:         24
        .size:           16
        .value_kind:     by_value
      - .address_space:  global
        .offset:         40
        .size:           8
        .value_kind:     global_buffer
      - .offset:         48
        .size:           8
        .value_kind:     by_value
      - .offset:         56
        .size:           4
        .value_kind:     by_value
      - .offset:         64
        .size:           8
        .value_kind:     by_value
      - .address_space:  global
        .offset:         72
        .size:           8
        .value_kind:     global_buffer
      - .offset:         80
        .size:           8
        .value_kind:     by_value
      - .offset:         88
        .size:           4
        .value_kind:     by_value
      - .offset:         96
        .size:           8
        .value_kind:     by_value
      - .offset:         104
        .size:           4
        .value_kind:     by_value
      - .offset:         112
        .size:           4
        .value_kind:     hidden_block_count_x
      - .offset:         116
        .size:           4
        .value_kind:     hidden_block_count_y
      - .offset:         120
        .size:           4
        .value_kind:     hidden_block_count_z
      - .offset:         124
        .size:           2
        .value_kind:     hidden_group_size_x
      - .offset:         126
        .size:           2
        .value_kind:     hidden_group_size_y
      - .offset:         128
        .size:           2
        .value_kind:     hidden_group_size_z
      - .offset:         130
        .size:           2
        .value_kind:     hidden_remainder_x
      - .offset:         132
        .size:           2
        .value_kind:     hidden_remainder_y
      - .offset:         134
        .size:           2
        .value_kind:     hidden_remainder_z
      - .offset:         152
        .size:           8
        .value_kind:     hidden_global_offset_x
      - .offset:         160
        .size:           8
        .value_kind:     hidden_global_offset_y
      - .offset:         168
        .size:           8
        .value_kind:     hidden_global_offset_z
      - .offset:         176
        .size:           2
        .value_kind:     hidden_grid_dims
    .group_segment_fixed_size: 18432
    .kernarg_segment_align: 8
    .kernarg_segment_size: 368
    .language:       OpenCL C
    .language_version:
      - 2
      - 0
    .max_flat_workgroup_size: 24
    .name:           _ZL31rocblas_trsm_small_right_deviceI19rocblas_complex_numIdES1_PKPKS1_PKPS1_Li24EEv13rocblas_fill_18rocblas_operation_17rocblas_diagonal_iiT0_T1_lilT2_lili
    .private_segment_fixed_size: 0
    .sgpr_count:     44
    .sgpr_spill_count: 0
    .symbol:         _ZL31rocblas_trsm_small_right_deviceI19rocblas_complex_numIdES1_PKPKS1_PKPS1_Li24EEv13rocblas_fill_18rocblas_operation_17rocblas_diagonal_iiT0_T1_lilT2_lili.kd
    .uniform_work_group_size: 1
    .uses_dynamic_stack: false
    .vgpr_count:     64
    .vgpr_spill_count: 0
    .wavefront_size: 32
    .workgroup_processor_mode: 1
  - .args:
      - .offset:         0
        .size:           4
        .value_kind:     by_value
      - .offset:         4
        .size:           4
        .value_kind:     by_value
      - .offset:         8
        .size:           4
        .value_kind:     by_value
      - .offset:         12
        .size:           4
        .value_kind:     by_value
      - .offset:         16
        .size:           4
        .value_kind:     by_value
      - .offset:         24
        .size:           16
        .value_kind:     by_value
      - .address_space:  global
        .offset:         40
        .size:           8
        .value_kind:     global_buffer
      - .offset:         48
        .size:           8
        .value_kind:     by_value
      - .offset:         56
        .size:           4
        .value_kind:     by_value
      - .offset:         64
        .size:           8
        .value_kind:     by_value
      - .address_space:  global
        .offset:         72
        .size:           8
        .value_kind:     global_buffer
      - .offset:         80
        .size:           8
        .value_kind:     by_value
      - .offset:         88
        .size:           4
        .value_kind:     by_value
      - .offset:         96
        .size:           8
        .value_kind:     by_value
      - .offset:         104
        .size:           4
        .value_kind:     by_value
      - .offset:         112
        .size:           4
        .value_kind:     hidden_block_count_x
      - .offset:         116
        .size:           4
        .value_kind:     hidden_block_count_y
      - .offset:         120
        .size:           4
        .value_kind:     hidden_block_count_z
      - .offset:         124
        .size:           2
        .value_kind:     hidden_group_size_x
      - .offset:         126
        .size:           2
        .value_kind:     hidden_group_size_y
      - .offset:         128
        .size:           2
        .value_kind:     hidden_group_size_z
      - .offset:         130
        .size:           2
        .value_kind:     hidden_remainder_x
      - .offset:         132
        .size:           2
        .value_kind:     hidden_remainder_y
      - .offset:         134
        .size:           2
        .value_kind:     hidden_remainder_z
      - .offset:         152
        .size:           8
        .value_kind:     hidden_global_offset_x
      - .offset:         160
        .size:           8
        .value_kind:     hidden_global_offset_y
      - .offset:         168
        .size:           8
        .value_kind:     hidden_global_offset_z
      - .offset:         176
        .size:           2
        .value_kind:     hidden_grid_dims
    .group_segment_fixed_size: 25088
    .kernarg_segment_align: 8
    .kernarg_segment_size: 368
    .language:       OpenCL C
    .language_version:
      - 2
      - 0
    .max_flat_workgroup_size: 28
    .name:           _ZL38rocblas_trsm_small_left_device_sharedBILi28ELi28ELb0E19rocblas_complex_numIdES1_PKPKS1_PKPS1_Ev13rocblas_fill_18rocblas_operation_17rocblas_diagonal_iiT3_T4_lilT5_lili
    .private_segment_fixed_size: 464
    .sgpr_count:     47
    .sgpr_spill_count: 0
    .symbol:         _ZL38rocblas_trsm_small_left_device_sharedBILi28ELi28ELb0E19rocblas_complex_numIdES1_PKPKS1_PKPS1_Ev13rocblas_fill_18rocblas_operation_17rocblas_diagonal_iiT3_T4_lilT5_lili.kd
    .uniform_work_group_size: 1
    .uses_dynamic_stack: false
    .vgpr_count:     28
    .vgpr_spill_count: 0
    .wavefront_size: 32
    .workgroup_processor_mode: 1
  - .args:
      - .offset:         0
        .size:           4
        .value_kind:     by_value
      - .offset:         4
        .size:           4
        .value_kind:     by_value
      - .offset:         8
        .size:           4
        .value_kind:     by_value
      - .offset:         12
        .size:           4
        .value_kind:     by_value
      - .offset:         16
        .size:           4
        .value_kind:     by_value
      - .offset:         24
        .size:           16
        .value_kind:     by_value
      - .address_space:  global
        .offset:         40
        .size:           8
        .value_kind:     global_buffer
      - .offset:         48
        .size:           8
        .value_kind:     by_value
      - .offset:         56
        .size:           4
        .value_kind:     by_value
      - .offset:         64
        .size:           8
        .value_kind:     by_value
      - .address_space:  global
        .offset:         72
        .size:           8
        .value_kind:     global_buffer
      - .offset:         80
        .size:           8
        .value_kind:     by_value
      - .offset:         88
        .size:           4
        .value_kind:     by_value
      - .offset:         96
        .size:           8
        .value_kind:     by_value
      - .offset:         104
        .size:           4
        .value_kind:     by_value
      - .offset:         112
        .size:           4
        .value_kind:     hidden_block_count_x
      - .offset:         116
        .size:           4
        .value_kind:     hidden_block_count_y
      - .offset:         120
        .size:           4
        .value_kind:     hidden_block_count_z
      - .offset:         124
        .size:           2
        .value_kind:     hidden_group_size_x
      - .offset:         126
        .size:           2
        .value_kind:     hidden_group_size_y
      - .offset:         128
        .size:           2
        .value_kind:     hidden_group_size_z
      - .offset:         130
        .size:           2
        .value_kind:     hidden_remainder_x
      - .offset:         132
        .size:           2
        .value_kind:     hidden_remainder_y
      - .offset:         134
        .size:           2
        .value_kind:     hidden_remainder_z
      - .offset:         152
        .size:           8
        .value_kind:     hidden_global_offset_x
      - .offset:         160
        .size:           8
        .value_kind:     hidden_global_offset_y
      - .offset:         168
        .size:           8
        .value_kind:     hidden_global_offset_z
      - .offset:         176
        .size:           2
        .value_kind:     hidden_grid_dims
    .group_segment_fixed_size: 12544
    .kernarg_segment_align: 8
    .kernarg_segment_size: 368
    .language:       OpenCL C
    .language_version:
      - 2
      - 0
    .max_flat_workgroup_size: 28
    .name:           _ZL30rocblas_trsm_small_left_deviceILi28ELi28ELb0E19rocblas_complex_numIdES1_PKPKS1_PKPS1_Ev13rocblas_fill_18rocblas_operation_17rocblas_diagonal_iiT3_T4_lilT5_lili
    .private_segment_fixed_size: 464
    .sgpr_count:     49
    .sgpr_spill_count: 0
    .symbol:         _ZL30rocblas_trsm_small_left_deviceILi28ELi28ELb0E19rocblas_complex_numIdES1_PKPKS1_PKPS1_Ev13rocblas_fill_18rocblas_operation_17rocblas_diagonal_iiT3_T4_lilT5_lili.kd
    .uniform_work_group_size: 1
    .uses_dynamic_stack: false
    .vgpr_count:     31
    .vgpr_spill_count: 0
    .wavefront_size: 32
    .workgroup_processor_mode: 1
  - .args:
      - .offset:         0
        .size:           4
        .value_kind:     by_value
      - .offset:         4
        .size:           4
        .value_kind:     by_value
      - .offset:         8
        .size:           4
        .value_kind:     by_value
      - .offset:         12
        .size:           4
        .value_kind:     by_value
      - .offset:         16
        .size:           4
        .value_kind:     by_value
      - .offset:         24
        .size:           16
        .value_kind:     by_value
      - .address_space:  global
        .offset:         40
        .size:           8
        .value_kind:     global_buffer
      - .offset:         48
        .size:           8
        .value_kind:     by_value
      - .offset:         56
        .size:           4
        .value_kind:     by_value
      - .offset:         64
        .size:           8
        .value_kind:     by_value
      - .address_space:  global
        .offset:         72
        .size:           8
        .value_kind:     global_buffer
      - .offset:         80
        .size:           8
        .value_kind:     by_value
      - .offset:         88
        .size:           4
        .value_kind:     by_value
      - .offset:         96
        .size:           8
        .value_kind:     by_value
      - .offset:         104
        .size:           4
        .value_kind:     by_value
      - .offset:         112
        .size:           4
        .value_kind:     hidden_block_count_x
      - .offset:         116
        .size:           4
        .value_kind:     hidden_block_count_y
      - .offset:         120
        .size:           4
        .value_kind:     hidden_block_count_z
      - .offset:         124
        .size:           2
        .value_kind:     hidden_group_size_x
      - .offset:         126
        .size:           2
        .value_kind:     hidden_group_size_y
      - .offset:         128
        .size:           2
        .value_kind:     hidden_group_size_z
      - .offset:         130
        .size:           2
        .value_kind:     hidden_remainder_x
      - .offset:         132
        .size:           2
        .value_kind:     hidden_remainder_y
      - .offset:         134
        .size:           2
        .value_kind:     hidden_remainder_z
      - .offset:         152
        .size:           8
        .value_kind:     hidden_global_offset_x
      - .offset:         160
        .size:           8
        .value_kind:     hidden_global_offset_y
      - .offset:         168
        .size:           8
        .value_kind:     hidden_global_offset_z
      - .offset:         176
        .size:           2
        .value_kind:     hidden_grid_dims
    .group_segment_fixed_size: 25088
    .kernarg_segment_align: 8
    .kernarg_segment_size: 368
    .language:       OpenCL C
    .language_version:
      - 2
      - 0
    .max_flat_workgroup_size: 28
    .name:           _ZL38rocblas_trsm_small_left_device_sharedBILi28ELi28ELb1E19rocblas_complex_numIdES1_PKPKS1_PKPS1_Ev13rocblas_fill_18rocblas_operation_17rocblas_diagonal_iiT3_T4_lilT5_lili
    .private_segment_fixed_size: 464
    .sgpr_count:     47
    .sgpr_spill_count: 0
    .symbol:         _ZL38rocblas_trsm_small_left_device_sharedBILi28ELi28ELb1E19rocblas_complex_numIdES1_PKPKS1_PKPS1_Ev13rocblas_fill_18rocblas_operation_17rocblas_diagonal_iiT3_T4_lilT5_lili.kd
    .uniform_work_group_size: 1
    .uses_dynamic_stack: false
    .vgpr_count:     28
    .vgpr_spill_count: 0
    .wavefront_size: 32
    .workgroup_processor_mode: 1
  - .args:
      - .offset:         0
        .size:           4
        .value_kind:     by_value
      - .offset:         4
        .size:           4
        .value_kind:     by_value
      - .offset:         8
        .size:           4
        .value_kind:     by_value
      - .offset:         12
        .size:           4
        .value_kind:     by_value
      - .offset:         16
        .size:           4
        .value_kind:     by_value
      - .offset:         24
        .size:           16
        .value_kind:     by_value
      - .address_space:  global
        .offset:         40
        .size:           8
        .value_kind:     global_buffer
      - .offset:         48
        .size:           8
        .value_kind:     by_value
      - .offset:         56
        .size:           4
        .value_kind:     by_value
      - .offset:         64
        .size:           8
        .value_kind:     by_value
      - .address_space:  global
        .offset:         72
        .size:           8
        .value_kind:     global_buffer
      - .offset:         80
        .size:           8
        .value_kind:     by_value
      - .offset:         88
        .size:           4
        .value_kind:     by_value
      - .offset:         96
        .size:           8
        .value_kind:     by_value
      - .offset:         104
        .size:           4
        .value_kind:     by_value
      - .offset:         112
        .size:           4
        .value_kind:     hidden_block_count_x
      - .offset:         116
        .size:           4
        .value_kind:     hidden_block_count_y
      - .offset:         120
        .size:           4
        .value_kind:     hidden_block_count_z
      - .offset:         124
        .size:           2
        .value_kind:     hidden_group_size_x
      - .offset:         126
        .size:           2
        .value_kind:     hidden_group_size_y
      - .offset:         128
        .size:           2
        .value_kind:     hidden_group_size_z
      - .offset:         130
        .size:           2
        .value_kind:     hidden_remainder_x
      - .offset:         132
        .size:           2
        .value_kind:     hidden_remainder_y
      - .offset:         134
        .size:           2
        .value_kind:     hidden_remainder_z
      - .offset:         152
        .size:           8
        .value_kind:     hidden_global_offset_x
      - .offset:         160
        .size:           8
        .value_kind:     hidden_global_offset_y
      - .offset:         168
        .size:           8
        .value_kind:     hidden_global_offset_z
      - .offset:         176
        .size:           2
        .value_kind:     hidden_grid_dims
    .group_segment_fixed_size: 12544
    .kernarg_segment_align: 8
    .kernarg_segment_size: 368
    .language:       OpenCL C
    .language_version:
      - 2
      - 0
    .max_flat_workgroup_size: 28
    .name:           _ZL30rocblas_trsm_small_left_deviceILi28ELi28ELb1E19rocblas_complex_numIdES1_PKPKS1_PKPS1_Ev13rocblas_fill_18rocblas_operation_17rocblas_diagonal_iiT3_T4_lilT5_lili
    .private_segment_fixed_size: 464
    .sgpr_count:     48
    .sgpr_spill_count: 0
    .symbol:         _ZL30rocblas_trsm_small_left_deviceILi28ELi28ELb1E19rocblas_complex_numIdES1_PKPKS1_PKPS1_Ev13rocblas_fill_18rocblas_operation_17rocblas_diagonal_iiT3_T4_lilT5_lili.kd
    .uniform_work_group_size: 1
    .uses_dynamic_stack: false
    .vgpr_count:     29
    .vgpr_spill_count: 0
    .wavefront_size: 32
    .workgroup_processor_mode: 1
  - .args:
      - .offset:         0
        .size:           4
        .value_kind:     by_value
      - .offset:         4
        .size:           4
        .value_kind:     by_value
      - .offset:         8
        .size:           4
        .value_kind:     by_value
      - .offset:         12
        .size:           4
        .value_kind:     by_value
      - .offset:         16
        .size:           4
        .value_kind:     by_value
      - .offset:         24
        .size:           16
        .value_kind:     by_value
      - .address_space:  global
        .offset:         40
        .size:           8
        .value_kind:     global_buffer
      - .offset:         48
        .size:           8
        .value_kind:     by_value
      - .offset:         56
        .size:           4
        .value_kind:     by_value
      - .offset:         64
        .size:           8
        .value_kind:     by_value
      - .address_space:  global
        .offset:         72
        .size:           8
        .value_kind:     global_buffer
      - .offset:         80
        .size:           8
        .value_kind:     by_value
      - .offset:         88
        .size:           4
        .value_kind:     by_value
      - .offset:         96
        .size:           8
        .value_kind:     by_value
      - .offset:         104
        .size:           4
        .value_kind:     by_value
      - .offset:         112
        .size:           4
        .value_kind:     hidden_block_count_x
      - .offset:         116
        .size:           4
        .value_kind:     hidden_block_count_y
      - .offset:         120
        .size:           4
        .value_kind:     hidden_block_count_z
      - .offset:         124
        .size:           2
        .value_kind:     hidden_group_size_x
      - .offset:         126
        .size:           2
        .value_kind:     hidden_group_size_y
      - .offset:         128
        .size:           2
        .value_kind:     hidden_group_size_z
      - .offset:         130
        .size:           2
        .value_kind:     hidden_remainder_x
      - .offset:         132
        .size:           2
        .value_kind:     hidden_remainder_y
      - .offset:         134
        .size:           2
        .value_kind:     hidden_remainder_z
      - .offset:         152
        .size:           8
        .value_kind:     hidden_global_offset_x
      - .offset:         160
        .size:           8
        .value_kind:     hidden_global_offset_y
      - .offset:         168
        .size:           8
        .value_kind:     hidden_global_offset_z
      - .offset:         176
        .size:           2
        .value_kind:     hidden_grid_dims
    .group_segment_fixed_size: 25088
    .kernarg_segment_align: 8
    .kernarg_segment_size: 368
    .language:       OpenCL C
    .language_version:
      - 2
      - 0
    .max_flat_workgroup_size: 28
    .name:           _ZL31rocblas_trsm_small_right_deviceI19rocblas_complex_numIdES1_PKPKS1_PKPS1_Li28EEv13rocblas_fill_18rocblas_operation_17rocblas_diagonal_iiT0_T1_lilT2_lili
    .private_segment_fixed_size: 0
    .sgpr_count:     44
    .sgpr_spill_count: 0
    .symbol:         _ZL31rocblas_trsm_small_right_deviceI19rocblas_complex_numIdES1_PKPKS1_PKPS1_Li28EEv13rocblas_fill_18rocblas_operation_17rocblas_diagonal_iiT0_T1_lilT2_lili.kd
    .uniform_work_group_size: 1
    .uses_dynamic_stack: false
    .vgpr_count:     64
    .vgpr_spill_count: 0
    .wavefront_size: 32
    .workgroup_processor_mode: 1
  - .args:
      - .offset:         0
        .size:           4
        .value_kind:     by_value
      - .offset:         4
        .size:           4
        .value_kind:     by_value
      - .offset:         8
        .size:           4
        .value_kind:     by_value
      - .offset:         12
        .size:           4
        .value_kind:     by_value
      - .offset:         16
        .size:           4
        .value_kind:     by_value
      - .offset:         24
        .size:           16
        .value_kind:     by_value
      - .address_space:  global
        .offset:         40
        .size:           8
        .value_kind:     global_buffer
      - .offset:         48
        .size:           8
        .value_kind:     by_value
      - .offset:         56
        .size:           4
        .value_kind:     by_value
      - .offset:         64
        .size:           8
        .value_kind:     by_value
      - .address_space:  global
        .offset:         72
        .size:           8
        .value_kind:     global_buffer
      - .offset:         80
        .size:           8
        .value_kind:     by_value
      - .offset:         88
        .size:           4
        .value_kind:     by_value
      - .offset:         96
        .size:           8
        .value_kind:     by_value
      - .offset:         104
        .size:           4
        .value_kind:     by_value
      - .offset:         112
        .size:           4
        .value_kind:     hidden_block_count_x
      - .offset:         116
        .size:           4
        .value_kind:     hidden_block_count_y
      - .offset:         120
        .size:           4
        .value_kind:     hidden_block_count_z
      - .offset:         124
        .size:           2
        .value_kind:     hidden_group_size_x
      - .offset:         126
        .size:           2
        .value_kind:     hidden_group_size_y
      - .offset:         128
        .size:           2
        .value_kind:     hidden_group_size_z
      - .offset:         130
        .size:           2
        .value_kind:     hidden_remainder_x
      - .offset:         132
        .size:           2
        .value_kind:     hidden_remainder_y
      - .offset:         134
        .size:           2
        .value_kind:     hidden_remainder_z
      - .offset:         152
        .size:           8
        .value_kind:     hidden_global_offset_x
      - .offset:         160
        .size:           8
        .value_kind:     hidden_global_offset_y
      - .offset:         168
        .size:           8
        .value_kind:     hidden_global_offset_z
      - .offset:         176
        .size:           2
        .value_kind:     hidden_grid_dims
    .group_segment_fixed_size: 32768
    .kernarg_segment_align: 8
    .kernarg_segment_size: 368
    .language:       OpenCL C
    .language_version:
      - 2
      - 0
    .max_flat_workgroup_size: 32
    .name:           _ZL38rocblas_trsm_small_left_device_sharedBILi32ELi32ELb0E19rocblas_complex_numIdES1_PKPKS1_PKPS1_Ev13rocblas_fill_18rocblas_operation_17rocblas_diagonal_iiT3_T4_lilT5_lili
    .private_segment_fixed_size: 528
    .sgpr_count:     47
    .sgpr_spill_count: 0
    .symbol:         _ZL38rocblas_trsm_small_left_device_sharedBILi32ELi32ELb0E19rocblas_complex_numIdES1_PKPKS1_PKPS1_Ev13rocblas_fill_18rocblas_operation_17rocblas_diagonal_iiT3_T4_lilT5_lili.kd
    .uniform_work_group_size: 1
    .uses_dynamic_stack: false
    .vgpr_count:     28
    .vgpr_spill_count: 0
    .wavefront_size: 32
    .workgroup_processor_mode: 1
  - .args:
      - .offset:         0
        .size:           4
        .value_kind:     by_value
      - .offset:         4
        .size:           4
        .value_kind:     by_value
      - .offset:         8
        .size:           4
        .value_kind:     by_value
      - .offset:         12
        .size:           4
        .value_kind:     by_value
      - .offset:         16
        .size:           4
        .value_kind:     by_value
      - .offset:         24
        .size:           16
        .value_kind:     by_value
      - .address_space:  global
        .offset:         40
        .size:           8
        .value_kind:     global_buffer
      - .offset:         48
        .size:           8
        .value_kind:     by_value
      - .offset:         56
        .size:           4
        .value_kind:     by_value
      - .offset:         64
        .size:           8
        .value_kind:     by_value
      - .address_space:  global
        .offset:         72
        .size:           8
        .value_kind:     global_buffer
      - .offset:         80
        .size:           8
        .value_kind:     by_value
      - .offset:         88
        .size:           4
        .value_kind:     by_value
      - .offset:         96
        .size:           8
        .value_kind:     by_value
      - .offset:         104
        .size:           4
        .value_kind:     by_value
      - .offset:         112
        .size:           4
        .value_kind:     hidden_block_count_x
      - .offset:         116
        .size:           4
        .value_kind:     hidden_block_count_y
      - .offset:         120
        .size:           4
        .value_kind:     hidden_block_count_z
      - .offset:         124
        .size:           2
        .value_kind:     hidden_group_size_x
      - .offset:         126
        .size:           2
        .value_kind:     hidden_group_size_y
      - .offset:         128
        .size:           2
        .value_kind:     hidden_group_size_z
      - .offset:         130
        .size:           2
        .value_kind:     hidden_remainder_x
      - .offset:         132
        .size:           2
        .value_kind:     hidden_remainder_y
      - .offset:         134
        .size:           2
        .value_kind:     hidden_remainder_z
      - .offset:         152
        .size:           8
        .value_kind:     hidden_global_offset_x
      - .offset:         160
        .size:           8
        .value_kind:     hidden_global_offset_y
      - .offset:         168
        .size:           8
        .value_kind:     hidden_global_offset_z
      - .offset:         176
        .size:           2
        .value_kind:     hidden_grid_dims
    .group_segment_fixed_size: 16384
    .kernarg_segment_align: 8
    .kernarg_segment_size: 368
    .language:       OpenCL C
    .language_version:
      - 2
      - 0
    .max_flat_workgroup_size: 32
    .name:           _ZL30rocblas_trsm_small_left_deviceILi32ELi32ELb0E19rocblas_complex_numIdES1_PKPKS1_PKPS1_Ev13rocblas_fill_18rocblas_operation_17rocblas_diagonal_iiT3_T4_lilT5_lili
    .private_segment_fixed_size: 528
    .sgpr_count:     49
    .sgpr_spill_count: 0
    .symbol:         _ZL30rocblas_trsm_small_left_deviceILi32ELi32ELb0E19rocblas_complex_numIdES1_PKPKS1_PKPS1_Ev13rocblas_fill_18rocblas_operation_17rocblas_diagonal_iiT3_T4_lilT5_lili.kd
    .uniform_work_group_size: 1
    .uses_dynamic_stack: false
    .vgpr_count:     31
    .vgpr_spill_count: 0
    .wavefront_size: 32
    .workgroup_processor_mode: 1
  - .args:
      - .offset:         0
        .size:           4
        .value_kind:     by_value
      - .offset:         4
        .size:           4
        .value_kind:     by_value
      - .offset:         8
        .size:           4
        .value_kind:     by_value
      - .offset:         12
        .size:           4
        .value_kind:     by_value
      - .offset:         16
        .size:           4
        .value_kind:     by_value
      - .offset:         24
        .size:           16
        .value_kind:     by_value
      - .address_space:  global
        .offset:         40
        .size:           8
        .value_kind:     global_buffer
      - .offset:         48
        .size:           8
        .value_kind:     by_value
      - .offset:         56
        .size:           4
        .value_kind:     by_value
      - .offset:         64
        .size:           8
        .value_kind:     by_value
      - .address_space:  global
        .offset:         72
        .size:           8
        .value_kind:     global_buffer
      - .offset:         80
        .size:           8
        .value_kind:     by_value
      - .offset:         88
        .size:           4
        .value_kind:     by_value
      - .offset:         96
        .size:           8
        .value_kind:     by_value
      - .offset:         104
        .size:           4
        .value_kind:     by_value
      - .offset:         112
        .size:           4
        .value_kind:     hidden_block_count_x
      - .offset:         116
        .size:           4
        .value_kind:     hidden_block_count_y
      - .offset:         120
        .size:           4
        .value_kind:     hidden_block_count_z
      - .offset:         124
        .size:           2
        .value_kind:     hidden_group_size_x
      - .offset:         126
        .size:           2
        .value_kind:     hidden_group_size_y
      - .offset:         128
        .size:           2
        .value_kind:     hidden_group_size_z
      - .offset:         130
        .size:           2
        .value_kind:     hidden_remainder_x
      - .offset:         132
        .size:           2
        .value_kind:     hidden_remainder_y
      - .offset:         134
        .size:           2
        .value_kind:     hidden_remainder_z
      - .offset:         152
        .size:           8
        .value_kind:     hidden_global_offset_x
      - .offset:         160
        .size:           8
        .value_kind:     hidden_global_offset_y
      - .offset:         168
        .size:           8
        .value_kind:     hidden_global_offset_z
      - .offset:         176
        .size:           2
        .value_kind:     hidden_grid_dims
    .group_segment_fixed_size: 32768
    .kernarg_segment_align: 8
    .kernarg_segment_size: 368
    .language:       OpenCL C
    .language_version:
      - 2
      - 0
    .max_flat_workgroup_size: 32
    .name:           _ZL38rocblas_trsm_small_left_device_sharedBILi32ELi32ELb1E19rocblas_complex_numIdES1_PKPKS1_PKPS1_Ev13rocblas_fill_18rocblas_operation_17rocblas_diagonal_iiT3_T4_lilT5_lili
    .private_segment_fixed_size: 528
    .sgpr_count:     47
    .sgpr_spill_count: 0
    .symbol:         _ZL38rocblas_trsm_small_left_device_sharedBILi32ELi32ELb1E19rocblas_complex_numIdES1_PKPKS1_PKPS1_Ev13rocblas_fill_18rocblas_operation_17rocblas_diagonal_iiT3_T4_lilT5_lili.kd
    .uniform_work_group_size: 1
    .uses_dynamic_stack: false
    .vgpr_count:     28
    .vgpr_spill_count: 0
    .wavefront_size: 32
    .workgroup_processor_mode: 1
  - .args:
      - .offset:         0
        .size:           4
        .value_kind:     by_value
      - .offset:         4
        .size:           4
        .value_kind:     by_value
      - .offset:         8
        .size:           4
        .value_kind:     by_value
      - .offset:         12
        .size:           4
        .value_kind:     by_value
      - .offset:         16
        .size:           4
        .value_kind:     by_value
      - .offset:         24
        .size:           16
        .value_kind:     by_value
      - .address_space:  global
        .offset:         40
        .size:           8
        .value_kind:     global_buffer
      - .offset:         48
        .size:           8
        .value_kind:     by_value
      - .offset:         56
        .size:           4
        .value_kind:     by_value
      - .offset:         64
        .size:           8
        .value_kind:     by_value
      - .address_space:  global
        .offset:         72
        .size:           8
        .value_kind:     global_buffer
      - .offset:         80
        .size:           8
        .value_kind:     by_value
      - .offset:         88
        .size:           4
        .value_kind:     by_value
      - .offset:         96
        .size:           8
        .value_kind:     by_value
      - .offset:         104
        .size:           4
        .value_kind:     by_value
      - .offset:         112
        .size:           4
        .value_kind:     hidden_block_count_x
      - .offset:         116
        .size:           4
        .value_kind:     hidden_block_count_y
      - .offset:         120
        .size:           4
        .value_kind:     hidden_block_count_z
      - .offset:         124
        .size:           2
        .value_kind:     hidden_group_size_x
      - .offset:         126
        .size:           2
        .value_kind:     hidden_group_size_y
      - .offset:         128
        .size:           2
        .value_kind:     hidden_group_size_z
      - .offset:         130
        .size:           2
        .value_kind:     hidden_remainder_x
      - .offset:         132
        .size:           2
        .value_kind:     hidden_remainder_y
      - .offset:         134
        .size:           2
        .value_kind:     hidden_remainder_z
      - .offset:         152
        .size:           8
        .value_kind:     hidden_global_offset_x
      - .offset:         160
        .size:           8
        .value_kind:     hidden_global_offset_y
      - .offset:         168
        .size:           8
        .value_kind:     hidden_global_offset_z
      - .offset:         176
        .size:           2
        .value_kind:     hidden_grid_dims
    .group_segment_fixed_size: 16384
    .kernarg_segment_align: 8
    .kernarg_segment_size: 368
    .language:       OpenCL C
    .language_version:
      - 2
      - 0
    .max_flat_workgroup_size: 32
    .name:           _ZL30rocblas_trsm_small_left_deviceILi32ELi32ELb1E19rocblas_complex_numIdES1_PKPKS1_PKPS1_Ev13rocblas_fill_18rocblas_operation_17rocblas_diagonal_iiT3_T4_lilT5_lili
    .private_segment_fixed_size: 528
    .sgpr_count:     48
    .sgpr_spill_count: 0
    .symbol:         _ZL30rocblas_trsm_small_left_deviceILi32ELi32ELb1E19rocblas_complex_numIdES1_PKPKS1_PKPS1_Ev13rocblas_fill_18rocblas_operation_17rocblas_diagonal_iiT3_T4_lilT5_lili.kd
    .uniform_work_group_size: 1
    .uses_dynamic_stack: false
    .vgpr_count:     29
    .vgpr_spill_count: 0
    .wavefront_size: 32
    .workgroup_processor_mode: 1
  - .args:
      - .offset:         0
        .size:           4
        .value_kind:     by_value
      - .offset:         4
        .size:           4
        .value_kind:     by_value
      - .offset:         8
        .size:           4
        .value_kind:     by_value
      - .offset:         12
        .size:           4
        .value_kind:     by_value
      - .offset:         16
        .size:           4
        .value_kind:     by_value
      - .offset:         24
        .size:           16
        .value_kind:     by_value
      - .address_space:  global
        .offset:         40
        .size:           8
        .value_kind:     global_buffer
      - .offset:         48
        .size:           8
        .value_kind:     by_value
      - .offset:         56
        .size:           4
        .value_kind:     by_value
      - .offset:         64
        .size:           8
        .value_kind:     by_value
      - .address_space:  global
        .offset:         72
        .size:           8
        .value_kind:     global_buffer
      - .offset:         80
        .size:           8
        .value_kind:     by_value
      - .offset:         88
        .size:           4
        .value_kind:     by_value
      - .offset:         96
        .size:           8
        .value_kind:     by_value
      - .offset:         104
        .size:           4
        .value_kind:     by_value
      - .offset:         112
        .size:           4
        .value_kind:     hidden_block_count_x
      - .offset:         116
        .size:           4
        .value_kind:     hidden_block_count_y
      - .offset:         120
        .size:           4
        .value_kind:     hidden_block_count_z
      - .offset:         124
        .size:           2
        .value_kind:     hidden_group_size_x
      - .offset:         126
        .size:           2
        .value_kind:     hidden_group_size_y
      - .offset:         128
        .size:           2
        .value_kind:     hidden_group_size_z
      - .offset:         130
        .size:           2
        .value_kind:     hidden_remainder_x
      - .offset:         132
        .size:           2
        .value_kind:     hidden_remainder_y
      - .offset:         134
        .size:           2
        .value_kind:     hidden_remainder_z
      - .offset:         152
        .size:           8
        .value_kind:     hidden_global_offset_x
      - .offset:         160
        .size:           8
        .value_kind:     hidden_global_offset_y
      - .offset:         168
        .size:           8
        .value_kind:     hidden_global_offset_z
      - .offset:         176
        .size:           2
        .value_kind:     hidden_grid_dims
    .group_segment_fixed_size: 32768
    .kernarg_segment_align: 8
    .kernarg_segment_size: 368
    .language:       OpenCL C
    .language_version:
      - 2
      - 0
    .max_flat_workgroup_size: 32
    .name:           _ZL31rocblas_trsm_small_right_deviceI19rocblas_complex_numIdES1_PKPKS1_PKPS1_Li32EEv13rocblas_fill_18rocblas_operation_17rocblas_diagonal_iiT0_T1_lilT2_lili
    .private_segment_fixed_size: 0
    .sgpr_count:     46
    .sgpr_spill_count: 0
    .symbol:         _ZL31rocblas_trsm_small_right_deviceI19rocblas_complex_numIdES1_PKPKS1_PKPS1_Li32EEv13rocblas_fill_18rocblas_operation_17rocblas_diagonal_iiT0_T1_lilT2_lili.kd
    .uniform_work_group_size: 1
    .uses_dynamic_stack: false
    .vgpr_count:     64
    .vgpr_spill_count: 0
    .wavefront_size: 32
    .workgroup_processor_mode: 1
  - .args:
      - .offset:         0
        .size:           4
        .value_kind:     by_value
      - .offset:         4
        .size:           4
        .value_kind:     by_value
      - .offset:         8
        .size:           4
        .value_kind:     by_value
      - .offset:         12
        .size:           4
        .value_kind:     by_value
      - .offset:         16
        .size:           4
        .value_kind:     by_value
      - .offset:         24
        .size:           16
        .value_kind:     by_value
      - .address_space:  global
        .offset:         40
        .size:           8
        .value_kind:     global_buffer
      - .offset:         48
        .size:           8
        .value_kind:     by_value
      - .offset:         56
        .size:           4
        .value_kind:     by_value
      - .offset:         64
        .size:           8
        .value_kind:     by_value
      - .address_space:  global
        .offset:         72
        .size:           8
        .value_kind:     global_buffer
      - .offset:         80
        .size:           8
        .value_kind:     by_value
      - .offset:         88
        .size:           4
        .value_kind:     by_value
      - .offset:         96
        .size:           8
        .value_kind:     by_value
      - .offset:         104
        .size:           4
        .value_kind:     by_value
      - .offset:         112
        .size:           4
        .value_kind:     hidden_block_count_x
      - .offset:         116
        .size:           4
        .value_kind:     hidden_block_count_y
      - .offset:         120
        .size:           4
        .value_kind:     hidden_block_count_z
      - .offset:         124
        .size:           2
        .value_kind:     hidden_group_size_x
      - .offset:         126
        .size:           2
        .value_kind:     hidden_group_size_y
      - .offset:         128
        .size:           2
        .value_kind:     hidden_group_size_z
      - .offset:         130
        .size:           2
        .value_kind:     hidden_remainder_x
      - .offset:         132
        .size:           2
        .value_kind:     hidden_remainder_y
      - .offset:         134
        .size:           2
        .value_kind:     hidden_remainder_z
      - .offset:         152
        .size:           8
        .value_kind:     hidden_global_offset_x
      - .offset:         160
        .size:           8
        .value_kind:     hidden_global_offset_y
      - .offset:         168
        .size:           8
        .value_kind:     hidden_global_offset_z
      - .offset:         176
        .size:           2
        .value_kind:     hidden_grid_dims
    .group_segment_fixed_size: 65536
    .kernarg_segment_align: 8
    .kernarg_segment_size: 368
    .language:       OpenCL C
    .language_version:
      - 2
      - 0
    .max_flat_workgroup_size: 64
    .name:           _ZL33rocblas_trsm_small_64_left_deviceI19rocblas_complex_numIdES1_PKPKS1_PKPS1_Li64EEv13rocblas_fill_18rocblas_operation_17rocblas_diagonal_iiT0_T1_lilT2_lili
    .private_segment_fixed_size: 0
    .sgpr_count:     54
    .sgpr_spill_count: 0
    .symbol:         _ZL33rocblas_trsm_small_64_left_deviceI19rocblas_complex_numIdES1_PKPKS1_PKPS1_Li64EEv13rocblas_fill_18rocblas_operation_17rocblas_diagonal_iiT0_T1_lilT2_lili.kd
    .uniform_work_group_size: 1
    .uses_dynamic_stack: false
    .vgpr_count:     28
    .vgpr_spill_count: 0
    .wavefront_size: 32
    .workgroup_processor_mode: 1
  - .args:
      - .offset:         0
        .size:           4
        .value_kind:     by_value
      - .offset:         4
        .size:           4
        .value_kind:     by_value
      - .offset:         8
        .size:           4
        .value_kind:     by_value
      - .offset:         12
        .size:           4
        .value_kind:     by_value
      - .offset:         16
        .size:           4
        .value_kind:     by_value
      - .offset:         24
        .size:           16
        .value_kind:     by_value
      - .address_space:  global
        .offset:         40
        .size:           8
        .value_kind:     global_buffer
      - .offset:         48
        .size:           8
        .value_kind:     by_value
      - .offset:         56
        .size:           4
        .value_kind:     by_value
      - .offset:         64
        .size:           8
        .value_kind:     by_value
      - .address_space:  global
        .offset:         72
        .size:           8
        .value_kind:     global_buffer
      - .offset:         80
        .size:           8
        .value_kind:     by_value
      - .offset:         88
        .size:           4
        .value_kind:     by_value
      - .offset:         96
        .size:           8
        .value_kind:     by_value
      - .offset:         104
        .size:           4
        .value_kind:     by_value
      - .offset:         112
        .size:           4
        .value_kind:     hidden_block_count_x
      - .offset:         116
        .size:           4
        .value_kind:     hidden_block_count_y
      - .offset:         120
        .size:           4
        .value_kind:     hidden_block_count_z
      - .offset:         124
        .size:           2
        .value_kind:     hidden_group_size_x
      - .offset:         126
        .size:           2
        .value_kind:     hidden_group_size_y
      - .offset:         128
        .size:           2
        .value_kind:     hidden_group_size_z
      - .offset:         130
        .size:           2
        .value_kind:     hidden_remainder_x
      - .offset:         132
        .size:           2
        .value_kind:     hidden_remainder_y
      - .offset:         134
        .size:           2
        .value_kind:     hidden_remainder_z
      - .offset:         152
        .size:           8
        .value_kind:     hidden_global_offset_x
      - .offset:         160
        .size:           8
        .value_kind:     hidden_global_offset_y
      - .offset:         168
        .size:           8
        .value_kind:     hidden_global_offset_z
      - .offset:         176
        .size:           2
        .value_kind:     hidden_grid_dims
    .group_segment_fixed_size: 65536
    .kernarg_segment_align: 8
    .kernarg_segment_size: 368
    .language:       OpenCL C
    .language_version:
      - 2
      - 0
    .max_flat_workgroup_size: 64
    .name:           _ZL34rocblas_trsm_small_64_right_deviceI19rocblas_complex_numIdES1_PKPKS1_PKPS1_Li64EEv13rocblas_fill_18rocblas_operation_17rocblas_diagonal_iiT0_T1_lilT2_lili
    .private_segment_fixed_size: 0
    .sgpr_count:     52
    .sgpr_spill_count: 0
    .symbol:         _ZL34rocblas_trsm_small_64_right_deviceI19rocblas_complex_numIdES1_PKPKS1_PKPS1_Li64EEv13rocblas_fill_18rocblas_operation_17rocblas_diagonal_iiT0_T1_lilT2_lili.kd
    .uniform_work_group_size: 1
    .uses_dynamic_stack: false
    .vgpr_count:     27
    .vgpr_spill_count: 0
    .wavefront_size: 32
    .workgroup_processor_mode: 1
  - .args:
      - .offset:         0
        .size:           4
        .value_kind:     by_value
      - .offset:         8
        .size:           8
        .value_kind:     by_value
      - .offset:         16
        .size:           8
        .value_kind:     by_value
      - .offset:         24
        .size:           16
        .value_kind:     by_value
      - .address_space:  global
        .offset:         40
        .size:           8
        .value_kind:     global_buffer
      - .offset:         48
        .size:           8
        .value_kind:     by_value
      - .offset:         56
        .size:           8
        .value_kind:     by_value
      - .offset:         64
        .size:           8
        .value_kind:     by_value
      - .address_space:  global
        .offset:         72
        .size:           8
        .value_kind:     global_buffer
      - .offset:         80
        .size:           8
        .value_kind:     by_value
      - .offset:         88
        .size:           8
        .value_kind:     by_value
      - .offset:         96
        .size:           8
        .value_kind:     by_value
      - .offset:         104
        .size:           4
        .value_kind:     by_value
      - .offset:         108
        .size:           1
        .value_kind:     by_value
      - .offset:         112
        .size:           4
        .value_kind:     hidden_block_count_x
      - .offset:         116
        .size:           4
        .value_kind:     hidden_block_count_y
      - .offset:         120
        .size:           4
        .value_kind:     hidden_block_count_z
      - .offset:         124
        .size:           2
        .value_kind:     hidden_group_size_x
      - .offset:         126
        .size:           2
        .value_kind:     hidden_group_size_y
      - .offset:         128
        .size:           2
        .value_kind:     hidden_group_size_z
      - .offset:         130
        .size:           2
        .value_kind:     hidden_remainder_x
      - .offset:         132
        .size:           2
        .value_kind:     hidden_remainder_y
      - .offset:         134
        .size:           2
        .value_kind:     hidden_remainder_z
      - .offset:         152
        .size:           8
        .value_kind:     hidden_global_offset_x
      - .offset:         160
        .size:           8
        .value_kind:     hidden_global_offset_y
      - .offset:         168
        .size:           8
        .value_kind:     hidden_global_offset_z
      - .offset:         176
        .size:           2
        .value_kind:     hidden_grid_dims
      - .offset:         232
        .size:           4
        .value_kind:     hidden_dynamic_lds_size
    .group_segment_fixed_size: 0
    .kernarg_segment_align: 8
    .kernarg_segment_size: 368
    .language:       OpenCL C
    .language_version:
      - 2
      - 0
    .max_flat_workgroup_size: 1024
    .name:           _ZL39rocblas_trsm_block_forward_substitutionI19rocblas_complex_numIdES1_PKPKS1_PKPS1_Lb0ELb0ELb0EEv18rocblas_operation_llT0_T1_lllT2_lllib
    .private_segment_fixed_size: 0
    .sgpr_count:     44
    .sgpr_spill_count: 0
    .symbol:         _ZL39rocblas_trsm_block_forward_substitutionI19rocblas_complex_numIdES1_PKPKS1_PKPS1_Lb0ELb0ELb0EEv18rocblas_operation_llT0_T1_lllT2_lllib.kd
    .uniform_work_group_size: 1
    .uses_dynamic_stack: false
    .vgpr_count:     34
    .vgpr_spill_count: 0
    .wavefront_size: 32
    .workgroup_processor_mode: 1
  - .args:
      - .offset:         0
        .size:           4
        .value_kind:     by_value
      - .offset:         8
        .size:           8
        .value_kind:     by_value
      - .offset:         16
        .size:           8
        .value_kind:     by_value
      - .offset:         24
        .size:           16
        .value_kind:     by_value
      - .address_space:  global
        .offset:         40
        .size:           8
        .value_kind:     global_buffer
      - .offset:         48
        .size:           8
        .value_kind:     by_value
      - .offset:         56
        .size:           8
        .value_kind:     by_value
      - .offset:         64
        .size:           8
        .value_kind:     by_value
      - .address_space:  global
        .offset:         72
        .size:           8
        .value_kind:     global_buffer
      - .offset:         80
        .size:           8
        .value_kind:     by_value
      - .offset:         88
        .size:           8
        .value_kind:     by_value
      - .offset:         96
        .size:           8
        .value_kind:     by_value
      - .offset:         104
        .size:           4
        .value_kind:     by_value
      - .offset:         108
        .size:           1
        .value_kind:     by_value
      - .offset:         112
        .size:           4
        .value_kind:     hidden_block_count_x
      - .offset:         116
        .size:           4
        .value_kind:     hidden_block_count_y
      - .offset:         120
        .size:           4
        .value_kind:     hidden_block_count_z
      - .offset:         124
        .size:           2
        .value_kind:     hidden_group_size_x
      - .offset:         126
        .size:           2
        .value_kind:     hidden_group_size_y
      - .offset:         128
        .size:           2
        .value_kind:     hidden_group_size_z
      - .offset:         130
        .size:           2
        .value_kind:     hidden_remainder_x
      - .offset:         132
        .size:           2
        .value_kind:     hidden_remainder_y
      - .offset:         134
        .size:           2
        .value_kind:     hidden_remainder_z
      - .offset:         152
        .size:           8
        .value_kind:     hidden_global_offset_x
      - .offset:         160
        .size:           8
        .value_kind:     hidden_global_offset_y
      - .offset:         168
        .size:           8
        .value_kind:     hidden_global_offset_z
      - .offset:         176
        .size:           2
        .value_kind:     hidden_grid_dims
      - .offset:         232
        .size:           4
        .value_kind:     hidden_dynamic_lds_size
    .group_segment_fixed_size: 0
    .kernarg_segment_align: 8
    .kernarg_segment_size: 368
    .language:       OpenCL C
    .language_version:
      - 2
      - 0
    .max_flat_workgroup_size: 1024
    .name:           _ZL40rocblas_trsm_block_backward_substitutionI19rocblas_complex_numIdES1_PKPKS1_PKPS1_Lb0ELb0ELb0EEv18rocblas_operation_llT0_T1_lllT2_lllib
    .private_segment_fixed_size: 0
    .sgpr_count:     52
    .sgpr_spill_count: 0
    .symbol:         _ZL40rocblas_trsm_block_backward_substitutionI19rocblas_complex_numIdES1_PKPKS1_PKPS1_Lb0ELb0ELb0EEv18rocblas_operation_llT0_T1_lllT2_lllib.kd
    .uniform_work_group_size: 1
    .uses_dynamic_stack: false
    .vgpr_count:     38
    .vgpr_spill_count: 0
    .wavefront_size: 32
    .workgroup_processor_mode: 1
  - .args:
      - .offset:         0
        .size:           4
        .value_kind:     by_value
      - .offset:         8
        .size:           8
        .value_kind:     by_value
      - .offset:         16
        .size:           8
        .value_kind:     by_value
      - .offset:         24
        .size:           16
        .value_kind:     by_value
      - .address_space:  global
        .offset:         40
        .size:           8
        .value_kind:     global_buffer
      - .offset:         48
        .size:           8
        .value_kind:     by_value
      - .offset:         56
        .size:           8
        .value_kind:     by_value
      - .offset:         64
        .size:           8
        .value_kind:     by_value
      - .address_space:  global
        .offset:         72
        .size:           8
        .value_kind:     global_buffer
      - .offset:         80
        .size:           8
        .value_kind:     by_value
      - .offset:         88
        .size:           8
        .value_kind:     by_value
      - .offset:         96
        .size:           8
        .value_kind:     by_value
      - .offset:         104
        .size:           4
        .value_kind:     by_value
      - .offset:         108
        .size:           1
        .value_kind:     by_value
      - .offset:         112
        .size:           4
        .value_kind:     hidden_block_count_x
      - .offset:         116
        .size:           4
        .value_kind:     hidden_block_count_y
      - .offset:         120
        .size:           4
        .value_kind:     hidden_block_count_z
      - .offset:         124
        .size:           2
        .value_kind:     hidden_group_size_x
      - .offset:         126
        .size:           2
        .value_kind:     hidden_group_size_y
      - .offset:         128
        .size:           2
        .value_kind:     hidden_group_size_z
      - .offset:         130
        .size:           2
        .value_kind:     hidden_remainder_x
      - .offset:         132
        .size:           2
        .value_kind:     hidden_remainder_y
      - .offset:         134
        .size:           2
        .value_kind:     hidden_remainder_z
      - .offset:         152
        .size:           8
        .value_kind:     hidden_global_offset_x
      - .offset:         160
        .size:           8
        .value_kind:     hidden_global_offset_y
      - .offset:         168
        .size:           8
        .value_kind:     hidden_global_offset_z
      - .offset:         176
        .size:           2
        .value_kind:     hidden_grid_dims
      - .offset:         232
        .size:           4
        .value_kind:     hidden_dynamic_lds_size
    .group_segment_fixed_size: 0
    .kernarg_segment_align: 8
    .kernarg_segment_size: 368
    .language:       OpenCL C
    .language_version:
      - 2
      - 0
    .max_flat_workgroup_size: 1024
    .name:           _ZL39rocblas_trsm_block_forward_substitutionI19rocblas_complex_numIdES1_PKPKS1_PKPS1_Lb0ELb0ELb1EEv18rocblas_operation_llT0_T1_lllT2_lllib
    .private_segment_fixed_size: 0
    .sgpr_count:     41
    .sgpr_spill_count: 0
    .symbol:         _ZL39rocblas_trsm_block_forward_substitutionI19rocblas_complex_numIdES1_PKPKS1_PKPS1_Lb0ELb0ELb1EEv18rocblas_operation_llT0_T1_lllT2_lllib.kd
    .uniform_work_group_size: 1
    .uses_dynamic_stack: false
    .vgpr_count:     27
    .vgpr_spill_count: 0
    .wavefront_size: 32
    .workgroup_processor_mode: 1
  - .args:
      - .offset:         0
        .size:           4
        .value_kind:     by_value
      - .offset:         8
        .size:           8
        .value_kind:     by_value
      - .offset:         16
        .size:           8
        .value_kind:     by_value
      - .offset:         24
        .size:           16
        .value_kind:     by_value
      - .address_space:  global
        .offset:         40
        .size:           8
        .value_kind:     global_buffer
      - .offset:         48
        .size:           8
        .value_kind:     by_value
      - .offset:         56
        .size:           8
        .value_kind:     by_value
      - .offset:         64
        .size:           8
        .value_kind:     by_value
      - .address_space:  global
        .offset:         72
        .size:           8
        .value_kind:     global_buffer
      - .offset:         80
        .size:           8
        .value_kind:     by_value
      - .offset:         88
        .size:           8
        .value_kind:     by_value
      - .offset:         96
        .size:           8
        .value_kind:     by_value
      - .offset:         104
        .size:           4
        .value_kind:     by_value
      - .offset:         108
        .size:           1
        .value_kind:     by_value
      - .offset:         112
        .size:           4
        .value_kind:     hidden_block_count_x
      - .offset:         116
        .size:           4
        .value_kind:     hidden_block_count_y
      - .offset:         120
        .size:           4
        .value_kind:     hidden_block_count_z
      - .offset:         124
        .size:           2
        .value_kind:     hidden_group_size_x
      - .offset:         126
        .size:           2
        .value_kind:     hidden_group_size_y
      - .offset:         128
        .size:           2
        .value_kind:     hidden_group_size_z
      - .offset:         130
        .size:           2
        .value_kind:     hidden_remainder_x
      - .offset:         132
        .size:           2
        .value_kind:     hidden_remainder_y
      - .offset:         134
        .size:           2
        .value_kind:     hidden_remainder_z
      - .offset:         152
        .size:           8
        .value_kind:     hidden_global_offset_x
      - .offset:         160
        .size:           8
        .value_kind:     hidden_global_offset_y
      - .offset:         168
        .size:           8
        .value_kind:     hidden_global_offset_z
      - .offset:         176
        .size:           2
        .value_kind:     hidden_grid_dims
      - .offset:         232
        .size:           4
        .value_kind:     hidden_dynamic_lds_size
    .group_segment_fixed_size: 0
    .kernarg_segment_align: 8
    .kernarg_segment_size: 368
    .language:       OpenCL C
    .language_version:
      - 2
      - 0
    .max_flat_workgroup_size: 1024
    .name:           _ZL40rocblas_trsm_block_backward_substitutionI19rocblas_complex_numIdES1_PKPKS1_PKPS1_Lb0ELb0ELb1EEv18rocblas_operation_llT0_T1_lllT2_lllib
    .private_segment_fixed_size: 0
    .sgpr_count:     44
    .sgpr_spill_count: 0
    .symbol:         _ZL40rocblas_trsm_block_backward_substitutionI19rocblas_complex_numIdES1_PKPKS1_PKPS1_Lb0ELb0ELb1EEv18rocblas_operation_llT0_T1_lllT2_lllib.kd
    .uniform_work_group_size: 1
    .uses_dynamic_stack: false
    .vgpr_count:     30
    .vgpr_spill_count: 0
    .wavefront_size: 32
    .workgroup_processor_mode: 1
  - .args:
      - .offset:         0
        .size:           4
        .value_kind:     by_value
      - .offset:         8
        .size:           8
        .value_kind:     by_value
      - .offset:         16
        .size:           8
        .value_kind:     by_value
      - .offset:         24
        .size:           16
        .value_kind:     by_value
      - .address_space:  global
        .offset:         40
        .size:           8
        .value_kind:     global_buffer
      - .offset:         48
        .size:           8
        .value_kind:     by_value
      - .offset:         56
        .size:           8
        .value_kind:     by_value
      - .offset:         64
        .size:           8
        .value_kind:     by_value
      - .address_space:  global
        .offset:         72
        .size:           8
        .value_kind:     global_buffer
      - .offset:         80
        .size:           8
        .value_kind:     by_value
      - .offset:         88
        .size:           8
        .value_kind:     by_value
      - .offset:         96
        .size:           8
        .value_kind:     by_value
      - .offset:         104
        .size:           4
        .value_kind:     by_value
      - .offset:         108
        .size:           1
        .value_kind:     by_value
      - .offset:         112
        .size:           4
        .value_kind:     hidden_block_count_x
      - .offset:         116
        .size:           4
        .value_kind:     hidden_block_count_y
      - .offset:         120
        .size:           4
        .value_kind:     hidden_block_count_z
      - .offset:         124
        .size:           2
        .value_kind:     hidden_group_size_x
      - .offset:         126
        .size:           2
        .value_kind:     hidden_group_size_y
      - .offset:         128
        .size:           2
        .value_kind:     hidden_group_size_z
      - .offset:         130
        .size:           2
        .value_kind:     hidden_remainder_x
      - .offset:         132
        .size:           2
        .value_kind:     hidden_remainder_y
      - .offset:         134
        .size:           2
        .value_kind:     hidden_remainder_z
      - .offset:         152
        .size:           8
        .value_kind:     hidden_global_offset_x
      - .offset:         160
        .size:           8
        .value_kind:     hidden_global_offset_y
      - .offset:         168
        .size:           8
        .value_kind:     hidden_global_offset_z
      - .offset:         176
        .size:           2
        .value_kind:     hidden_grid_dims
      - .offset:         232
        .size:           4
        .value_kind:     hidden_dynamic_lds_size
    .group_segment_fixed_size: 0
    .kernarg_segment_align: 8
    .kernarg_segment_size: 368
    .language:       OpenCL C
    .language_version:
      - 2
      - 0
    .max_flat_workgroup_size: 1024
    .name:           _ZL39rocblas_trsm_block_forward_substitutionI19rocblas_complex_numIdES1_PKPKS1_PKPS1_Lb0ELb1ELb0EEv18rocblas_operation_llT0_T1_lllT2_lllib
    .private_segment_fixed_size: 0
    .sgpr_count:     44
    .sgpr_spill_count: 0
    .symbol:         _ZL39rocblas_trsm_block_forward_substitutionI19rocblas_complex_numIdES1_PKPKS1_PKPS1_Lb0ELb1ELb0EEv18rocblas_operation_llT0_T1_lllT2_lllib.kd
    .uniform_work_group_size: 1
    .uses_dynamic_stack: false
    .vgpr_count:     36
    .vgpr_spill_count: 0
    .wavefront_size: 32
    .workgroup_processor_mode: 1
  - .args:
      - .offset:         0
        .size:           4
        .value_kind:     by_value
      - .offset:         8
        .size:           8
        .value_kind:     by_value
      - .offset:         16
        .size:           8
        .value_kind:     by_value
      - .offset:         24
        .size:           16
        .value_kind:     by_value
      - .address_space:  global
        .offset:         40
        .size:           8
        .value_kind:     global_buffer
      - .offset:         48
        .size:           8
        .value_kind:     by_value
      - .offset:         56
        .size:           8
        .value_kind:     by_value
      - .offset:         64
        .size:           8
        .value_kind:     by_value
      - .address_space:  global
        .offset:         72
        .size:           8
        .value_kind:     global_buffer
      - .offset:         80
        .size:           8
        .value_kind:     by_value
      - .offset:         88
        .size:           8
        .value_kind:     by_value
      - .offset:         96
        .size:           8
        .value_kind:     by_value
      - .offset:         104
        .size:           4
        .value_kind:     by_value
      - .offset:         108
        .size:           1
        .value_kind:     by_value
      - .offset:         112
        .size:           4
        .value_kind:     hidden_block_count_x
      - .offset:         116
        .size:           4
        .value_kind:     hidden_block_count_y
      - .offset:         120
        .size:           4
        .value_kind:     hidden_block_count_z
      - .offset:         124
        .size:           2
        .value_kind:     hidden_group_size_x
      - .offset:         126
        .size:           2
        .value_kind:     hidden_group_size_y
      - .offset:         128
        .size:           2
        .value_kind:     hidden_group_size_z
      - .offset:         130
        .size:           2
        .value_kind:     hidden_remainder_x
      - .offset:         132
        .size:           2
        .value_kind:     hidden_remainder_y
      - .offset:         134
        .size:           2
        .value_kind:     hidden_remainder_z
      - .offset:         152
        .size:           8
        .value_kind:     hidden_global_offset_x
      - .offset:         160
        .size:           8
        .value_kind:     hidden_global_offset_y
      - .offset:         168
        .size:           8
        .value_kind:     hidden_global_offset_z
      - .offset:         176
        .size:           2
        .value_kind:     hidden_grid_dims
      - .offset:         232
        .size:           4
        .value_kind:     hidden_dynamic_lds_size
    .group_segment_fixed_size: 0
    .kernarg_segment_align: 8
    .kernarg_segment_size: 368
    .language:       OpenCL C
    .language_version:
      - 2
      - 0
    .max_flat_workgroup_size: 1024
    .name:           _ZL40rocblas_trsm_block_backward_substitutionI19rocblas_complex_numIdES1_PKPKS1_PKPS1_Lb0ELb1ELb0EEv18rocblas_operation_llT0_T1_lllT2_lllib
    .private_segment_fixed_size: 0
    .sgpr_count:     52
    .sgpr_spill_count: 0
    .symbol:         _ZL40rocblas_trsm_block_backward_substitutionI19rocblas_complex_numIdES1_PKPKS1_PKPS1_Lb0ELb1ELb0EEv18rocblas_operation_llT0_T1_lllT2_lllib.kd
    .uniform_work_group_size: 1
    .uses_dynamic_stack: false
    .vgpr_count:     36
    .vgpr_spill_count: 0
    .wavefront_size: 32
    .workgroup_processor_mode: 1
  - .args:
      - .offset:         0
        .size:           4
        .value_kind:     by_value
      - .offset:         8
        .size:           8
        .value_kind:     by_value
      - .offset:         16
        .size:           8
        .value_kind:     by_value
      - .offset:         24
        .size:           16
        .value_kind:     by_value
      - .address_space:  global
        .offset:         40
        .size:           8
        .value_kind:     global_buffer
      - .offset:         48
        .size:           8
        .value_kind:     by_value
      - .offset:         56
        .size:           8
        .value_kind:     by_value
      - .offset:         64
        .size:           8
        .value_kind:     by_value
      - .address_space:  global
        .offset:         72
        .size:           8
        .value_kind:     global_buffer
      - .offset:         80
        .size:           8
        .value_kind:     by_value
      - .offset:         88
        .size:           8
        .value_kind:     by_value
      - .offset:         96
        .size:           8
        .value_kind:     by_value
      - .offset:         104
        .size:           4
        .value_kind:     by_value
      - .offset:         108
        .size:           1
        .value_kind:     by_value
      - .offset:         112
        .size:           4
        .value_kind:     hidden_block_count_x
      - .offset:         116
        .size:           4
        .value_kind:     hidden_block_count_y
      - .offset:         120
        .size:           4
        .value_kind:     hidden_block_count_z
      - .offset:         124
        .size:           2
        .value_kind:     hidden_group_size_x
      - .offset:         126
        .size:           2
        .value_kind:     hidden_group_size_y
      - .offset:         128
        .size:           2
        .value_kind:     hidden_group_size_z
      - .offset:         130
        .size:           2
        .value_kind:     hidden_remainder_x
      - .offset:         132
        .size:           2
        .value_kind:     hidden_remainder_y
      - .offset:         134
        .size:           2
        .value_kind:     hidden_remainder_z
      - .offset:         152
        .size:           8
        .value_kind:     hidden_global_offset_x
      - .offset:         160
        .size:           8
        .value_kind:     hidden_global_offset_y
      - .offset:         168
        .size:           8
        .value_kind:     hidden_global_offset_z
      - .offset:         176
        .size:           2
        .value_kind:     hidden_grid_dims
      - .offset:         232
        .size:           4
        .value_kind:     hidden_dynamic_lds_size
    .group_segment_fixed_size: 0
    .kernarg_segment_align: 8
    .kernarg_segment_size: 368
    .language:       OpenCL C
    .language_version:
      - 2
      - 0
    .max_flat_workgroup_size: 1024
    .name:           _ZL39rocblas_trsm_block_forward_substitutionI19rocblas_complex_numIdES1_PKPKS1_PKPS1_Lb0ELb1ELb1EEv18rocblas_operation_llT0_T1_lllT2_lllib
    .private_segment_fixed_size: 0
    .sgpr_count:     41
    .sgpr_spill_count: 0
    .symbol:         _ZL39rocblas_trsm_block_forward_substitutionI19rocblas_complex_numIdES1_PKPKS1_PKPS1_Lb0ELb1ELb1EEv18rocblas_operation_llT0_T1_lllT2_lllib.kd
    .uniform_work_group_size: 1
    .uses_dynamic_stack: false
    .vgpr_count:     29
    .vgpr_spill_count: 0
    .wavefront_size: 32
    .workgroup_processor_mode: 1
  - .args:
      - .offset:         0
        .size:           4
        .value_kind:     by_value
      - .offset:         8
        .size:           8
        .value_kind:     by_value
      - .offset:         16
        .size:           8
        .value_kind:     by_value
      - .offset:         24
        .size:           16
        .value_kind:     by_value
      - .address_space:  global
        .offset:         40
        .size:           8
        .value_kind:     global_buffer
      - .offset:         48
        .size:           8
        .value_kind:     by_value
      - .offset:         56
        .size:           8
        .value_kind:     by_value
      - .offset:         64
        .size:           8
        .value_kind:     by_value
      - .address_space:  global
        .offset:         72
        .size:           8
        .value_kind:     global_buffer
      - .offset:         80
        .size:           8
        .value_kind:     by_value
      - .offset:         88
        .size:           8
        .value_kind:     by_value
      - .offset:         96
        .size:           8
        .value_kind:     by_value
      - .offset:         104
        .size:           4
        .value_kind:     by_value
      - .offset:         108
        .size:           1
        .value_kind:     by_value
      - .offset:         112
        .size:           4
        .value_kind:     hidden_block_count_x
      - .offset:         116
        .size:           4
        .value_kind:     hidden_block_count_y
      - .offset:         120
        .size:           4
        .value_kind:     hidden_block_count_z
      - .offset:         124
        .size:           2
        .value_kind:     hidden_group_size_x
      - .offset:         126
        .size:           2
        .value_kind:     hidden_group_size_y
      - .offset:         128
        .size:           2
        .value_kind:     hidden_group_size_z
      - .offset:         130
        .size:           2
        .value_kind:     hidden_remainder_x
      - .offset:         132
        .size:           2
        .value_kind:     hidden_remainder_y
      - .offset:         134
        .size:           2
        .value_kind:     hidden_remainder_z
      - .offset:         152
        .size:           8
        .value_kind:     hidden_global_offset_x
      - .offset:         160
        .size:           8
        .value_kind:     hidden_global_offset_y
      - .offset:         168
        .size:           8
        .value_kind:     hidden_global_offset_z
      - .offset:         176
        .size:           2
        .value_kind:     hidden_grid_dims
      - .offset:         232
        .size:           4
        .value_kind:     hidden_dynamic_lds_size
    .group_segment_fixed_size: 0
    .kernarg_segment_align: 8
    .kernarg_segment_size: 368
    .language:       OpenCL C
    .language_version:
      - 2
      - 0
    .max_flat_workgroup_size: 1024
    .name:           _ZL40rocblas_trsm_block_backward_substitutionI19rocblas_complex_numIdES1_PKPKS1_PKPS1_Lb0ELb1ELb1EEv18rocblas_operation_llT0_T1_lllT2_lllib
    .private_segment_fixed_size: 0
    .sgpr_count:     44
    .sgpr_spill_count: 0
    .symbol:         _ZL40rocblas_trsm_block_backward_substitutionI19rocblas_complex_numIdES1_PKPKS1_PKPS1_Lb0ELb1ELb1EEv18rocblas_operation_llT0_T1_lllT2_lllib.kd
    .uniform_work_group_size: 1
    .uses_dynamic_stack: false
    .vgpr_count:     29
    .vgpr_spill_count: 0
    .wavefront_size: 32
    .workgroup_processor_mode: 1
  - .args:
      - .offset:         0
        .size:           4
        .value_kind:     by_value
      - .offset:         8
        .size:           8
        .value_kind:     by_value
      - .offset:         16
        .size:           8
        .value_kind:     by_value
      - .offset:         24
        .size:           16
        .value_kind:     by_value
      - .address_space:  global
        .offset:         40
        .size:           8
        .value_kind:     global_buffer
      - .offset:         48
        .size:           8
        .value_kind:     by_value
      - .offset:         56
        .size:           8
        .value_kind:     by_value
      - .offset:         64
        .size:           8
        .value_kind:     by_value
      - .address_space:  global
        .offset:         72
        .size:           8
        .value_kind:     global_buffer
      - .offset:         80
        .size:           8
        .value_kind:     by_value
      - .offset:         88
        .size:           8
        .value_kind:     by_value
      - .offset:         96
        .size:           8
        .value_kind:     by_value
      - .offset:         104
        .size:           4
        .value_kind:     by_value
      - .offset:         108
        .size:           1
        .value_kind:     by_value
      - .offset:         112
        .size:           4
        .value_kind:     hidden_block_count_x
      - .offset:         116
        .size:           4
        .value_kind:     hidden_block_count_y
      - .offset:         120
        .size:           4
        .value_kind:     hidden_block_count_z
      - .offset:         124
        .size:           2
        .value_kind:     hidden_group_size_x
      - .offset:         126
        .size:           2
        .value_kind:     hidden_group_size_y
      - .offset:         128
        .size:           2
        .value_kind:     hidden_group_size_z
      - .offset:         130
        .size:           2
        .value_kind:     hidden_remainder_x
      - .offset:         132
        .size:           2
        .value_kind:     hidden_remainder_y
      - .offset:         134
        .size:           2
        .value_kind:     hidden_remainder_z
      - .offset:         152
        .size:           8
        .value_kind:     hidden_global_offset_x
      - .offset:         160
        .size:           8
        .value_kind:     hidden_global_offset_y
      - .offset:         168
        .size:           8
        .value_kind:     hidden_global_offset_z
      - .offset:         176
        .size:           2
        .value_kind:     hidden_grid_dims
      - .offset:         232
        .size:           4
        .value_kind:     hidden_dynamic_lds_size
    .group_segment_fixed_size: 0
    .kernarg_segment_align: 8
    .kernarg_segment_size: 368
    .language:       OpenCL C
    .language_version:
      - 2
      - 0
    .max_flat_workgroup_size: 1024
    .name:           _ZL39rocblas_trsm_block_forward_substitutionI19rocblas_complex_numIdES1_PKPKS1_PKPS1_Lb1ELb1ELb0EEv18rocblas_operation_llT0_T1_lllT2_lllib
    .private_segment_fixed_size: 0
    .sgpr_count:     46
    .sgpr_spill_count: 0
    .symbol:         _ZL39rocblas_trsm_block_forward_substitutionI19rocblas_complex_numIdES1_PKPKS1_PKPS1_Lb1ELb1ELb0EEv18rocblas_operation_llT0_T1_lllT2_lllib.kd
    .uniform_work_group_size: 1
    .uses_dynamic_stack: false
    .vgpr_count:     35
    .vgpr_spill_count: 0
    .wavefront_size: 32
    .workgroup_processor_mode: 1
  - .args:
      - .offset:         0
        .size:           4
        .value_kind:     by_value
      - .offset:         8
        .size:           8
        .value_kind:     by_value
      - .offset:         16
        .size:           8
        .value_kind:     by_value
      - .offset:         24
        .size:           16
        .value_kind:     by_value
      - .address_space:  global
        .offset:         40
        .size:           8
        .value_kind:     global_buffer
      - .offset:         48
        .size:           8
        .value_kind:     by_value
      - .offset:         56
        .size:           8
        .value_kind:     by_value
      - .offset:         64
        .size:           8
        .value_kind:     by_value
      - .address_space:  global
        .offset:         72
        .size:           8
        .value_kind:     global_buffer
      - .offset:         80
        .size:           8
        .value_kind:     by_value
      - .offset:         88
        .size:           8
        .value_kind:     by_value
      - .offset:         96
        .size:           8
        .value_kind:     by_value
      - .offset:         104
        .size:           4
        .value_kind:     by_value
      - .offset:         108
        .size:           1
        .value_kind:     by_value
      - .offset:         112
        .size:           4
        .value_kind:     hidden_block_count_x
      - .offset:         116
        .size:           4
        .value_kind:     hidden_block_count_y
      - .offset:         120
        .size:           4
        .value_kind:     hidden_block_count_z
      - .offset:         124
        .size:           2
        .value_kind:     hidden_group_size_x
      - .offset:         126
        .size:           2
        .value_kind:     hidden_group_size_y
      - .offset:         128
        .size:           2
        .value_kind:     hidden_group_size_z
      - .offset:         130
        .size:           2
        .value_kind:     hidden_remainder_x
      - .offset:         132
        .size:           2
        .value_kind:     hidden_remainder_y
      - .offset:         134
        .size:           2
        .value_kind:     hidden_remainder_z
      - .offset:         152
        .size:           8
        .value_kind:     hidden_global_offset_x
      - .offset:         160
        .size:           8
        .value_kind:     hidden_global_offset_y
      - .offset:         168
        .size:           8
        .value_kind:     hidden_global_offset_z
      - .offset:         176
        .size:           2
        .value_kind:     hidden_grid_dims
      - .offset:         232
        .size:           4
        .value_kind:     hidden_dynamic_lds_size
    .group_segment_fixed_size: 0
    .kernarg_segment_align: 8
    .kernarg_segment_size: 368
    .language:       OpenCL C
    .language_version:
      - 2
      - 0
    .max_flat_workgroup_size: 1024
    .name:           _ZL40rocblas_trsm_block_backward_substitutionI19rocblas_complex_numIdES1_PKPKS1_PKPS1_Lb1ELb1ELb0EEv18rocblas_operation_llT0_T1_lllT2_lllib
    .private_segment_fixed_size: 0
    .sgpr_count:     50
    .sgpr_spill_count: 0
    .symbol:         _ZL40rocblas_trsm_block_backward_substitutionI19rocblas_complex_numIdES1_PKPKS1_PKPS1_Lb1ELb1ELb0EEv18rocblas_operation_llT0_T1_lllT2_lllib.kd
    .uniform_work_group_size: 1
    .uses_dynamic_stack: false
    .vgpr_count:     36
    .vgpr_spill_count: 0
    .wavefront_size: 32
    .workgroup_processor_mode: 1
  - .args:
      - .offset:         0
        .size:           4
        .value_kind:     by_value
      - .offset:         8
        .size:           8
        .value_kind:     by_value
      - .offset:         16
        .size:           8
        .value_kind:     by_value
      - .offset:         24
        .size:           16
        .value_kind:     by_value
      - .address_space:  global
        .offset:         40
        .size:           8
        .value_kind:     global_buffer
      - .offset:         48
        .size:           8
        .value_kind:     by_value
      - .offset:         56
        .size:           8
        .value_kind:     by_value
      - .offset:         64
        .size:           8
        .value_kind:     by_value
      - .address_space:  global
        .offset:         72
        .size:           8
        .value_kind:     global_buffer
      - .offset:         80
        .size:           8
        .value_kind:     by_value
      - .offset:         88
        .size:           8
        .value_kind:     by_value
      - .offset:         96
        .size:           8
        .value_kind:     by_value
      - .offset:         104
        .size:           4
        .value_kind:     by_value
      - .offset:         108
        .size:           1
        .value_kind:     by_value
      - .offset:         112
        .size:           4
        .value_kind:     hidden_block_count_x
      - .offset:         116
        .size:           4
        .value_kind:     hidden_block_count_y
      - .offset:         120
        .size:           4
        .value_kind:     hidden_block_count_z
      - .offset:         124
        .size:           2
        .value_kind:     hidden_group_size_x
      - .offset:         126
        .size:           2
        .value_kind:     hidden_group_size_y
      - .offset:         128
        .size:           2
        .value_kind:     hidden_group_size_z
      - .offset:         130
        .size:           2
        .value_kind:     hidden_remainder_x
      - .offset:         132
        .size:           2
        .value_kind:     hidden_remainder_y
      - .offset:         134
        .size:           2
        .value_kind:     hidden_remainder_z
      - .offset:         152
        .size:           8
        .value_kind:     hidden_global_offset_x
      - .offset:         160
        .size:           8
        .value_kind:     hidden_global_offset_y
      - .offset:         168
        .size:           8
        .value_kind:     hidden_global_offset_z
      - .offset:         176
        .size:           2
        .value_kind:     hidden_grid_dims
      - .offset:         232
        .size:           4
        .value_kind:     hidden_dynamic_lds_size
    .group_segment_fixed_size: 0
    .kernarg_segment_align: 8
    .kernarg_segment_size: 368
    .language:       OpenCL C
    .language_version:
      - 2
      - 0
    .max_flat_workgroup_size: 1024
    .name:           _ZL39rocblas_trsm_block_forward_substitutionI19rocblas_complex_numIdES1_PKPKS1_PKPS1_Lb1ELb1ELb1EEv18rocblas_operation_llT0_T1_lllT2_lllib
    .private_segment_fixed_size: 0
    .sgpr_count:     43
    .sgpr_spill_count: 0
    .symbol:         _ZL39rocblas_trsm_block_forward_substitutionI19rocblas_complex_numIdES1_PKPKS1_PKPS1_Lb1ELb1ELb1EEv18rocblas_operation_llT0_T1_lllT2_lllib.kd
    .uniform_work_group_size: 1
    .uses_dynamic_stack: false
    .vgpr_count:     28
    .vgpr_spill_count: 0
    .wavefront_size: 32
    .workgroup_processor_mode: 1
  - .args:
      - .offset:         0
        .size:           4
        .value_kind:     by_value
      - .offset:         8
        .size:           8
        .value_kind:     by_value
      - .offset:         16
        .size:           8
        .value_kind:     by_value
      - .offset:         24
        .size:           16
        .value_kind:     by_value
      - .address_space:  global
        .offset:         40
        .size:           8
        .value_kind:     global_buffer
      - .offset:         48
        .size:           8
        .value_kind:     by_value
      - .offset:         56
        .size:           8
        .value_kind:     by_value
      - .offset:         64
        .size:           8
        .value_kind:     by_value
      - .address_space:  global
        .offset:         72
        .size:           8
        .value_kind:     global_buffer
      - .offset:         80
        .size:           8
        .value_kind:     by_value
      - .offset:         88
        .size:           8
        .value_kind:     by_value
      - .offset:         96
        .size:           8
        .value_kind:     by_value
      - .offset:         104
        .size:           4
        .value_kind:     by_value
      - .offset:         108
        .size:           1
        .value_kind:     by_value
      - .offset:         112
        .size:           4
        .value_kind:     hidden_block_count_x
      - .offset:         116
        .size:           4
        .value_kind:     hidden_block_count_y
      - .offset:         120
        .size:           4
        .value_kind:     hidden_block_count_z
      - .offset:         124
        .size:           2
        .value_kind:     hidden_group_size_x
      - .offset:         126
        .size:           2
        .value_kind:     hidden_group_size_y
      - .offset:         128
        .size:           2
        .value_kind:     hidden_group_size_z
      - .offset:         130
        .size:           2
        .value_kind:     hidden_remainder_x
      - .offset:         132
        .size:           2
        .value_kind:     hidden_remainder_y
      - .offset:         134
        .size:           2
        .value_kind:     hidden_remainder_z
      - .offset:         152
        .size:           8
        .value_kind:     hidden_global_offset_x
      - .offset:         160
        .size:           8
        .value_kind:     hidden_global_offset_y
      - .offset:         168
        .size:           8
        .value_kind:     hidden_global_offset_z
      - .offset:         176
        .size:           2
        .value_kind:     hidden_grid_dims
      - .offset:         232
        .size:           4
        .value_kind:     hidden_dynamic_lds_size
    .group_segment_fixed_size: 0
    .kernarg_segment_align: 8
    .kernarg_segment_size: 368
    .language:       OpenCL C
    .language_version:
      - 2
      - 0
    .max_flat_workgroup_size: 1024
    .name:           _ZL40rocblas_trsm_block_backward_substitutionI19rocblas_complex_numIdES1_PKPKS1_PKPS1_Lb1ELb1ELb1EEv18rocblas_operation_llT0_T1_lllT2_lllib
    .private_segment_fixed_size: 0
    .sgpr_count:     44
    .sgpr_spill_count: 0
    .symbol:         _ZL40rocblas_trsm_block_backward_substitutionI19rocblas_complex_numIdES1_PKPKS1_PKPS1_Lb1ELb1ELb1EEv18rocblas_operation_llT0_T1_lllT2_lllib.kd
    .uniform_work_group_size: 1
    .uses_dynamic_stack: false
    .vgpr_count:     27
    .vgpr_spill_count: 0
    .wavefront_size: 32
    .workgroup_processor_mode: 1
  - .args:
      - .offset:         0
        .size:           4
        .value_kind:     by_value
      - .offset:         8
        .size:           8
        .value_kind:     by_value
      - .offset:         16
        .size:           8
        .value_kind:     by_value
      - .offset:         24
        .size:           16
        .value_kind:     by_value
      - .address_space:  global
        .offset:         40
        .size:           8
        .value_kind:     global_buffer
      - .offset:         48
        .size:           8
        .value_kind:     by_value
      - .offset:         56
        .size:           8
        .value_kind:     by_value
      - .offset:         64
        .size:           8
        .value_kind:     by_value
      - .address_space:  global
        .offset:         72
        .size:           8
        .value_kind:     global_buffer
      - .offset:         80
        .size:           8
        .value_kind:     by_value
      - .offset:         88
        .size:           8
        .value_kind:     by_value
      - .offset:         96
        .size:           8
        .value_kind:     by_value
      - .offset:         104
        .size:           4
        .value_kind:     by_value
      - .offset:         108
        .size:           1
        .value_kind:     by_value
      - .offset:         112
        .size:           4
        .value_kind:     hidden_block_count_x
      - .offset:         116
        .size:           4
        .value_kind:     hidden_block_count_y
      - .offset:         120
        .size:           4
        .value_kind:     hidden_block_count_z
      - .offset:         124
        .size:           2
        .value_kind:     hidden_group_size_x
      - .offset:         126
        .size:           2
        .value_kind:     hidden_group_size_y
      - .offset:         128
        .size:           2
        .value_kind:     hidden_group_size_z
      - .offset:         130
        .size:           2
        .value_kind:     hidden_remainder_x
      - .offset:         132
        .size:           2
        .value_kind:     hidden_remainder_y
      - .offset:         134
        .size:           2
        .value_kind:     hidden_remainder_z
      - .offset:         152
        .size:           8
        .value_kind:     hidden_global_offset_x
      - .offset:         160
        .size:           8
        .value_kind:     hidden_global_offset_y
      - .offset:         168
        .size:           8
        .value_kind:     hidden_global_offset_z
      - .offset:         176
        .size:           2
        .value_kind:     hidden_grid_dims
      - .offset:         232
        .size:           4
        .value_kind:     hidden_dynamic_lds_size
    .group_segment_fixed_size: 0
    .kernarg_segment_align: 8
    .kernarg_segment_size: 368
    .language:       OpenCL C
    .language_version:
      - 2
      - 0
    .max_flat_workgroup_size: 1024
    .name:           _ZL39rocblas_trsm_block_forward_substitutionI19rocblas_complex_numIdES1_PKPKS1_PKPS1_Lb1ELb0ELb0EEv18rocblas_operation_llT0_T1_lllT2_lllib
    .private_segment_fixed_size: 0
    .sgpr_count:     46
    .sgpr_spill_count: 0
    .symbol:         _ZL39rocblas_trsm_block_forward_substitutionI19rocblas_complex_numIdES1_PKPKS1_PKPS1_Lb1ELb0ELb0EEv18rocblas_operation_llT0_T1_lllT2_lllib.kd
    .uniform_work_group_size: 1
    .uses_dynamic_stack: false
    .vgpr_count:     33
    .vgpr_spill_count: 0
    .wavefront_size: 32
    .workgroup_processor_mode: 1
  - .args:
      - .offset:         0
        .size:           4
        .value_kind:     by_value
      - .offset:         8
        .size:           8
        .value_kind:     by_value
      - .offset:         16
        .size:           8
        .value_kind:     by_value
      - .offset:         24
        .size:           16
        .value_kind:     by_value
      - .address_space:  global
        .offset:         40
        .size:           8
        .value_kind:     global_buffer
      - .offset:         48
        .size:           8
        .value_kind:     by_value
      - .offset:         56
        .size:           8
        .value_kind:     by_value
      - .offset:         64
        .size:           8
        .value_kind:     by_value
      - .address_space:  global
        .offset:         72
        .size:           8
        .value_kind:     global_buffer
      - .offset:         80
        .size:           8
        .value_kind:     by_value
      - .offset:         88
        .size:           8
        .value_kind:     by_value
      - .offset:         96
        .size:           8
        .value_kind:     by_value
      - .offset:         104
        .size:           4
        .value_kind:     by_value
      - .offset:         108
        .size:           1
        .value_kind:     by_value
      - .offset:         112
        .size:           4
        .value_kind:     hidden_block_count_x
      - .offset:         116
        .size:           4
        .value_kind:     hidden_block_count_y
      - .offset:         120
        .size:           4
        .value_kind:     hidden_block_count_z
      - .offset:         124
        .size:           2
        .value_kind:     hidden_group_size_x
      - .offset:         126
        .size:           2
        .value_kind:     hidden_group_size_y
      - .offset:         128
        .size:           2
        .value_kind:     hidden_group_size_z
      - .offset:         130
        .size:           2
        .value_kind:     hidden_remainder_x
      - .offset:         132
        .size:           2
        .value_kind:     hidden_remainder_y
      - .offset:         134
        .size:           2
        .value_kind:     hidden_remainder_z
      - .offset:         152
        .size:           8
        .value_kind:     hidden_global_offset_x
      - .offset:         160
        .size:           8
        .value_kind:     hidden_global_offset_y
      - .offset:         168
        .size:           8
        .value_kind:     hidden_global_offset_z
      - .offset:         176
        .size:           2
        .value_kind:     hidden_grid_dims
      - .offset:         232
        .size:           4
        .value_kind:     hidden_dynamic_lds_size
    .group_segment_fixed_size: 0
    .kernarg_segment_align: 8
    .kernarg_segment_size: 368
    .language:       OpenCL C
    .language_version:
      - 2
      - 0
    .max_flat_workgroup_size: 1024
    .name:           _ZL40rocblas_trsm_block_backward_substitutionI19rocblas_complex_numIdES1_PKPKS1_PKPS1_Lb1ELb0ELb0EEv18rocblas_operation_llT0_T1_lllT2_lllib
    .private_segment_fixed_size: 0
    .sgpr_count:     50
    .sgpr_spill_count: 0
    .symbol:         _ZL40rocblas_trsm_block_backward_substitutionI19rocblas_complex_numIdES1_PKPKS1_PKPS1_Lb1ELb0ELb0EEv18rocblas_operation_llT0_T1_lllT2_lllib.kd
    .uniform_work_group_size: 1
    .uses_dynamic_stack: false
    .vgpr_count:     38
    .vgpr_spill_count: 0
    .wavefront_size: 32
    .workgroup_processor_mode: 1
  - .args:
      - .offset:         0
        .size:           4
        .value_kind:     by_value
      - .offset:         8
        .size:           8
        .value_kind:     by_value
      - .offset:         16
        .size:           8
        .value_kind:     by_value
      - .offset:         24
        .size:           16
        .value_kind:     by_value
      - .address_space:  global
        .offset:         40
        .size:           8
        .value_kind:     global_buffer
      - .offset:         48
        .size:           8
        .value_kind:     by_value
      - .offset:         56
        .size:           8
        .value_kind:     by_value
      - .offset:         64
        .size:           8
        .value_kind:     by_value
      - .address_space:  global
        .offset:         72
        .size:           8
        .value_kind:     global_buffer
      - .offset:         80
        .size:           8
        .value_kind:     by_value
      - .offset:         88
        .size:           8
        .value_kind:     by_value
      - .offset:         96
        .size:           8
        .value_kind:     by_value
      - .offset:         104
        .size:           4
        .value_kind:     by_value
      - .offset:         108
        .size:           1
        .value_kind:     by_value
      - .offset:         112
        .size:           4
        .value_kind:     hidden_block_count_x
      - .offset:         116
        .size:           4
        .value_kind:     hidden_block_count_y
      - .offset:         120
        .size:           4
        .value_kind:     hidden_block_count_z
      - .offset:         124
        .size:           2
        .value_kind:     hidden_group_size_x
      - .offset:         126
        .size:           2
        .value_kind:     hidden_group_size_y
      - .offset:         128
        .size:           2
        .value_kind:     hidden_group_size_z
      - .offset:         130
        .size:           2
        .value_kind:     hidden_remainder_x
      - .offset:         132
        .size:           2
        .value_kind:     hidden_remainder_y
      - .offset:         134
        .size:           2
        .value_kind:     hidden_remainder_z
      - .offset:         152
        .size:           8
        .value_kind:     hidden_global_offset_x
      - .offset:         160
        .size:           8
        .value_kind:     hidden_global_offset_y
      - .offset:         168
        .size:           8
        .value_kind:     hidden_global_offset_z
      - .offset:         176
        .size:           2
        .value_kind:     hidden_grid_dims
      - .offset:         232
        .size:           4
        .value_kind:     hidden_dynamic_lds_size
    .group_segment_fixed_size: 0
    .kernarg_segment_align: 8
    .kernarg_segment_size: 368
    .language:       OpenCL C
    .language_version:
      - 2
      - 0
    .max_flat_workgroup_size: 1024
    .name:           _ZL39rocblas_trsm_block_forward_substitutionI19rocblas_complex_numIdES1_PKPKS1_PKPS1_Lb1ELb0ELb1EEv18rocblas_operation_llT0_T1_lllT2_lllib
    .private_segment_fixed_size: 0
    .sgpr_count:     43
    .sgpr_spill_count: 0
    .symbol:         _ZL39rocblas_trsm_block_forward_substitutionI19rocblas_complex_numIdES1_PKPKS1_PKPS1_Lb1ELb0ELb1EEv18rocblas_operation_llT0_T1_lllT2_lllib.kd
    .uniform_work_group_size: 1
    .uses_dynamic_stack: false
    .vgpr_count:     27
    .vgpr_spill_count: 0
    .wavefront_size: 32
    .workgroup_processor_mode: 1
  - .args:
      - .offset:         0
        .size:           4
        .value_kind:     by_value
      - .offset:         8
        .size:           8
        .value_kind:     by_value
      - .offset:         16
        .size:           8
        .value_kind:     by_value
      - .offset:         24
        .size:           16
        .value_kind:     by_value
      - .address_space:  global
        .offset:         40
        .size:           8
        .value_kind:     global_buffer
      - .offset:         48
        .size:           8
        .value_kind:     by_value
      - .offset:         56
        .size:           8
        .value_kind:     by_value
      - .offset:         64
        .size:           8
        .value_kind:     by_value
      - .address_space:  global
        .offset:         72
        .size:           8
        .value_kind:     global_buffer
      - .offset:         80
        .size:           8
        .value_kind:     by_value
      - .offset:         88
        .size:           8
        .value_kind:     by_value
      - .offset:         96
        .size:           8
        .value_kind:     by_value
      - .offset:         104
        .size:           4
        .value_kind:     by_value
      - .offset:         108
        .size:           1
        .value_kind:     by_value
      - .offset:         112
        .size:           4
        .value_kind:     hidden_block_count_x
      - .offset:         116
        .size:           4
        .value_kind:     hidden_block_count_y
      - .offset:         120
        .size:           4
        .value_kind:     hidden_block_count_z
      - .offset:         124
        .size:           2
        .value_kind:     hidden_group_size_x
      - .offset:         126
        .size:           2
        .value_kind:     hidden_group_size_y
      - .offset:         128
        .size:           2
        .value_kind:     hidden_group_size_z
      - .offset:         130
        .size:           2
        .value_kind:     hidden_remainder_x
      - .offset:         132
        .size:           2
        .value_kind:     hidden_remainder_y
      - .offset:         134
        .size:           2
        .value_kind:     hidden_remainder_z
      - .offset:         152
        .size:           8
        .value_kind:     hidden_global_offset_x
      - .offset:         160
        .size:           8
        .value_kind:     hidden_global_offset_y
      - .offset:         168
        .size:           8
        .value_kind:     hidden_global_offset_z
      - .offset:         176
        .size:           2
        .value_kind:     hidden_grid_dims
      - .offset:         232
        .size:           4
        .value_kind:     hidden_dynamic_lds_size
    .group_segment_fixed_size: 0
    .kernarg_segment_align: 8
    .kernarg_segment_size: 368
    .language:       OpenCL C
    .language_version:
      - 2
      - 0
    .max_flat_workgroup_size: 1024
    .name:           _ZL40rocblas_trsm_block_backward_substitutionI19rocblas_complex_numIdES1_PKPKS1_PKPS1_Lb1ELb0ELb1EEv18rocblas_operation_llT0_T1_lllT2_lllib
    .private_segment_fixed_size: 0
    .sgpr_count:     44
    .sgpr_spill_count: 0
    .symbol:         _ZL40rocblas_trsm_block_backward_substitutionI19rocblas_complex_numIdES1_PKPKS1_PKPS1_Lb1ELb0ELb1EEv18rocblas_operation_llT0_T1_lllT2_lllib.kd
    .uniform_work_group_size: 1
    .uses_dynamic_stack: false
    .vgpr_count:     29
    .vgpr_spill_count: 0
    .wavefront_size: 32
    .workgroup_processor_mode: 1
  - .args:
      - .address_space:  global
        .offset:         0
        .size:           8
        .value_kind:     global_buffer
      - .offset:         8
        .size:           8
        .value_kind:     by_value
      - .address_space:  global
        .offset:         16
        .size:           8
        .value_kind:     global_buffer
    .group_segment_fixed_size: 0
    .kernarg_segment_align: 8
    .kernarg_segment_size: 24
    .language:       OpenCL C
    .language_version:
      - 2
      - 0
    .max_flat_workgroup_size: 128
    .name:           _ZL26setup_batched_array_kernelILi128E19rocblas_complex_numIdEEvPT0_lPS3_
    .private_segment_fixed_size: 0
    .sgpr_count:     8
    .sgpr_spill_count: 0
    .symbol:         _ZL26setup_batched_array_kernelILi128E19rocblas_complex_numIdEEvPT0_lPS3_.kd
    .uniform_work_group_size: 1
    .uses_dynamic_stack: false
    .vgpr_count:     3
    .vgpr_spill_count: 0
    .wavefront_size: 32
    .workgroup_processor_mode: 1
  - .args:
      - .offset:         0
        .size:           4
        .value_kind:     by_value
      - .offset:         4
        .size:           4
        .value_kind:     by_value
      - .address_space:  global
        .offset:         8
        .size:           8
        .value_kind:     global_buffer
      - .offset:         16
        .size:           8
        .value_kind:     by_value
      - .offset:         24
        .size:           4
        .value_kind:     by_value
      - .offset:         32
        .size:           8
        .value_kind:     by_value
      - .address_space:  global
        .offset:         40
        .size:           8
        .value_kind:     global_buffer
      - .offset:         48
        .size:           8
        .value_kind:     by_value
      - .offset:         56
        .size:           8
        .value_kind:     by_value
      - .offset:         64
        .size:           4
        .value_kind:     by_value
    .group_segment_fixed_size: 16384
    .kernarg_segment_align: 8
    .kernarg_segment_size: 68
    .language:       OpenCL C
    .language_version:
      - 2
      - 0
    .max_flat_workgroup_size: 256
    .name:           _ZL25rocblas_trtri_trsm_kernelILi128ELi16ELi8E19rocblas_complex_numIdEPKPKS1_PKPS1_Ev13rocblas_fill_17rocblas_diagonal_T3_lilT4_lli
    .private_segment_fixed_size: 0
    .sgpr_count:     100
    .sgpr_spill_count: 0
    .symbol:         _ZL25rocblas_trtri_trsm_kernelILi128ELi16ELi8E19rocblas_complex_numIdEPKPKS1_PKPS1_Ev13rocblas_fill_17rocblas_diagonal_T3_lilT4_lli.kd
    .uniform_work_group_size: 1
    .uses_dynamic_stack: false
    .vgpr_count:     81
    .vgpr_spill_count: 0
    .wavefront_size: 32
    .workgroup_processor_mode: 1
  - .args:
      - .address_space:  global
        .offset:         0
        .size:           8
        .value_kind:     global_buffer
      - .offset:         8
        .size:           4
        .value_kind:     by_value
      - .offset:         12
        .size:           4
        .value_kind:     by_value
      - .offset:         16
        .size:           8
        .value_kind:     by_value
      - .offset:         24
        .size:           4
        .value_kind:     by_value
      - .offset:         32
        .size:           8
        .value_kind:     by_value
      - .address_space:  global
        .offset:         40
        .size:           8
        .value_kind:     global_buffer
      - .offset:         48
        .size:           8
        .value_kind:     by_value
      - .offset:         56
        .size:           8
        .value_kind:     by_value
      - .offset:         64
        .size:           4
        .value_kind:     by_value
      - .offset:         68
        .size:           4
        .value_kind:     by_value
      - .offset:         72
        .size:           4
        .value_kind:     hidden_block_count_x
      - .offset:         76
        .size:           4
        .value_kind:     hidden_block_count_y
      - .offset:         80
        .size:           4
        .value_kind:     hidden_block_count_z
      - .offset:         84
        .size:           2
        .value_kind:     hidden_group_size_x
      - .offset:         86
        .size:           2
        .value_kind:     hidden_group_size_y
      - .offset:         88
        .size:           2
        .value_kind:     hidden_group_size_z
      - .offset:         90
        .size:           2
        .value_kind:     hidden_remainder_x
      - .offset:         92
        .size:           2
        .value_kind:     hidden_remainder_y
      - .offset:         94
        .size:           2
        .value_kind:     hidden_remainder_z
      - .offset:         112
        .size:           8
        .value_kind:     hidden_global_offset_x
      - .offset:         120
        .size:           8
        .value_kind:     hidden_global_offset_y
      - .offset:         128
        .size:           8
        .value_kind:     hidden_global_offset_z
      - .offset:         136
        .size:           2
        .value_kind:     hidden_grid_dims
    .group_segment_fixed_size: 0
    .kernarg_segment_align: 8
    .kernarg_segment_size: 328
    .language:       OpenCL C
    .language_version:
      - 2
      - 0
    .max_flat_workgroup_size: 128
    .name:           _ZL18rocblas_trtri_fillILi128E19rocblas_complex_numIdEPKPS1_EvP15_rocblas_handle13rocblas_fill_ililT1_llii
    .private_segment_fixed_size: 0
    .sgpr_count:     49
    .sgpr_spill_count: 0
    .symbol:         _ZL18rocblas_trtri_fillILi128E19rocblas_complex_numIdEPKPS1_EvP15_rocblas_handle13rocblas_fill_ililT1_llii.kd
    .uniform_work_group_size: 1
    .uses_dynamic_stack: false
    .vgpr_count:     26
    .vgpr_spill_count: 0
    .wavefront_size: 32
    .workgroup_processor_mode: 1
  - .args:
      - .offset:         0
        .size:           4
        .value_kind:     by_value
      - .offset:         4
        .size:           4
        .value_kind:     by_value
      - .offset:         8
        .size:           4
        .value_kind:     by_value
      - .address_space:  global
        .offset:         16
        .size:           8
        .value_kind:     global_buffer
      - .offset:         24
        .size:           4
        .value_kind:     by_value
      - .offset:         32
        .size:           8
        .value_kind:     by_value
      - .address_space:  global
        .offset:         40
        .size:           8
        .value_kind:     global_buffer
      - .offset:         48
        .size:           4
        .value_kind:     by_value
      - .offset:         56
        .size:           8
        .value_kind:     by_value
      - .offset:         64
        .size:           8
        .value_kind:     by_value
      - .offset:         72
        .size:           8
        .value_kind:     by_value
      - .offset:         80
        .size:           4
        .value_kind:     by_value
      - .offset:         88
        .size:           4
        .value_kind:     hidden_block_count_x
      - .offset:         92
        .size:           4
        .value_kind:     hidden_block_count_y
      - .offset:         96
        .size:           4
        .value_kind:     hidden_block_count_z
      - .offset:         100
        .size:           2
        .value_kind:     hidden_group_size_x
      - .offset:         102
        .size:           2
        .value_kind:     hidden_group_size_y
      - .offset:         104
        .size:           2
        .value_kind:     hidden_group_size_z
      - .offset:         106
        .size:           2
        .value_kind:     hidden_remainder_x
      - .offset:         108
        .size:           2
        .value_kind:     hidden_remainder_y
      - .offset:         110
        .size:           2
        .value_kind:     hidden_remainder_z
      - .offset:         128
        .size:           8
        .value_kind:     hidden_global_offset_x
      - .offset:         136
        .size:           8
        .value_kind:     hidden_global_offset_y
      - .offset:         144
        .size:           8
        .value_kind:     hidden_global_offset_z
      - .offset:         152
        .size:           2
        .value_kind:     hidden_grid_dims
    .group_segment_fixed_size: 0
    .kernarg_segment_align: 8
    .kernarg_segment_size: 344
    .language:       OpenCL C
    .language_version:
      - 2
      - 0
    .max_flat_workgroup_size: 1024
    .name:           _ZL24rocblas_copy_matrix_trsmILi128ELi8E19rocblas_complex_numIdEPKPKS1_PKPS1_EviiiT2_ilT3_illli
    .private_segment_fixed_size: 0
    .sgpr_count:     26
    .sgpr_spill_count: 0
    .symbol:         _ZL24rocblas_copy_matrix_trsmILi128ELi8E19rocblas_complex_numIdEPKPKS1_PKPS1_EviiiT2_ilT3_illli.kd
    .uniform_work_group_size: 1
    .uses_dynamic_stack: false
    .vgpr_count:     17
    .vgpr_spill_count: 0
    .wavefront_size: 32
    .workgroup_processor_mode: 1
amdhsa.target:   amdgcn-amd-amdhsa--gfx1201
amdhsa.version:
  - 1
  - 2
...

	.end_amdgpu_metadata
